;; amdgpu-corpus repo=ROCm/rocThrust kind=compiled arch=gfx1250 opt=O3
	.amdgcn_target "amdgcn-amd-amdhsa--gfx1250"
	.amdhsa_code_object_version 6
	.section	.text._ZN6thrust23THRUST_200600_302600_NS11hip_rocprim14__parallel_for6kernelILj256ENS1_20__uninitialized_fill7functorINS0_10device_ptrIdEEdEEmLj1EEEvT0_T1_SA_,"axG",@progbits,_ZN6thrust23THRUST_200600_302600_NS11hip_rocprim14__parallel_for6kernelILj256ENS1_20__uninitialized_fill7functorINS0_10device_ptrIdEEdEEmLj1EEEvT0_T1_SA_,comdat
	.protected	_ZN6thrust23THRUST_200600_302600_NS11hip_rocprim14__parallel_for6kernelILj256ENS1_20__uninitialized_fill7functorINS0_10device_ptrIdEEdEEmLj1EEEvT0_T1_SA_ ; -- Begin function _ZN6thrust23THRUST_200600_302600_NS11hip_rocprim14__parallel_for6kernelILj256ENS1_20__uninitialized_fill7functorINS0_10device_ptrIdEEdEEmLj1EEEvT0_T1_SA_
	.globl	_ZN6thrust23THRUST_200600_302600_NS11hip_rocprim14__parallel_for6kernelILj256ENS1_20__uninitialized_fill7functorINS0_10device_ptrIdEEdEEmLj1EEEvT0_T1_SA_
	.p2align	8
	.type	_ZN6thrust23THRUST_200600_302600_NS11hip_rocprim14__parallel_for6kernelILj256ENS1_20__uninitialized_fill7functorINS0_10device_ptrIdEEdEEmLj1EEEvT0_T1_SA_,@function
_ZN6thrust23THRUST_200600_302600_NS11hip_rocprim14__parallel_for6kernelILj256ENS1_20__uninitialized_fill7functorINS0_10device_ptrIdEEdEEmLj1EEEvT0_T1_SA_: ; @_ZN6thrust23THRUST_200600_302600_NS11hip_rocprim14__parallel_for6kernelILj256ENS1_20__uninitialized_fill7functorINS0_10device_ptrIdEEdEEmLj1EEEvT0_T1_SA_
; %bb.0:
	s_load_b256 s[4:11], s[0:1], 0x0
	s_wait_xcnt 0x0
	s_bfe_u32 s0, ttmp6, 0x4000c
	s_and_b32 s1, ttmp6, 15
	s_add_co_i32 s0, s0, 1
	s_getreg_b32 s2, hwreg(HW_REG_IB_STS2, 6, 4)
	s_mul_i32 s0, ttmp9, s0
	s_delay_alu instid0(SALU_CYCLE_1)
	s_add_co_i32 s1, s1, s0
	s_cmp_eq_u32 s2, 0
	s_cselect_b32 s0, ttmp9, s1
	s_mov_b32 s1, 0
	s_lshl_b32 s0, s0, 8
	s_wait_kmcnt 0x0
	s_add_nc_u64 s[0:1], s[10:11], s[0:1]
	s_delay_alu instid0(SALU_CYCLE_1) | instskip(NEXT) | instid1(SALU_CYCLE_1)
	s_sub_nc_u64 s[2:3], s[8:9], s[0:1]
	v_cmp_lt_u64_e64 s3, 0xff, s[2:3]
	s_and_b32 vcc_lo, exec_lo, s3
	s_mov_b32 s3, -1
	s_cbranch_vccz .LBB0_3
; %bb.1:
	s_and_not1_b32 vcc_lo, exec_lo, s3
	s_cbranch_vccz .LBB0_6
.LBB0_2:
	s_endpgm
.LBB0_3:
	v_cmp_gt_u32_e32 vcc_lo, s2, v0
	s_and_saveexec_b32 s2, vcc_lo
	s_cbranch_execz .LBB0_5
; %bb.4:
	v_mov_b64_e32 v[2:3], s[6:7]
	s_lshl_b64 s[8:9], s[0:1], 3
	s_delay_alu instid0(SALU_CYCLE_1)
	s_add_nc_u64 s[8:9], s[4:5], s[8:9]
	flat_store_b64 v0, v[2:3], s[8:9] scale_offset
.LBB0_5:
	s_wait_xcnt 0x0
	s_or_b32 exec_lo, exec_lo, s2
	s_cbranch_execnz .LBB0_2
.LBB0_6:
	v_mov_b64_e32 v[2:3], s[6:7]
	s_lshl_b64 s[0:1], s[0:1], 3
	s_delay_alu instid0(SALU_CYCLE_1)
	s_add_nc_u64 s[0:1], s[4:5], s[0:1]
	flat_store_b64 v0, v[2:3], s[0:1] scale_offset
	s_endpgm
	.section	.rodata,"a",@progbits
	.p2align	6, 0x0
	.amdhsa_kernel _ZN6thrust23THRUST_200600_302600_NS11hip_rocprim14__parallel_for6kernelILj256ENS1_20__uninitialized_fill7functorINS0_10device_ptrIdEEdEEmLj1EEEvT0_T1_SA_
		.amdhsa_group_segment_fixed_size 0
		.amdhsa_private_segment_fixed_size 0
		.amdhsa_kernarg_size 32
		.amdhsa_user_sgpr_count 2
		.amdhsa_user_sgpr_dispatch_ptr 0
		.amdhsa_user_sgpr_queue_ptr 0
		.amdhsa_user_sgpr_kernarg_segment_ptr 1
		.amdhsa_user_sgpr_dispatch_id 0
		.amdhsa_user_sgpr_kernarg_preload_length 0
		.amdhsa_user_sgpr_kernarg_preload_offset 0
		.amdhsa_user_sgpr_private_segment_size 0
		.amdhsa_wavefront_size32 1
		.amdhsa_uses_dynamic_stack 0
		.amdhsa_enable_private_segment 0
		.amdhsa_system_sgpr_workgroup_id_x 1
		.amdhsa_system_sgpr_workgroup_id_y 0
		.amdhsa_system_sgpr_workgroup_id_z 0
		.amdhsa_system_sgpr_workgroup_info 0
		.amdhsa_system_vgpr_workitem_id 0
		.amdhsa_next_free_vgpr 4
		.amdhsa_next_free_sgpr 12
		.amdhsa_named_barrier_count 0
		.amdhsa_reserve_vcc 1
		.amdhsa_float_round_mode_32 0
		.amdhsa_float_round_mode_16_64 0
		.amdhsa_float_denorm_mode_32 3
		.amdhsa_float_denorm_mode_16_64 3
		.amdhsa_fp16_overflow 0
		.amdhsa_memory_ordered 1
		.amdhsa_forward_progress 1
		.amdhsa_inst_pref_size 2
		.amdhsa_round_robin_scheduling 0
		.amdhsa_exception_fp_ieee_invalid_op 0
		.amdhsa_exception_fp_denorm_src 0
		.amdhsa_exception_fp_ieee_div_zero 0
		.amdhsa_exception_fp_ieee_overflow 0
		.amdhsa_exception_fp_ieee_underflow 0
		.amdhsa_exception_fp_ieee_inexact 0
		.amdhsa_exception_int_div_zero 0
	.end_amdhsa_kernel
	.section	.text._ZN6thrust23THRUST_200600_302600_NS11hip_rocprim14__parallel_for6kernelILj256ENS1_20__uninitialized_fill7functorINS0_10device_ptrIdEEdEEmLj1EEEvT0_T1_SA_,"axG",@progbits,_ZN6thrust23THRUST_200600_302600_NS11hip_rocprim14__parallel_for6kernelILj256ENS1_20__uninitialized_fill7functorINS0_10device_ptrIdEEdEEmLj1EEEvT0_T1_SA_,comdat
.Lfunc_end0:
	.size	_ZN6thrust23THRUST_200600_302600_NS11hip_rocprim14__parallel_for6kernelILj256ENS1_20__uninitialized_fill7functorINS0_10device_ptrIdEEdEEmLj1EEEvT0_T1_SA_, .Lfunc_end0-_ZN6thrust23THRUST_200600_302600_NS11hip_rocprim14__parallel_for6kernelILj256ENS1_20__uninitialized_fill7functorINS0_10device_ptrIdEEdEEmLj1EEEvT0_T1_SA_
                                        ; -- End function
	.set _ZN6thrust23THRUST_200600_302600_NS11hip_rocprim14__parallel_for6kernelILj256ENS1_20__uninitialized_fill7functorINS0_10device_ptrIdEEdEEmLj1EEEvT0_T1_SA_.num_vgpr, 4
	.set _ZN6thrust23THRUST_200600_302600_NS11hip_rocprim14__parallel_for6kernelILj256ENS1_20__uninitialized_fill7functorINS0_10device_ptrIdEEdEEmLj1EEEvT0_T1_SA_.num_agpr, 0
	.set _ZN6thrust23THRUST_200600_302600_NS11hip_rocprim14__parallel_for6kernelILj256ENS1_20__uninitialized_fill7functorINS0_10device_ptrIdEEdEEmLj1EEEvT0_T1_SA_.numbered_sgpr, 12
	.set _ZN6thrust23THRUST_200600_302600_NS11hip_rocprim14__parallel_for6kernelILj256ENS1_20__uninitialized_fill7functorINS0_10device_ptrIdEEdEEmLj1EEEvT0_T1_SA_.num_named_barrier, 0
	.set _ZN6thrust23THRUST_200600_302600_NS11hip_rocprim14__parallel_for6kernelILj256ENS1_20__uninitialized_fill7functorINS0_10device_ptrIdEEdEEmLj1EEEvT0_T1_SA_.private_seg_size, 0
	.set _ZN6thrust23THRUST_200600_302600_NS11hip_rocprim14__parallel_for6kernelILj256ENS1_20__uninitialized_fill7functorINS0_10device_ptrIdEEdEEmLj1EEEvT0_T1_SA_.uses_vcc, 1
	.set _ZN6thrust23THRUST_200600_302600_NS11hip_rocprim14__parallel_for6kernelILj256ENS1_20__uninitialized_fill7functorINS0_10device_ptrIdEEdEEmLj1EEEvT0_T1_SA_.uses_flat_scratch, 0
	.set _ZN6thrust23THRUST_200600_302600_NS11hip_rocprim14__parallel_for6kernelILj256ENS1_20__uninitialized_fill7functorINS0_10device_ptrIdEEdEEmLj1EEEvT0_T1_SA_.has_dyn_sized_stack, 0
	.set _ZN6thrust23THRUST_200600_302600_NS11hip_rocprim14__parallel_for6kernelILj256ENS1_20__uninitialized_fill7functorINS0_10device_ptrIdEEdEEmLj1EEEvT0_T1_SA_.has_recursion, 0
	.set _ZN6thrust23THRUST_200600_302600_NS11hip_rocprim14__parallel_for6kernelILj256ENS1_20__uninitialized_fill7functorINS0_10device_ptrIdEEdEEmLj1EEEvT0_T1_SA_.has_indirect_call, 0
	.section	.AMDGPU.csdata,"",@progbits
; Kernel info:
; codeLenInByte = 196
; TotalNumSgprs: 14
; NumVgprs: 4
; ScratchSize: 0
; MemoryBound: 0
; FloatMode: 240
; IeeeMode: 1
; LDSByteSize: 0 bytes/workgroup (compile time only)
; SGPRBlocks: 0
; VGPRBlocks: 0
; NumSGPRsForWavesPerEU: 14
; NumVGPRsForWavesPerEU: 4
; NamedBarCnt: 0
; Occupancy: 16
; WaveLimiterHint : 0
; COMPUTE_PGM_RSRC2:SCRATCH_EN: 0
; COMPUTE_PGM_RSRC2:USER_SGPR: 2
; COMPUTE_PGM_RSRC2:TRAP_HANDLER: 0
; COMPUTE_PGM_RSRC2:TGID_X_EN: 1
; COMPUTE_PGM_RSRC2:TGID_Y_EN: 0
; COMPUTE_PGM_RSRC2:TGID_Z_EN: 0
; COMPUTE_PGM_RSRC2:TIDIG_COMP_CNT: 0
	.section	.text._ZN7rocprim17ROCPRIM_400000_NS6detail17trampoline_kernelINS0_14default_configENS1_21merge_config_selectorINS0_5tupleIJddEEENS0_10empty_typeEEEZNS1_10merge_implIS3_NS0_12zip_iteratorINS5_IJN6thrust23THRUST_200600_302600_NS6detail15normal_iteratorINSC_10device_ptrIKdEEEESI_EEEEESK_NSA_INS5_IJNSE_INSF_IdEEEESM_EEEEEPS7_SP_SP_NSC_11hip_rocprim7__merge17predicate_wrapperIddNSC_4lessIdEEEEEE10hipError_tPvRmT0_T1_T2_T3_T4_T5_mmT6_P12ihipStream_tbEUlT_E_NS1_11comp_targetILNS1_3genE0ELNS1_11target_archE4294967295ELNS1_3gpuE0ELNS1_3repE0EEENS1_30default_config_static_selectorELNS0_4arch9wavefront6targetE0EEEvS10_,"axG",@progbits,_ZN7rocprim17ROCPRIM_400000_NS6detail17trampoline_kernelINS0_14default_configENS1_21merge_config_selectorINS0_5tupleIJddEEENS0_10empty_typeEEEZNS1_10merge_implIS3_NS0_12zip_iteratorINS5_IJN6thrust23THRUST_200600_302600_NS6detail15normal_iteratorINSC_10device_ptrIKdEEEESI_EEEEESK_NSA_INS5_IJNSE_INSF_IdEEEESM_EEEEEPS7_SP_SP_NSC_11hip_rocprim7__merge17predicate_wrapperIddNSC_4lessIdEEEEEE10hipError_tPvRmT0_T1_T2_T3_T4_T5_mmT6_P12ihipStream_tbEUlT_E_NS1_11comp_targetILNS1_3genE0ELNS1_11target_archE4294967295ELNS1_3gpuE0ELNS1_3repE0EEENS1_30default_config_static_selectorELNS0_4arch9wavefront6targetE0EEEvS10_,comdat
	.protected	_ZN7rocprim17ROCPRIM_400000_NS6detail17trampoline_kernelINS0_14default_configENS1_21merge_config_selectorINS0_5tupleIJddEEENS0_10empty_typeEEEZNS1_10merge_implIS3_NS0_12zip_iteratorINS5_IJN6thrust23THRUST_200600_302600_NS6detail15normal_iteratorINSC_10device_ptrIKdEEEESI_EEEEESK_NSA_INS5_IJNSE_INSF_IdEEEESM_EEEEEPS7_SP_SP_NSC_11hip_rocprim7__merge17predicate_wrapperIddNSC_4lessIdEEEEEE10hipError_tPvRmT0_T1_T2_T3_T4_T5_mmT6_P12ihipStream_tbEUlT_E_NS1_11comp_targetILNS1_3genE0ELNS1_11target_archE4294967295ELNS1_3gpuE0ELNS1_3repE0EEENS1_30default_config_static_selectorELNS0_4arch9wavefront6targetE0EEEvS10_ ; -- Begin function _ZN7rocprim17ROCPRIM_400000_NS6detail17trampoline_kernelINS0_14default_configENS1_21merge_config_selectorINS0_5tupleIJddEEENS0_10empty_typeEEEZNS1_10merge_implIS3_NS0_12zip_iteratorINS5_IJN6thrust23THRUST_200600_302600_NS6detail15normal_iteratorINSC_10device_ptrIKdEEEESI_EEEEESK_NSA_INS5_IJNSE_INSF_IdEEEESM_EEEEEPS7_SP_SP_NSC_11hip_rocprim7__merge17predicate_wrapperIddNSC_4lessIdEEEEEE10hipError_tPvRmT0_T1_T2_T3_T4_T5_mmT6_P12ihipStream_tbEUlT_E_NS1_11comp_targetILNS1_3genE0ELNS1_11target_archE4294967295ELNS1_3gpuE0ELNS1_3repE0EEENS1_30default_config_static_selectorELNS0_4arch9wavefront6targetE0EEEvS10_
	.globl	_ZN7rocprim17ROCPRIM_400000_NS6detail17trampoline_kernelINS0_14default_configENS1_21merge_config_selectorINS0_5tupleIJddEEENS0_10empty_typeEEEZNS1_10merge_implIS3_NS0_12zip_iteratorINS5_IJN6thrust23THRUST_200600_302600_NS6detail15normal_iteratorINSC_10device_ptrIKdEEEESI_EEEEESK_NSA_INS5_IJNSE_INSF_IdEEEESM_EEEEEPS7_SP_SP_NSC_11hip_rocprim7__merge17predicate_wrapperIddNSC_4lessIdEEEEEE10hipError_tPvRmT0_T1_T2_T3_T4_T5_mmT6_P12ihipStream_tbEUlT_E_NS1_11comp_targetILNS1_3genE0ELNS1_11target_archE4294967295ELNS1_3gpuE0ELNS1_3repE0EEENS1_30default_config_static_selectorELNS0_4arch9wavefront6targetE0EEEvS10_
	.p2align	8
	.type	_ZN7rocprim17ROCPRIM_400000_NS6detail17trampoline_kernelINS0_14default_configENS1_21merge_config_selectorINS0_5tupleIJddEEENS0_10empty_typeEEEZNS1_10merge_implIS3_NS0_12zip_iteratorINS5_IJN6thrust23THRUST_200600_302600_NS6detail15normal_iteratorINSC_10device_ptrIKdEEEESI_EEEEESK_NSA_INS5_IJNSE_INSF_IdEEEESM_EEEEEPS7_SP_SP_NSC_11hip_rocprim7__merge17predicate_wrapperIddNSC_4lessIdEEEEEE10hipError_tPvRmT0_T1_T2_T3_T4_T5_mmT6_P12ihipStream_tbEUlT_E_NS1_11comp_targetILNS1_3genE0ELNS1_11target_archE4294967295ELNS1_3gpuE0ELNS1_3repE0EEENS1_30default_config_static_selectorELNS0_4arch9wavefront6targetE0EEEvS10_,@function
_ZN7rocprim17ROCPRIM_400000_NS6detail17trampoline_kernelINS0_14default_configENS1_21merge_config_selectorINS0_5tupleIJddEEENS0_10empty_typeEEEZNS1_10merge_implIS3_NS0_12zip_iteratorINS5_IJN6thrust23THRUST_200600_302600_NS6detail15normal_iteratorINSC_10device_ptrIKdEEEESI_EEEEESK_NSA_INS5_IJNSE_INSF_IdEEEESM_EEEEEPS7_SP_SP_NSC_11hip_rocprim7__merge17predicate_wrapperIddNSC_4lessIdEEEEEE10hipError_tPvRmT0_T1_T2_T3_T4_T5_mmT6_P12ihipStream_tbEUlT_E_NS1_11comp_targetILNS1_3genE0ELNS1_11target_archE4294967295ELNS1_3gpuE0ELNS1_3repE0EEENS1_30default_config_static_selectorELNS0_4arch9wavefront6targetE0EEEvS10_: ; @_ZN7rocprim17ROCPRIM_400000_NS6detail17trampoline_kernelINS0_14default_configENS1_21merge_config_selectorINS0_5tupleIJddEEENS0_10empty_typeEEEZNS1_10merge_implIS3_NS0_12zip_iteratorINS5_IJN6thrust23THRUST_200600_302600_NS6detail15normal_iteratorINSC_10device_ptrIKdEEEESI_EEEEESK_NSA_INS5_IJNSE_INSF_IdEEEESM_EEEEEPS7_SP_SP_NSC_11hip_rocprim7__merge17predicate_wrapperIddNSC_4lessIdEEEEEE10hipError_tPvRmT0_T1_T2_T3_T4_T5_mmT6_P12ihipStream_tbEUlT_E_NS1_11comp_targetILNS1_3genE0ELNS1_11target_archE4294967295ELNS1_3gpuE0ELNS1_3repE0EEENS1_30default_config_static_selectorELNS0_4arch9wavefront6targetE0EEEvS10_
; %bb.0:
	s_clause 0x2
	s_load_b32 s4, s[0:1], 0x38
	s_load_b32 s2, s[0:1], 0x4c
	s_load_b128 s[8:11], s[0:1], 0x28
	s_getreg_b32 s7, hwreg(HW_REG_IB_STS2, 6, 4)
	s_wait_kmcnt 0x0
	s_cvt_f32_u32 s3, s4
	s_and_b32 s6, s2, 0xffff
	s_and_b32 s2, ttmp6, 15
	s_delay_alu instid0(SALU_CYCLE_1) | instskip(SKIP_1) | instid1(SALU_CYCLE_1)
	v_rcp_iflag_f32_e32 v1, s3
	s_bfe_u32 s3, ttmp6, 0x4000c
	s_add_co_i32 s3, s3, 1
	s_delay_alu instid0(SALU_CYCLE_1) | instskip(NEXT) | instid1(SALU_CYCLE_1)
	s_mul_i32 s3, ttmp9, s3
	s_add_co_i32 s2, s2, s3
	v_nop
	s_delay_alu instid0(TRANS32_DEP_1)
	v_readfirstlane_b32 s5, v1
	s_cmp_eq_u32 s7, 0
	s_cselect_b32 s7, ttmp9, s2
	s_sub_co_i32 s12, 0, s4
	s_mul_f32 s5, s5, 0x4f7ffffe
	s_add_nc_u64 s[2:3], s[10:11], s[8:9]
	v_mad_u32 v6, s7, s6, v0
	s_add_co_i32 s13, s4, s2
	s_cvt_u32_f32 s5, s5
	s_add_co_i32 s13, s13, -1
	s_delay_alu instid0(SALU_CYCLE_2) | instskip(NEXT) | instid1(SALU_CYCLE_1)
	s_mul_i32 s12, s12, s5
	s_mul_hi_u32 s12, s5, s12
	s_delay_alu instid0(SALU_CYCLE_1) | instskip(NEXT) | instid1(SALU_CYCLE_1)
	s_add_co_i32 s5, s5, s12
	s_mul_hi_u32 s5, s13, s5
	s_delay_alu instid0(SALU_CYCLE_1) | instskip(SKIP_2) | instid1(SALU_CYCLE_1)
	s_mul_i32 s12, s5, s4
	s_add_co_i32 s7, s5, 1
	s_sub_co_i32 s6, s13, s12
	s_sub_co_i32 s12, s6, s4
	s_cmp_ge_u32 s6, s4
	s_cselect_b32 s5, s7, s5
	s_cselect_b32 s6, s12, s6
	s_add_co_i32 s7, s5, 1
	s_cmp_ge_u32 s6, s4
	s_cselect_b32 s5, s7, s5
	s_delay_alu instid0(SALU_CYCLE_1)
	v_cmp_ge_u32_e32 vcc_lo, s5, v6
	s_and_saveexec_b32 s5, vcc_lo
	s_cbranch_execz .LBB1_6
; %bb.1:
	v_mul_lo_u32 v0, v6, s4
	v_mov_b32_e32 v1, 0
	s_load_b128 s[4:7], s[0:1], 0x0
	s_delay_alu instid0(VALU_DEP_1) | instskip(SKIP_1) | instid1(VALU_DEP_1)
	v_min_u64 v[4:5], v[0:1], s[2:3]
	s_mov_b32 s2, exec_lo
	v_max_u64 v[0:1], v[4:5], s[10:11]
	v_min_u64 v[2:3], v[4:5], s[8:9]
	s_delay_alu instid0(VALU_DEP_2) | instskip(NEXT) | instid1(VALU_DEP_1)
	v_sub_nc_u64_e64 v[0:1], v[0:1], s[10:11]
	v_cmpx_lt_u64_e64 v[0:1], v[2:3]
	s_cbranch_execz .LBB1_5
; %bb.2:
	s_wait_xcnt 0x0
	s_load_b64 s[0:1], s[0:1], 0x18
	s_wait_kmcnt 0x0
	v_lshl_add_u64 v[4:5], v[4:5], 3, s[0:1]
	s_mov_b32 s0, 0
.LBB1_3:                                ; =>This Inner Loop Header: Depth=1
	v_add_nc_u64_e32 v[8:9], v[2:3], v[0:1]
	s_delay_alu instid0(VALU_DEP_1) | instskip(NEXT) | instid1(VALU_DEP_1)
	v_lshrrev_b64 v[8:9], 1, v[8:9]
	v_lshlrev_b64_e32 v[10:11], 3, v[8:9]
	s_delay_alu instid0(VALU_DEP_1) | instskip(NEXT) | instid1(VALU_DEP_2)
	v_xor_b32_e32 v13, -1, v11
	v_xor_b32_e32 v12, -8, v10
	v_add_nc_u64_e32 v[10:11], s[6:7], v[10:11]
	s_delay_alu instid0(VALU_DEP_2)
	v_add_nc_u64_e32 v[12:13], v[4:5], v[12:13]
	global_load_b64 v[14:15], v[10:11], off
	global_load_b64 v[16:17], v[12:13], off
	s_wait_xcnt 0x1
	v_add_nc_u64_e32 v[10:11], 1, v[8:9]
	s_wait_loadcnt 0x0
	v_cmp_lt_f64_e32 vcc_lo, v[16:17], v[14:15]
	v_dual_cndmask_b32 v3, v3, v9 :: v_dual_cndmask_b32 v2, v2, v8
	s_delay_alu instid0(VALU_DEP_3) | instskip(NEXT) | instid1(VALU_DEP_1)
	v_dual_cndmask_b32 v1, v11, v1 :: v_dual_cndmask_b32 v0, v10, v0
	v_cmp_ge_u64_e32 vcc_lo, v[0:1], v[2:3]
	s_or_b32 s0, vcc_lo, s0
	s_delay_alu instid0(SALU_CYCLE_1)
	s_and_not1_b32 exec_lo, exec_lo, s0
	s_cbranch_execnz .LBB1_3
; %bb.4:
	s_or_b32 exec_lo, exec_lo, s0
.LBB1_5:
	s_delay_alu instid0(SALU_CYCLE_1)
	s_or_b32 exec_lo, exec_lo, s2
	s_wait_kmcnt 0x0
	global_store_b32 v6, v0, s[4:5] scale_offset
.LBB1_6:
	s_endpgm
	.section	.rodata,"a",@progbits
	.p2align	6, 0x0
	.amdhsa_kernel _ZN7rocprim17ROCPRIM_400000_NS6detail17trampoline_kernelINS0_14default_configENS1_21merge_config_selectorINS0_5tupleIJddEEENS0_10empty_typeEEEZNS1_10merge_implIS3_NS0_12zip_iteratorINS5_IJN6thrust23THRUST_200600_302600_NS6detail15normal_iteratorINSC_10device_ptrIKdEEEESI_EEEEESK_NSA_INS5_IJNSE_INSF_IdEEEESM_EEEEEPS7_SP_SP_NSC_11hip_rocprim7__merge17predicate_wrapperIddNSC_4lessIdEEEEEE10hipError_tPvRmT0_T1_T2_T3_T4_T5_mmT6_P12ihipStream_tbEUlT_E_NS1_11comp_targetILNS1_3genE0ELNS1_11target_archE4294967295ELNS1_3gpuE0ELNS1_3repE0EEENS1_30default_config_static_selectorELNS0_4arch9wavefront6targetE0EEEvS10_
		.amdhsa_group_segment_fixed_size 0
		.amdhsa_private_segment_fixed_size 0
		.amdhsa_kernarg_size 320
		.amdhsa_user_sgpr_count 2
		.amdhsa_user_sgpr_dispatch_ptr 0
		.amdhsa_user_sgpr_queue_ptr 0
		.amdhsa_user_sgpr_kernarg_segment_ptr 1
		.amdhsa_user_sgpr_dispatch_id 0
		.amdhsa_user_sgpr_kernarg_preload_length 0
		.amdhsa_user_sgpr_kernarg_preload_offset 0
		.amdhsa_user_sgpr_private_segment_size 0
		.amdhsa_wavefront_size32 1
		.amdhsa_uses_dynamic_stack 0
		.amdhsa_enable_private_segment 0
		.amdhsa_system_sgpr_workgroup_id_x 1
		.amdhsa_system_sgpr_workgroup_id_y 0
		.amdhsa_system_sgpr_workgroup_id_z 0
		.amdhsa_system_sgpr_workgroup_info 0
		.amdhsa_system_vgpr_workitem_id 0
		.amdhsa_next_free_vgpr 18
		.amdhsa_next_free_sgpr 14
		.amdhsa_named_barrier_count 0
		.amdhsa_reserve_vcc 1
		.amdhsa_float_round_mode_32 0
		.amdhsa_float_round_mode_16_64 0
		.amdhsa_float_denorm_mode_32 3
		.amdhsa_float_denorm_mode_16_64 3
		.amdhsa_fp16_overflow 0
		.amdhsa_memory_ordered 1
		.amdhsa_forward_progress 1
		.amdhsa_inst_pref_size 4
		.amdhsa_round_robin_scheduling 0
		.amdhsa_exception_fp_ieee_invalid_op 0
		.amdhsa_exception_fp_denorm_src 0
		.amdhsa_exception_fp_ieee_div_zero 0
		.amdhsa_exception_fp_ieee_overflow 0
		.amdhsa_exception_fp_ieee_underflow 0
		.amdhsa_exception_fp_ieee_inexact 0
		.amdhsa_exception_int_div_zero 0
	.end_amdhsa_kernel
	.section	.text._ZN7rocprim17ROCPRIM_400000_NS6detail17trampoline_kernelINS0_14default_configENS1_21merge_config_selectorINS0_5tupleIJddEEENS0_10empty_typeEEEZNS1_10merge_implIS3_NS0_12zip_iteratorINS5_IJN6thrust23THRUST_200600_302600_NS6detail15normal_iteratorINSC_10device_ptrIKdEEEESI_EEEEESK_NSA_INS5_IJNSE_INSF_IdEEEESM_EEEEEPS7_SP_SP_NSC_11hip_rocprim7__merge17predicate_wrapperIddNSC_4lessIdEEEEEE10hipError_tPvRmT0_T1_T2_T3_T4_T5_mmT6_P12ihipStream_tbEUlT_E_NS1_11comp_targetILNS1_3genE0ELNS1_11target_archE4294967295ELNS1_3gpuE0ELNS1_3repE0EEENS1_30default_config_static_selectorELNS0_4arch9wavefront6targetE0EEEvS10_,"axG",@progbits,_ZN7rocprim17ROCPRIM_400000_NS6detail17trampoline_kernelINS0_14default_configENS1_21merge_config_selectorINS0_5tupleIJddEEENS0_10empty_typeEEEZNS1_10merge_implIS3_NS0_12zip_iteratorINS5_IJN6thrust23THRUST_200600_302600_NS6detail15normal_iteratorINSC_10device_ptrIKdEEEESI_EEEEESK_NSA_INS5_IJNSE_INSF_IdEEEESM_EEEEEPS7_SP_SP_NSC_11hip_rocprim7__merge17predicate_wrapperIddNSC_4lessIdEEEEEE10hipError_tPvRmT0_T1_T2_T3_T4_T5_mmT6_P12ihipStream_tbEUlT_E_NS1_11comp_targetILNS1_3genE0ELNS1_11target_archE4294967295ELNS1_3gpuE0ELNS1_3repE0EEENS1_30default_config_static_selectorELNS0_4arch9wavefront6targetE0EEEvS10_,comdat
.Lfunc_end1:
	.size	_ZN7rocprim17ROCPRIM_400000_NS6detail17trampoline_kernelINS0_14default_configENS1_21merge_config_selectorINS0_5tupleIJddEEENS0_10empty_typeEEEZNS1_10merge_implIS3_NS0_12zip_iteratorINS5_IJN6thrust23THRUST_200600_302600_NS6detail15normal_iteratorINSC_10device_ptrIKdEEEESI_EEEEESK_NSA_INS5_IJNSE_INSF_IdEEEESM_EEEEEPS7_SP_SP_NSC_11hip_rocprim7__merge17predicate_wrapperIddNSC_4lessIdEEEEEE10hipError_tPvRmT0_T1_T2_T3_T4_T5_mmT6_P12ihipStream_tbEUlT_E_NS1_11comp_targetILNS1_3genE0ELNS1_11target_archE4294967295ELNS1_3gpuE0ELNS1_3repE0EEENS1_30default_config_static_selectorELNS0_4arch9wavefront6targetE0EEEvS10_, .Lfunc_end1-_ZN7rocprim17ROCPRIM_400000_NS6detail17trampoline_kernelINS0_14default_configENS1_21merge_config_selectorINS0_5tupleIJddEEENS0_10empty_typeEEEZNS1_10merge_implIS3_NS0_12zip_iteratorINS5_IJN6thrust23THRUST_200600_302600_NS6detail15normal_iteratorINSC_10device_ptrIKdEEEESI_EEEEESK_NSA_INS5_IJNSE_INSF_IdEEEESM_EEEEEPS7_SP_SP_NSC_11hip_rocprim7__merge17predicate_wrapperIddNSC_4lessIdEEEEEE10hipError_tPvRmT0_T1_T2_T3_T4_T5_mmT6_P12ihipStream_tbEUlT_E_NS1_11comp_targetILNS1_3genE0ELNS1_11target_archE4294967295ELNS1_3gpuE0ELNS1_3repE0EEENS1_30default_config_static_selectorELNS0_4arch9wavefront6targetE0EEEvS10_
                                        ; -- End function
	.set _ZN7rocprim17ROCPRIM_400000_NS6detail17trampoline_kernelINS0_14default_configENS1_21merge_config_selectorINS0_5tupleIJddEEENS0_10empty_typeEEEZNS1_10merge_implIS3_NS0_12zip_iteratorINS5_IJN6thrust23THRUST_200600_302600_NS6detail15normal_iteratorINSC_10device_ptrIKdEEEESI_EEEEESK_NSA_INS5_IJNSE_INSF_IdEEEESM_EEEEEPS7_SP_SP_NSC_11hip_rocprim7__merge17predicate_wrapperIddNSC_4lessIdEEEEEE10hipError_tPvRmT0_T1_T2_T3_T4_T5_mmT6_P12ihipStream_tbEUlT_E_NS1_11comp_targetILNS1_3genE0ELNS1_11target_archE4294967295ELNS1_3gpuE0ELNS1_3repE0EEENS1_30default_config_static_selectorELNS0_4arch9wavefront6targetE0EEEvS10_.num_vgpr, 18
	.set _ZN7rocprim17ROCPRIM_400000_NS6detail17trampoline_kernelINS0_14default_configENS1_21merge_config_selectorINS0_5tupleIJddEEENS0_10empty_typeEEEZNS1_10merge_implIS3_NS0_12zip_iteratorINS5_IJN6thrust23THRUST_200600_302600_NS6detail15normal_iteratorINSC_10device_ptrIKdEEEESI_EEEEESK_NSA_INS5_IJNSE_INSF_IdEEEESM_EEEEEPS7_SP_SP_NSC_11hip_rocprim7__merge17predicate_wrapperIddNSC_4lessIdEEEEEE10hipError_tPvRmT0_T1_T2_T3_T4_T5_mmT6_P12ihipStream_tbEUlT_E_NS1_11comp_targetILNS1_3genE0ELNS1_11target_archE4294967295ELNS1_3gpuE0ELNS1_3repE0EEENS1_30default_config_static_selectorELNS0_4arch9wavefront6targetE0EEEvS10_.num_agpr, 0
	.set _ZN7rocprim17ROCPRIM_400000_NS6detail17trampoline_kernelINS0_14default_configENS1_21merge_config_selectorINS0_5tupleIJddEEENS0_10empty_typeEEEZNS1_10merge_implIS3_NS0_12zip_iteratorINS5_IJN6thrust23THRUST_200600_302600_NS6detail15normal_iteratorINSC_10device_ptrIKdEEEESI_EEEEESK_NSA_INS5_IJNSE_INSF_IdEEEESM_EEEEEPS7_SP_SP_NSC_11hip_rocprim7__merge17predicate_wrapperIddNSC_4lessIdEEEEEE10hipError_tPvRmT0_T1_T2_T3_T4_T5_mmT6_P12ihipStream_tbEUlT_E_NS1_11comp_targetILNS1_3genE0ELNS1_11target_archE4294967295ELNS1_3gpuE0ELNS1_3repE0EEENS1_30default_config_static_selectorELNS0_4arch9wavefront6targetE0EEEvS10_.numbered_sgpr, 14
	.set _ZN7rocprim17ROCPRIM_400000_NS6detail17trampoline_kernelINS0_14default_configENS1_21merge_config_selectorINS0_5tupleIJddEEENS0_10empty_typeEEEZNS1_10merge_implIS3_NS0_12zip_iteratorINS5_IJN6thrust23THRUST_200600_302600_NS6detail15normal_iteratorINSC_10device_ptrIKdEEEESI_EEEEESK_NSA_INS5_IJNSE_INSF_IdEEEESM_EEEEEPS7_SP_SP_NSC_11hip_rocprim7__merge17predicate_wrapperIddNSC_4lessIdEEEEEE10hipError_tPvRmT0_T1_T2_T3_T4_T5_mmT6_P12ihipStream_tbEUlT_E_NS1_11comp_targetILNS1_3genE0ELNS1_11target_archE4294967295ELNS1_3gpuE0ELNS1_3repE0EEENS1_30default_config_static_selectorELNS0_4arch9wavefront6targetE0EEEvS10_.num_named_barrier, 0
	.set _ZN7rocprim17ROCPRIM_400000_NS6detail17trampoline_kernelINS0_14default_configENS1_21merge_config_selectorINS0_5tupleIJddEEENS0_10empty_typeEEEZNS1_10merge_implIS3_NS0_12zip_iteratorINS5_IJN6thrust23THRUST_200600_302600_NS6detail15normal_iteratorINSC_10device_ptrIKdEEEESI_EEEEESK_NSA_INS5_IJNSE_INSF_IdEEEESM_EEEEEPS7_SP_SP_NSC_11hip_rocprim7__merge17predicate_wrapperIddNSC_4lessIdEEEEEE10hipError_tPvRmT0_T1_T2_T3_T4_T5_mmT6_P12ihipStream_tbEUlT_E_NS1_11comp_targetILNS1_3genE0ELNS1_11target_archE4294967295ELNS1_3gpuE0ELNS1_3repE0EEENS1_30default_config_static_selectorELNS0_4arch9wavefront6targetE0EEEvS10_.private_seg_size, 0
	.set _ZN7rocprim17ROCPRIM_400000_NS6detail17trampoline_kernelINS0_14default_configENS1_21merge_config_selectorINS0_5tupleIJddEEENS0_10empty_typeEEEZNS1_10merge_implIS3_NS0_12zip_iteratorINS5_IJN6thrust23THRUST_200600_302600_NS6detail15normal_iteratorINSC_10device_ptrIKdEEEESI_EEEEESK_NSA_INS5_IJNSE_INSF_IdEEEESM_EEEEEPS7_SP_SP_NSC_11hip_rocprim7__merge17predicate_wrapperIddNSC_4lessIdEEEEEE10hipError_tPvRmT0_T1_T2_T3_T4_T5_mmT6_P12ihipStream_tbEUlT_E_NS1_11comp_targetILNS1_3genE0ELNS1_11target_archE4294967295ELNS1_3gpuE0ELNS1_3repE0EEENS1_30default_config_static_selectorELNS0_4arch9wavefront6targetE0EEEvS10_.uses_vcc, 1
	.set _ZN7rocprim17ROCPRIM_400000_NS6detail17trampoline_kernelINS0_14default_configENS1_21merge_config_selectorINS0_5tupleIJddEEENS0_10empty_typeEEEZNS1_10merge_implIS3_NS0_12zip_iteratorINS5_IJN6thrust23THRUST_200600_302600_NS6detail15normal_iteratorINSC_10device_ptrIKdEEEESI_EEEEESK_NSA_INS5_IJNSE_INSF_IdEEEESM_EEEEEPS7_SP_SP_NSC_11hip_rocprim7__merge17predicate_wrapperIddNSC_4lessIdEEEEEE10hipError_tPvRmT0_T1_T2_T3_T4_T5_mmT6_P12ihipStream_tbEUlT_E_NS1_11comp_targetILNS1_3genE0ELNS1_11target_archE4294967295ELNS1_3gpuE0ELNS1_3repE0EEENS1_30default_config_static_selectorELNS0_4arch9wavefront6targetE0EEEvS10_.uses_flat_scratch, 0
	.set _ZN7rocprim17ROCPRIM_400000_NS6detail17trampoline_kernelINS0_14default_configENS1_21merge_config_selectorINS0_5tupleIJddEEENS0_10empty_typeEEEZNS1_10merge_implIS3_NS0_12zip_iteratorINS5_IJN6thrust23THRUST_200600_302600_NS6detail15normal_iteratorINSC_10device_ptrIKdEEEESI_EEEEESK_NSA_INS5_IJNSE_INSF_IdEEEESM_EEEEEPS7_SP_SP_NSC_11hip_rocprim7__merge17predicate_wrapperIddNSC_4lessIdEEEEEE10hipError_tPvRmT0_T1_T2_T3_T4_T5_mmT6_P12ihipStream_tbEUlT_E_NS1_11comp_targetILNS1_3genE0ELNS1_11target_archE4294967295ELNS1_3gpuE0ELNS1_3repE0EEENS1_30default_config_static_selectorELNS0_4arch9wavefront6targetE0EEEvS10_.has_dyn_sized_stack, 0
	.set _ZN7rocprim17ROCPRIM_400000_NS6detail17trampoline_kernelINS0_14default_configENS1_21merge_config_selectorINS0_5tupleIJddEEENS0_10empty_typeEEEZNS1_10merge_implIS3_NS0_12zip_iteratorINS5_IJN6thrust23THRUST_200600_302600_NS6detail15normal_iteratorINSC_10device_ptrIKdEEEESI_EEEEESK_NSA_INS5_IJNSE_INSF_IdEEEESM_EEEEEPS7_SP_SP_NSC_11hip_rocprim7__merge17predicate_wrapperIddNSC_4lessIdEEEEEE10hipError_tPvRmT0_T1_T2_T3_T4_T5_mmT6_P12ihipStream_tbEUlT_E_NS1_11comp_targetILNS1_3genE0ELNS1_11target_archE4294967295ELNS1_3gpuE0ELNS1_3repE0EEENS1_30default_config_static_selectorELNS0_4arch9wavefront6targetE0EEEvS10_.has_recursion, 0
	.set _ZN7rocprim17ROCPRIM_400000_NS6detail17trampoline_kernelINS0_14default_configENS1_21merge_config_selectorINS0_5tupleIJddEEENS0_10empty_typeEEEZNS1_10merge_implIS3_NS0_12zip_iteratorINS5_IJN6thrust23THRUST_200600_302600_NS6detail15normal_iteratorINSC_10device_ptrIKdEEEESI_EEEEESK_NSA_INS5_IJNSE_INSF_IdEEEESM_EEEEEPS7_SP_SP_NSC_11hip_rocprim7__merge17predicate_wrapperIddNSC_4lessIdEEEEEE10hipError_tPvRmT0_T1_T2_T3_T4_T5_mmT6_P12ihipStream_tbEUlT_E_NS1_11comp_targetILNS1_3genE0ELNS1_11target_archE4294967295ELNS1_3gpuE0ELNS1_3repE0EEENS1_30default_config_static_selectorELNS0_4arch9wavefront6targetE0EEEvS10_.has_indirect_call, 0
	.section	.AMDGPU.csdata,"",@progbits
; Kernel info:
; codeLenInByte = 484
; TotalNumSgprs: 16
; NumVgprs: 18
; ScratchSize: 0
; MemoryBound: 0
; FloatMode: 240
; IeeeMode: 1
; LDSByteSize: 0 bytes/workgroup (compile time only)
; SGPRBlocks: 0
; VGPRBlocks: 1
; NumSGPRsForWavesPerEU: 16
; NumVGPRsForWavesPerEU: 18
; NamedBarCnt: 0
; Occupancy: 16
; WaveLimiterHint : 0
; COMPUTE_PGM_RSRC2:SCRATCH_EN: 0
; COMPUTE_PGM_RSRC2:USER_SGPR: 2
; COMPUTE_PGM_RSRC2:TRAP_HANDLER: 0
; COMPUTE_PGM_RSRC2:TGID_X_EN: 1
; COMPUTE_PGM_RSRC2:TGID_Y_EN: 0
; COMPUTE_PGM_RSRC2:TGID_Z_EN: 0
; COMPUTE_PGM_RSRC2:TIDIG_COMP_CNT: 0
	.section	.text._ZN7rocprim17ROCPRIM_400000_NS6detail17trampoline_kernelINS0_14default_configENS1_21merge_config_selectorINS0_5tupleIJddEEENS0_10empty_typeEEEZNS1_10merge_implIS3_NS0_12zip_iteratorINS5_IJN6thrust23THRUST_200600_302600_NS6detail15normal_iteratorINSC_10device_ptrIKdEEEESI_EEEEESK_NSA_INS5_IJNSE_INSF_IdEEEESM_EEEEEPS7_SP_SP_NSC_11hip_rocprim7__merge17predicate_wrapperIddNSC_4lessIdEEEEEE10hipError_tPvRmT0_T1_T2_T3_T4_T5_mmT6_P12ihipStream_tbEUlT_E_NS1_11comp_targetILNS1_3genE5ELNS1_11target_archE942ELNS1_3gpuE9ELNS1_3repE0EEENS1_30default_config_static_selectorELNS0_4arch9wavefront6targetE0EEEvS10_,"axG",@progbits,_ZN7rocprim17ROCPRIM_400000_NS6detail17trampoline_kernelINS0_14default_configENS1_21merge_config_selectorINS0_5tupleIJddEEENS0_10empty_typeEEEZNS1_10merge_implIS3_NS0_12zip_iteratorINS5_IJN6thrust23THRUST_200600_302600_NS6detail15normal_iteratorINSC_10device_ptrIKdEEEESI_EEEEESK_NSA_INS5_IJNSE_INSF_IdEEEESM_EEEEEPS7_SP_SP_NSC_11hip_rocprim7__merge17predicate_wrapperIddNSC_4lessIdEEEEEE10hipError_tPvRmT0_T1_T2_T3_T4_T5_mmT6_P12ihipStream_tbEUlT_E_NS1_11comp_targetILNS1_3genE5ELNS1_11target_archE942ELNS1_3gpuE9ELNS1_3repE0EEENS1_30default_config_static_selectorELNS0_4arch9wavefront6targetE0EEEvS10_,comdat
	.protected	_ZN7rocprim17ROCPRIM_400000_NS6detail17trampoline_kernelINS0_14default_configENS1_21merge_config_selectorINS0_5tupleIJddEEENS0_10empty_typeEEEZNS1_10merge_implIS3_NS0_12zip_iteratorINS5_IJN6thrust23THRUST_200600_302600_NS6detail15normal_iteratorINSC_10device_ptrIKdEEEESI_EEEEESK_NSA_INS5_IJNSE_INSF_IdEEEESM_EEEEEPS7_SP_SP_NSC_11hip_rocprim7__merge17predicate_wrapperIddNSC_4lessIdEEEEEE10hipError_tPvRmT0_T1_T2_T3_T4_T5_mmT6_P12ihipStream_tbEUlT_E_NS1_11comp_targetILNS1_3genE5ELNS1_11target_archE942ELNS1_3gpuE9ELNS1_3repE0EEENS1_30default_config_static_selectorELNS0_4arch9wavefront6targetE0EEEvS10_ ; -- Begin function _ZN7rocprim17ROCPRIM_400000_NS6detail17trampoline_kernelINS0_14default_configENS1_21merge_config_selectorINS0_5tupleIJddEEENS0_10empty_typeEEEZNS1_10merge_implIS3_NS0_12zip_iteratorINS5_IJN6thrust23THRUST_200600_302600_NS6detail15normal_iteratorINSC_10device_ptrIKdEEEESI_EEEEESK_NSA_INS5_IJNSE_INSF_IdEEEESM_EEEEEPS7_SP_SP_NSC_11hip_rocprim7__merge17predicate_wrapperIddNSC_4lessIdEEEEEE10hipError_tPvRmT0_T1_T2_T3_T4_T5_mmT6_P12ihipStream_tbEUlT_E_NS1_11comp_targetILNS1_3genE5ELNS1_11target_archE942ELNS1_3gpuE9ELNS1_3repE0EEENS1_30default_config_static_selectorELNS0_4arch9wavefront6targetE0EEEvS10_
	.globl	_ZN7rocprim17ROCPRIM_400000_NS6detail17trampoline_kernelINS0_14default_configENS1_21merge_config_selectorINS0_5tupleIJddEEENS0_10empty_typeEEEZNS1_10merge_implIS3_NS0_12zip_iteratorINS5_IJN6thrust23THRUST_200600_302600_NS6detail15normal_iteratorINSC_10device_ptrIKdEEEESI_EEEEESK_NSA_INS5_IJNSE_INSF_IdEEEESM_EEEEEPS7_SP_SP_NSC_11hip_rocprim7__merge17predicate_wrapperIddNSC_4lessIdEEEEEE10hipError_tPvRmT0_T1_T2_T3_T4_T5_mmT6_P12ihipStream_tbEUlT_E_NS1_11comp_targetILNS1_3genE5ELNS1_11target_archE942ELNS1_3gpuE9ELNS1_3repE0EEENS1_30default_config_static_selectorELNS0_4arch9wavefront6targetE0EEEvS10_
	.p2align	8
	.type	_ZN7rocprim17ROCPRIM_400000_NS6detail17trampoline_kernelINS0_14default_configENS1_21merge_config_selectorINS0_5tupleIJddEEENS0_10empty_typeEEEZNS1_10merge_implIS3_NS0_12zip_iteratorINS5_IJN6thrust23THRUST_200600_302600_NS6detail15normal_iteratorINSC_10device_ptrIKdEEEESI_EEEEESK_NSA_INS5_IJNSE_INSF_IdEEEESM_EEEEEPS7_SP_SP_NSC_11hip_rocprim7__merge17predicate_wrapperIddNSC_4lessIdEEEEEE10hipError_tPvRmT0_T1_T2_T3_T4_T5_mmT6_P12ihipStream_tbEUlT_E_NS1_11comp_targetILNS1_3genE5ELNS1_11target_archE942ELNS1_3gpuE9ELNS1_3repE0EEENS1_30default_config_static_selectorELNS0_4arch9wavefront6targetE0EEEvS10_,@function
_ZN7rocprim17ROCPRIM_400000_NS6detail17trampoline_kernelINS0_14default_configENS1_21merge_config_selectorINS0_5tupleIJddEEENS0_10empty_typeEEEZNS1_10merge_implIS3_NS0_12zip_iteratorINS5_IJN6thrust23THRUST_200600_302600_NS6detail15normal_iteratorINSC_10device_ptrIKdEEEESI_EEEEESK_NSA_INS5_IJNSE_INSF_IdEEEESM_EEEEEPS7_SP_SP_NSC_11hip_rocprim7__merge17predicate_wrapperIddNSC_4lessIdEEEEEE10hipError_tPvRmT0_T1_T2_T3_T4_T5_mmT6_P12ihipStream_tbEUlT_E_NS1_11comp_targetILNS1_3genE5ELNS1_11target_archE942ELNS1_3gpuE9ELNS1_3repE0EEENS1_30default_config_static_selectorELNS0_4arch9wavefront6targetE0EEEvS10_: ; @_ZN7rocprim17ROCPRIM_400000_NS6detail17trampoline_kernelINS0_14default_configENS1_21merge_config_selectorINS0_5tupleIJddEEENS0_10empty_typeEEEZNS1_10merge_implIS3_NS0_12zip_iteratorINS5_IJN6thrust23THRUST_200600_302600_NS6detail15normal_iteratorINSC_10device_ptrIKdEEEESI_EEEEESK_NSA_INS5_IJNSE_INSF_IdEEEESM_EEEEEPS7_SP_SP_NSC_11hip_rocprim7__merge17predicate_wrapperIddNSC_4lessIdEEEEEE10hipError_tPvRmT0_T1_T2_T3_T4_T5_mmT6_P12ihipStream_tbEUlT_E_NS1_11comp_targetILNS1_3genE5ELNS1_11target_archE942ELNS1_3gpuE9ELNS1_3repE0EEENS1_30default_config_static_selectorELNS0_4arch9wavefront6targetE0EEEvS10_
; %bb.0:
	.section	.rodata,"a",@progbits
	.p2align	6, 0x0
	.amdhsa_kernel _ZN7rocprim17ROCPRIM_400000_NS6detail17trampoline_kernelINS0_14default_configENS1_21merge_config_selectorINS0_5tupleIJddEEENS0_10empty_typeEEEZNS1_10merge_implIS3_NS0_12zip_iteratorINS5_IJN6thrust23THRUST_200600_302600_NS6detail15normal_iteratorINSC_10device_ptrIKdEEEESI_EEEEESK_NSA_INS5_IJNSE_INSF_IdEEEESM_EEEEEPS7_SP_SP_NSC_11hip_rocprim7__merge17predicate_wrapperIddNSC_4lessIdEEEEEE10hipError_tPvRmT0_T1_T2_T3_T4_T5_mmT6_P12ihipStream_tbEUlT_E_NS1_11comp_targetILNS1_3genE5ELNS1_11target_archE942ELNS1_3gpuE9ELNS1_3repE0EEENS1_30default_config_static_selectorELNS0_4arch9wavefront6targetE0EEEvS10_
		.amdhsa_group_segment_fixed_size 0
		.amdhsa_private_segment_fixed_size 0
		.amdhsa_kernarg_size 64
		.amdhsa_user_sgpr_count 2
		.amdhsa_user_sgpr_dispatch_ptr 0
		.amdhsa_user_sgpr_queue_ptr 0
		.amdhsa_user_sgpr_kernarg_segment_ptr 1
		.amdhsa_user_sgpr_dispatch_id 0
		.amdhsa_user_sgpr_kernarg_preload_length 0
		.amdhsa_user_sgpr_kernarg_preload_offset 0
		.amdhsa_user_sgpr_private_segment_size 0
		.amdhsa_wavefront_size32 1
		.amdhsa_uses_dynamic_stack 0
		.amdhsa_enable_private_segment 0
		.amdhsa_system_sgpr_workgroup_id_x 1
		.amdhsa_system_sgpr_workgroup_id_y 0
		.amdhsa_system_sgpr_workgroup_id_z 0
		.amdhsa_system_sgpr_workgroup_info 0
		.amdhsa_system_vgpr_workitem_id 0
		.amdhsa_next_free_vgpr 1
		.amdhsa_next_free_sgpr 1
		.amdhsa_named_barrier_count 0
		.amdhsa_reserve_vcc 0
		.amdhsa_float_round_mode_32 0
		.amdhsa_float_round_mode_16_64 0
		.amdhsa_float_denorm_mode_32 3
		.amdhsa_float_denorm_mode_16_64 3
		.amdhsa_fp16_overflow 0
		.amdhsa_memory_ordered 1
		.amdhsa_forward_progress 1
		.amdhsa_inst_pref_size 0
		.amdhsa_round_robin_scheduling 0
		.amdhsa_exception_fp_ieee_invalid_op 0
		.amdhsa_exception_fp_denorm_src 0
		.amdhsa_exception_fp_ieee_div_zero 0
		.amdhsa_exception_fp_ieee_overflow 0
		.amdhsa_exception_fp_ieee_underflow 0
		.amdhsa_exception_fp_ieee_inexact 0
		.amdhsa_exception_int_div_zero 0
	.end_amdhsa_kernel
	.section	.text._ZN7rocprim17ROCPRIM_400000_NS6detail17trampoline_kernelINS0_14default_configENS1_21merge_config_selectorINS0_5tupleIJddEEENS0_10empty_typeEEEZNS1_10merge_implIS3_NS0_12zip_iteratorINS5_IJN6thrust23THRUST_200600_302600_NS6detail15normal_iteratorINSC_10device_ptrIKdEEEESI_EEEEESK_NSA_INS5_IJNSE_INSF_IdEEEESM_EEEEEPS7_SP_SP_NSC_11hip_rocprim7__merge17predicate_wrapperIddNSC_4lessIdEEEEEE10hipError_tPvRmT0_T1_T2_T3_T4_T5_mmT6_P12ihipStream_tbEUlT_E_NS1_11comp_targetILNS1_3genE5ELNS1_11target_archE942ELNS1_3gpuE9ELNS1_3repE0EEENS1_30default_config_static_selectorELNS0_4arch9wavefront6targetE0EEEvS10_,"axG",@progbits,_ZN7rocprim17ROCPRIM_400000_NS6detail17trampoline_kernelINS0_14default_configENS1_21merge_config_selectorINS0_5tupleIJddEEENS0_10empty_typeEEEZNS1_10merge_implIS3_NS0_12zip_iteratorINS5_IJN6thrust23THRUST_200600_302600_NS6detail15normal_iteratorINSC_10device_ptrIKdEEEESI_EEEEESK_NSA_INS5_IJNSE_INSF_IdEEEESM_EEEEEPS7_SP_SP_NSC_11hip_rocprim7__merge17predicate_wrapperIddNSC_4lessIdEEEEEE10hipError_tPvRmT0_T1_T2_T3_T4_T5_mmT6_P12ihipStream_tbEUlT_E_NS1_11comp_targetILNS1_3genE5ELNS1_11target_archE942ELNS1_3gpuE9ELNS1_3repE0EEENS1_30default_config_static_selectorELNS0_4arch9wavefront6targetE0EEEvS10_,comdat
.Lfunc_end2:
	.size	_ZN7rocprim17ROCPRIM_400000_NS6detail17trampoline_kernelINS0_14default_configENS1_21merge_config_selectorINS0_5tupleIJddEEENS0_10empty_typeEEEZNS1_10merge_implIS3_NS0_12zip_iteratorINS5_IJN6thrust23THRUST_200600_302600_NS6detail15normal_iteratorINSC_10device_ptrIKdEEEESI_EEEEESK_NSA_INS5_IJNSE_INSF_IdEEEESM_EEEEEPS7_SP_SP_NSC_11hip_rocprim7__merge17predicate_wrapperIddNSC_4lessIdEEEEEE10hipError_tPvRmT0_T1_T2_T3_T4_T5_mmT6_P12ihipStream_tbEUlT_E_NS1_11comp_targetILNS1_3genE5ELNS1_11target_archE942ELNS1_3gpuE9ELNS1_3repE0EEENS1_30default_config_static_selectorELNS0_4arch9wavefront6targetE0EEEvS10_, .Lfunc_end2-_ZN7rocprim17ROCPRIM_400000_NS6detail17trampoline_kernelINS0_14default_configENS1_21merge_config_selectorINS0_5tupleIJddEEENS0_10empty_typeEEEZNS1_10merge_implIS3_NS0_12zip_iteratorINS5_IJN6thrust23THRUST_200600_302600_NS6detail15normal_iteratorINSC_10device_ptrIKdEEEESI_EEEEESK_NSA_INS5_IJNSE_INSF_IdEEEESM_EEEEEPS7_SP_SP_NSC_11hip_rocprim7__merge17predicate_wrapperIddNSC_4lessIdEEEEEE10hipError_tPvRmT0_T1_T2_T3_T4_T5_mmT6_P12ihipStream_tbEUlT_E_NS1_11comp_targetILNS1_3genE5ELNS1_11target_archE942ELNS1_3gpuE9ELNS1_3repE0EEENS1_30default_config_static_selectorELNS0_4arch9wavefront6targetE0EEEvS10_
                                        ; -- End function
	.set _ZN7rocprim17ROCPRIM_400000_NS6detail17trampoline_kernelINS0_14default_configENS1_21merge_config_selectorINS0_5tupleIJddEEENS0_10empty_typeEEEZNS1_10merge_implIS3_NS0_12zip_iteratorINS5_IJN6thrust23THRUST_200600_302600_NS6detail15normal_iteratorINSC_10device_ptrIKdEEEESI_EEEEESK_NSA_INS5_IJNSE_INSF_IdEEEESM_EEEEEPS7_SP_SP_NSC_11hip_rocprim7__merge17predicate_wrapperIddNSC_4lessIdEEEEEE10hipError_tPvRmT0_T1_T2_T3_T4_T5_mmT6_P12ihipStream_tbEUlT_E_NS1_11comp_targetILNS1_3genE5ELNS1_11target_archE942ELNS1_3gpuE9ELNS1_3repE0EEENS1_30default_config_static_selectorELNS0_4arch9wavefront6targetE0EEEvS10_.num_vgpr, 0
	.set _ZN7rocprim17ROCPRIM_400000_NS6detail17trampoline_kernelINS0_14default_configENS1_21merge_config_selectorINS0_5tupleIJddEEENS0_10empty_typeEEEZNS1_10merge_implIS3_NS0_12zip_iteratorINS5_IJN6thrust23THRUST_200600_302600_NS6detail15normal_iteratorINSC_10device_ptrIKdEEEESI_EEEEESK_NSA_INS5_IJNSE_INSF_IdEEEESM_EEEEEPS7_SP_SP_NSC_11hip_rocprim7__merge17predicate_wrapperIddNSC_4lessIdEEEEEE10hipError_tPvRmT0_T1_T2_T3_T4_T5_mmT6_P12ihipStream_tbEUlT_E_NS1_11comp_targetILNS1_3genE5ELNS1_11target_archE942ELNS1_3gpuE9ELNS1_3repE0EEENS1_30default_config_static_selectorELNS0_4arch9wavefront6targetE0EEEvS10_.num_agpr, 0
	.set _ZN7rocprim17ROCPRIM_400000_NS6detail17trampoline_kernelINS0_14default_configENS1_21merge_config_selectorINS0_5tupleIJddEEENS0_10empty_typeEEEZNS1_10merge_implIS3_NS0_12zip_iteratorINS5_IJN6thrust23THRUST_200600_302600_NS6detail15normal_iteratorINSC_10device_ptrIKdEEEESI_EEEEESK_NSA_INS5_IJNSE_INSF_IdEEEESM_EEEEEPS7_SP_SP_NSC_11hip_rocprim7__merge17predicate_wrapperIddNSC_4lessIdEEEEEE10hipError_tPvRmT0_T1_T2_T3_T4_T5_mmT6_P12ihipStream_tbEUlT_E_NS1_11comp_targetILNS1_3genE5ELNS1_11target_archE942ELNS1_3gpuE9ELNS1_3repE0EEENS1_30default_config_static_selectorELNS0_4arch9wavefront6targetE0EEEvS10_.numbered_sgpr, 0
	.set _ZN7rocprim17ROCPRIM_400000_NS6detail17trampoline_kernelINS0_14default_configENS1_21merge_config_selectorINS0_5tupleIJddEEENS0_10empty_typeEEEZNS1_10merge_implIS3_NS0_12zip_iteratorINS5_IJN6thrust23THRUST_200600_302600_NS6detail15normal_iteratorINSC_10device_ptrIKdEEEESI_EEEEESK_NSA_INS5_IJNSE_INSF_IdEEEESM_EEEEEPS7_SP_SP_NSC_11hip_rocprim7__merge17predicate_wrapperIddNSC_4lessIdEEEEEE10hipError_tPvRmT0_T1_T2_T3_T4_T5_mmT6_P12ihipStream_tbEUlT_E_NS1_11comp_targetILNS1_3genE5ELNS1_11target_archE942ELNS1_3gpuE9ELNS1_3repE0EEENS1_30default_config_static_selectorELNS0_4arch9wavefront6targetE0EEEvS10_.num_named_barrier, 0
	.set _ZN7rocprim17ROCPRIM_400000_NS6detail17trampoline_kernelINS0_14default_configENS1_21merge_config_selectorINS0_5tupleIJddEEENS0_10empty_typeEEEZNS1_10merge_implIS3_NS0_12zip_iteratorINS5_IJN6thrust23THRUST_200600_302600_NS6detail15normal_iteratorINSC_10device_ptrIKdEEEESI_EEEEESK_NSA_INS5_IJNSE_INSF_IdEEEESM_EEEEEPS7_SP_SP_NSC_11hip_rocprim7__merge17predicate_wrapperIddNSC_4lessIdEEEEEE10hipError_tPvRmT0_T1_T2_T3_T4_T5_mmT6_P12ihipStream_tbEUlT_E_NS1_11comp_targetILNS1_3genE5ELNS1_11target_archE942ELNS1_3gpuE9ELNS1_3repE0EEENS1_30default_config_static_selectorELNS0_4arch9wavefront6targetE0EEEvS10_.private_seg_size, 0
	.set _ZN7rocprim17ROCPRIM_400000_NS6detail17trampoline_kernelINS0_14default_configENS1_21merge_config_selectorINS0_5tupleIJddEEENS0_10empty_typeEEEZNS1_10merge_implIS3_NS0_12zip_iteratorINS5_IJN6thrust23THRUST_200600_302600_NS6detail15normal_iteratorINSC_10device_ptrIKdEEEESI_EEEEESK_NSA_INS5_IJNSE_INSF_IdEEEESM_EEEEEPS7_SP_SP_NSC_11hip_rocprim7__merge17predicate_wrapperIddNSC_4lessIdEEEEEE10hipError_tPvRmT0_T1_T2_T3_T4_T5_mmT6_P12ihipStream_tbEUlT_E_NS1_11comp_targetILNS1_3genE5ELNS1_11target_archE942ELNS1_3gpuE9ELNS1_3repE0EEENS1_30default_config_static_selectorELNS0_4arch9wavefront6targetE0EEEvS10_.uses_vcc, 0
	.set _ZN7rocprim17ROCPRIM_400000_NS6detail17trampoline_kernelINS0_14default_configENS1_21merge_config_selectorINS0_5tupleIJddEEENS0_10empty_typeEEEZNS1_10merge_implIS3_NS0_12zip_iteratorINS5_IJN6thrust23THRUST_200600_302600_NS6detail15normal_iteratorINSC_10device_ptrIKdEEEESI_EEEEESK_NSA_INS5_IJNSE_INSF_IdEEEESM_EEEEEPS7_SP_SP_NSC_11hip_rocprim7__merge17predicate_wrapperIddNSC_4lessIdEEEEEE10hipError_tPvRmT0_T1_T2_T3_T4_T5_mmT6_P12ihipStream_tbEUlT_E_NS1_11comp_targetILNS1_3genE5ELNS1_11target_archE942ELNS1_3gpuE9ELNS1_3repE0EEENS1_30default_config_static_selectorELNS0_4arch9wavefront6targetE0EEEvS10_.uses_flat_scratch, 0
	.set _ZN7rocprim17ROCPRIM_400000_NS6detail17trampoline_kernelINS0_14default_configENS1_21merge_config_selectorINS0_5tupleIJddEEENS0_10empty_typeEEEZNS1_10merge_implIS3_NS0_12zip_iteratorINS5_IJN6thrust23THRUST_200600_302600_NS6detail15normal_iteratorINSC_10device_ptrIKdEEEESI_EEEEESK_NSA_INS5_IJNSE_INSF_IdEEEESM_EEEEEPS7_SP_SP_NSC_11hip_rocprim7__merge17predicate_wrapperIddNSC_4lessIdEEEEEE10hipError_tPvRmT0_T1_T2_T3_T4_T5_mmT6_P12ihipStream_tbEUlT_E_NS1_11comp_targetILNS1_3genE5ELNS1_11target_archE942ELNS1_3gpuE9ELNS1_3repE0EEENS1_30default_config_static_selectorELNS0_4arch9wavefront6targetE0EEEvS10_.has_dyn_sized_stack, 0
	.set _ZN7rocprim17ROCPRIM_400000_NS6detail17trampoline_kernelINS0_14default_configENS1_21merge_config_selectorINS0_5tupleIJddEEENS0_10empty_typeEEEZNS1_10merge_implIS3_NS0_12zip_iteratorINS5_IJN6thrust23THRUST_200600_302600_NS6detail15normal_iteratorINSC_10device_ptrIKdEEEESI_EEEEESK_NSA_INS5_IJNSE_INSF_IdEEEESM_EEEEEPS7_SP_SP_NSC_11hip_rocprim7__merge17predicate_wrapperIddNSC_4lessIdEEEEEE10hipError_tPvRmT0_T1_T2_T3_T4_T5_mmT6_P12ihipStream_tbEUlT_E_NS1_11comp_targetILNS1_3genE5ELNS1_11target_archE942ELNS1_3gpuE9ELNS1_3repE0EEENS1_30default_config_static_selectorELNS0_4arch9wavefront6targetE0EEEvS10_.has_recursion, 0
	.set _ZN7rocprim17ROCPRIM_400000_NS6detail17trampoline_kernelINS0_14default_configENS1_21merge_config_selectorINS0_5tupleIJddEEENS0_10empty_typeEEEZNS1_10merge_implIS3_NS0_12zip_iteratorINS5_IJN6thrust23THRUST_200600_302600_NS6detail15normal_iteratorINSC_10device_ptrIKdEEEESI_EEEEESK_NSA_INS5_IJNSE_INSF_IdEEEESM_EEEEEPS7_SP_SP_NSC_11hip_rocprim7__merge17predicate_wrapperIddNSC_4lessIdEEEEEE10hipError_tPvRmT0_T1_T2_T3_T4_T5_mmT6_P12ihipStream_tbEUlT_E_NS1_11comp_targetILNS1_3genE5ELNS1_11target_archE942ELNS1_3gpuE9ELNS1_3repE0EEENS1_30default_config_static_selectorELNS0_4arch9wavefront6targetE0EEEvS10_.has_indirect_call, 0
	.section	.AMDGPU.csdata,"",@progbits
; Kernel info:
; codeLenInByte = 0
; TotalNumSgprs: 0
; NumVgprs: 0
; ScratchSize: 0
; MemoryBound: 0
; FloatMode: 240
; IeeeMode: 1
; LDSByteSize: 0 bytes/workgroup (compile time only)
; SGPRBlocks: 0
; VGPRBlocks: 0
; NumSGPRsForWavesPerEU: 1
; NumVGPRsForWavesPerEU: 1
; NamedBarCnt: 0
; Occupancy: 16
; WaveLimiterHint : 0
; COMPUTE_PGM_RSRC2:SCRATCH_EN: 0
; COMPUTE_PGM_RSRC2:USER_SGPR: 2
; COMPUTE_PGM_RSRC2:TRAP_HANDLER: 0
; COMPUTE_PGM_RSRC2:TGID_X_EN: 1
; COMPUTE_PGM_RSRC2:TGID_Y_EN: 0
; COMPUTE_PGM_RSRC2:TGID_Z_EN: 0
; COMPUTE_PGM_RSRC2:TIDIG_COMP_CNT: 0
	.section	.text._ZN7rocprim17ROCPRIM_400000_NS6detail17trampoline_kernelINS0_14default_configENS1_21merge_config_selectorINS0_5tupleIJddEEENS0_10empty_typeEEEZNS1_10merge_implIS3_NS0_12zip_iteratorINS5_IJN6thrust23THRUST_200600_302600_NS6detail15normal_iteratorINSC_10device_ptrIKdEEEESI_EEEEESK_NSA_INS5_IJNSE_INSF_IdEEEESM_EEEEEPS7_SP_SP_NSC_11hip_rocprim7__merge17predicate_wrapperIddNSC_4lessIdEEEEEE10hipError_tPvRmT0_T1_T2_T3_T4_T5_mmT6_P12ihipStream_tbEUlT_E_NS1_11comp_targetILNS1_3genE4ELNS1_11target_archE910ELNS1_3gpuE8ELNS1_3repE0EEENS1_30default_config_static_selectorELNS0_4arch9wavefront6targetE0EEEvS10_,"axG",@progbits,_ZN7rocprim17ROCPRIM_400000_NS6detail17trampoline_kernelINS0_14default_configENS1_21merge_config_selectorINS0_5tupleIJddEEENS0_10empty_typeEEEZNS1_10merge_implIS3_NS0_12zip_iteratorINS5_IJN6thrust23THRUST_200600_302600_NS6detail15normal_iteratorINSC_10device_ptrIKdEEEESI_EEEEESK_NSA_INS5_IJNSE_INSF_IdEEEESM_EEEEEPS7_SP_SP_NSC_11hip_rocprim7__merge17predicate_wrapperIddNSC_4lessIdEEEEEE10hipError_tPvRmT0_T1_T2_T3_T4_T5_mmT6_P12ihipStream_tbEUlT_E_NS1_11comp_targetILNS1_3genE4ELNS1_11target_archE910ELNS1_3gpuE8ELNS1_3repE0EEENS1_30default_config_static_selectorELNS0_4arch9wavefront6targetE0EEEvS10_,comdat
	.protected	_ZN7rocprim17ROCPRIM_400000_NS6detail17trampoline_kernelINS0_14default_configENS1_21merge_config_selectorINS0_5tupleIJddEEENS0_10empty_typeEEEZNS1_10merge_implIS3_NS0_12zip_iteratorINS5_IJN6thrust23THRUST_200600_302600_NS6detail15normal_iteratorINSC_10device_ptrIKdEEEESI_EEEEESK_NSA_INS5_IJNSE_INSF_IdEEEESM_EEEEEPS7_SP_SP_NSC_11hip_rocprim7__merge17predicate_wrapperIddNSC_4lessIdEEEEEE10hipError_tPvRmT0_T1_T2_T3_T4_T5_mmT6_P12ihipStream_tbEUlT_E_NS1_11comp_targetILNS1_3genE4ELNS1_11target_archE910ELNS1_3gpuE8ELNS1_3repE0EEENS1_30default_config_static_selectorELNS0_4arch9wavefront6targetE0EEEvS10_ ; -- Begin function _ZN7rocprim17ROCPRIM_400000_NS6detail17trampoline_kernelINS0_14default_configENS1_21merge_config_selectorINS0_5tupleIJddEEENS0_10empty_typeEEEZNS1_10merge_implIS3_NS0_12zip_iteratorINS5_IJN6thrust23THRUST_200600_302600_NS6detail15normal_iteratorINSC_10device_ptrIKdEEEESI_EEEEESK_NSA_INS5_IJNSE_INSF_IdEEEESM_EEEEEPS7_SP_SP_NSC_11hip_rocprim7__merge17predicate_wrapperIddNSC_4lessIdEEEEEE10hipError_tPvRmT0_T1_T2_T3_T4_T5_mmT6_P12ihipStream_tbEUlT_E_NS1_11comp_targetILNS1_3genE4ELNS1_11target_archE910ELNS1_3gpuE8ELNS1_3repE0EEENS1_30default_config_static_selectorELNS0_4arch9wavefront6targetE0EEEvS10_
	.globl	_ZN7rocprim17ROCPRIM_400000_NS6detail17trampoline_kernelINS0_14default_configENS1_21merge_config_selectorINS0_5tupleIJddEEENS0_10empty_typeEEEZNS1_10merge_implIS3_NS0_12zip_iteratorINS5_IJN6thrust23THRUST_200600_302600_NS6detail15normal_iteratorINSC_10device_ptrIKdEEEESI_EEEEESK_NSA_INS5_IJNSE_INSF_IdEEEESM_EEEEEPS7_SP_SP_NSC_11hip_rocprim7__merge17predicate_wrapperIddNSC_4lessIdEEEEEE10hipError_tPvRmT0_T1_T2_T3_T4_T5_mmT6_P12ihipStream_tbEUlT_E_NS1_11comp_targetILNS1_3genE4ELNS1_11target_archE910ELNS1_3gpuE8ELNS1_3repE0EEENS1_30default_config_static_selectorELNS0_4arch9wavefront6targetE0EEEvS10_
	.p2align	8
	.type	_ZN7rocprim17ROCPRIM_400000_NS6detail17trampoline_kernelINS0_14default_configENS1_21merge_config_selectorINS0_5tupleIJddEEENS0_10empty_typeEEEZNS1_10merge_implIS3_NS0_12zip_iteratorINS5_IJN6thrust23THRUST_200600_302600_NS6detail15normal_iteratorINSC_10device_ptrIKdEEEESI_EEEEESK_NSA_INS5_IJNSE_INSF_IdEEEESM_EEEEEPS7_SP_SP_NSC_11hip_rocprim7__merge17predicate_wrapperIddNSC_4lessIdEEEEEE10hipError_tPvRmT0_T1_T2_T3_T4_T5_mmT6_P12ihipStream_tbEUlT_E_NS1_11comp_targetILNS1_3genE4ELNS1_11target_archE910ELNS1_3gpuE8ELNS1_3repE0EEENS1_30default_config_static_selectorELNS0_4arch9wavefront6targetE0EEEvS10_,@function
_ZN7rocprim17ROCPRIM_400000_NS6detail17trampoline_kernelINS0_14default_configENS1_21merge_config_selectorINS0_5tupleIJddEEENS0_10empty_typeEEEZNS1_10merge_implIS3_NS0_12zip_iteratorINS5_IJN6thrust23THRUST_200600_302600_NS6detail15normal_iteratorINSC_10device_ptrIKdEEEESI_EEEEESK_NSA_INS5_IJNSE_INSF_IdEEEESM_EEEEEPS7_SP_SP_NSC_11hip_rocprim7__merge17predicate_wrapperIddNSC_4lessIdEEEEEE10hipError_tPvRmT0_T1_T2_T3_T4_T5_mmT6_P12ihipStream_tbEUlT_E_NS1_11comp_targetILNS1_3genE4ELNS1_11target_archE910ELNS1_3gpuE8ELNS1_3repE0EEENS1_30default_config_static_selectorELNS0_4arch9wavefront6targetE0EEEvS10_: ; @_ZN7rocprim17ROCPRIM_400000_NS6detail17trampoline_kernelINS0_14default_configENS1_21merge_config_selectorINS0_5tupleIJddEEENS0_10empty_typeEEEZNS1_10merge_implIS3_NS0_12zip_iteratorINS5_IJN6thrust23THRUST_200600_302600_NS6detail15normal_iteratorINSC_10device_ptrIKdEEEESI_EEEEESK_NSA_INS5_IJNSE_INSF_IdEEEESM_EEEEEPS7_SP_SP_NSC_11hip_rocprim7__merge17predicate_wrapperIddNSC_4lessIdEEEEEE10hipError_tPvRmT0_T1_T2_T3_T4_T5_mmT6_P12ihipStream_tbEUlT_E_NS1_11comp_targetILNS1_3genE4ELNS1_11target_archE910ELNS1_3gpuE8ELNS1_3repE0EEENS1_30default_config_static_selectorELNS0_4arch9wavefront6targetE0EEEvS10_
; %bb.0:
	.section	.rodata,"a",@progbits
	.p2align	6, 0x0
	.amdhsa_kernel _ZN7rocprim17ROCPRIM_400000_NS6detail17trampoline_kernelINS0_14default_configENS1_21merge_config_selectorINS0_5tupleIJddEEENS0_10empty_typeEEEZNS1_10merge_implIS3_NS0_12zip_iteratorINS5_IJN6thrust23THRUST_200600_302600_NS6detail15normal_iteratorINSC_10device_ptrIKdEEEESI_EEEEESK_NSA_INS5_IJNSE_INSF_IdEEEESM_EEEEEPS7_SP_SP_NSC_11hip_rocprim7__merge17predicate_wrapperIddNSC_4lessIdEEEEEE10hipError_tPvRmT0_T1_T2_T3_T4_T5_mmT6_P12ihipStream_tbEUlT_E_NS1_11comp_targetILNS1_3genE4ELNS1_11target_archE910ELNS1_3gpuE8ELNS1_3repE0EEENS1_30default_config_static_selectorELNS0_4arch9wavefront6targetE0EEEvS10_
		.amdhsa_group_segment_fixed_size 0
		.amdhsa_private_segment_fixed_size 0
		.amdhsa_kernarg_size 64
		.amdhsa_user_sgpr_count 2
		.amdhsa_user_sgpr_dispatch_ptr 0
		.amdhsa_user_sgpr_queue_ptr 0
		.amdhsa_user_sgpr_kernarg_segment_ptr 1
		.amdhsa_user_sgpr_dispatch_id 0
		.amdhsa_user_sgpr_kernarg_preload_length 0
		.amdhsa_user_sgpr_kernarg_preload_offset 0
		.amdhsa_user_sgpr_private_segment_size 0
		.amdhsa_wavefront_size32 1
		.amdhsa_uses_dynamic_stack 0
		.amdhsa_enable_private_segment 0
		.amdhsa_system_sgpr_workgroup_id_x 1
		.amdhsa_system_sgpr_workgroup_id_y 0
		.amdhsa_system_sgpr_workgroup_id_z 0
		.amdhsa_system_sgpr_workgroup_info 0
		.amdhsa_system_vgpr_workitem_id 0
		.amdhsa_next_free_vgpr 1
		.amdhsa_next_free_sgpr 1
		.amdhsa_named_barrier_count 0
		.amdhsa_reserve_vcc 0
		.amdhsa_float_round_mode_32 0
		.amdhsa_float_round_mode_16_64 0
		.amdhsa_float_denorm_mode_32 3
		.amdhsa_float_denorm_mode_16_64 3
		.amdhsa_fp16_overflow 0
		.amdhsa_memory_ordered 1
		.amdhsa_forward_progress 1
		.amdhsa_inst_pref_size 0
		.amdhsa_round_robin_scheduling 0
		.amdhsa_exception_fp_ieee_invalid_op 0
		.amdhsa_exception_fp_denorm_src 0
		.amdhsa_exception_fp_ieee_div_zero 0
		.amdhsa_exception_fp_ieee_overflow 0
		.amdhsa_exception_fp_ieee_underflow 0
		.amdhsa_exception_fp_ieee_inexact 0
		.amdhsa_exception_int_div_zero 0
	.end_amdhsa_kernel
	.section	.text._ZN7rocprim17ROCPRIM_400000_NS6detail17trampoline_kernelINS0_14default_configENS1_21merge_config_selectorINS0_5tupleIJddEEENS0_10empty_typeEEEZNS1_10merge_implIS3_NS0_12zip_iteratorINS5_IJN6thrust23THRUST_200600_302600_NS6detail15normal_iteratorINSC_10device_ptrIKdEEEESI_EEEEESK_NSA_INS5_IJNSE_INSF_IdEEEESM_EEEEEPS7_SP_SP_NSC_11hip_rocprim7__merge17predicate_wrapperIddNSC_4lessIdEEEEEE10hipError_tPvRmT0_T1_T2_T3_T4_T5_mmT6_P12ihipStream_tbEUlT_E_NS1_11comp_targetILNS1_3genE4ELNS1_11target_archE910ELNS1_3gpuE8ELNS1_3repE0EEENS1_30default_config_static_selectorELNS0_4arch9wavefront6targetE0EEEvS10_,"axG",@progbits,_ZN7rocprim17ROCPRIM_400000_NS6detail17trampoline_kernelINS0_14default_configENS1_21merge_config_selectorINS0_5tupleIJddEEENS0_10empty_typeEEEZNS1_10merge_implIS3_NS0_12zip_iteratorINS5_IJN6thrust23THRUST_200600_302600_NS6detail15normal_iteratorINSC_10device_ptrIKdEEEESI_EEEEESK_NSA_INS5_IJNSE_INSF_IdEEEESM_EEEEEPS7_SP_SP_NSC_11hip_rocprim7__merge17predicate_wrapperIddNSC_4lessIdEEEEEE10hipError_tPvRmT0_T1_T2_T3_T4_T5_mmT6_P12ihipStream_tbEUlT_E_NS1_11comp_targetILNS1_3genE4ELNS1_11target_archE910ELNS1_3gpuE8ELNS1_3repE0EEENS1_30default_config_static_selectorELNS0_4arch9wavefront6targetE0EEEvS10_,comdat
.Lfunc_end3:
	.size	_ZN7rocprim17ROCPRIM_400000_NS6detail17trampoline_kernelINS0_14default_configENS1_21merge_config_selectorINS0_5tupleIJddEEENS0_10empty_typeEEEZNS1_10merge_implIS3_NS0_12zip_iteratorINS5_IJN6thrust23THRUST_200600_302600_NS6detail15normal_iteratorINSC_10device_ptrIKdEEEESI_EEEEESK_NSA_INS5_IJNSE_INSF_IdEEEESM_EEEEEPS7_SP_SP_NSC_11hip_rocprim7__merge17predicate_wrapperIddNSC_4lessIdEEEEEE10hipError_tPvRmT0_T1_T2_T3_T4_T5_mmT6_P12ihipStream_tbEUlT_E_NS1_11comp_targetILNS1_3genE4ELNS1_11target_archE910ELNS1_3gpuE8ELNS1_3repE0EEENS1_30default_config_static_selectorELNS0_4arch9wavefront6targetE0EEEvS10_, .Lfunc_end3-_ZN7rocprim17ROCPRIM_400000_NS6detail17trampoline_kernelINS0_14default_configENS1_21merge_config_selectorINS0_5tupleIJddEEENS0_10empty_typeEEEZNS1_10merge_implIS3_NS0_12zip_iteratorINS5_IJN6thrust23THRUST_200600_302600_NS6detail15normal_iteratorINSC_10device_ptrIKdEEEESI_EEEEESK_NSA_INS5_IJNSE_INSF_IdEEEESM_EEEEEPS7_SP_SP_NSC_11hip_rocprim7__merge17predicate_wrapperIddNSC_4lessIdEEEEEE10hipError_tPvRmT0_T1_T2_T3_T4_T5_mmT6_P12ihipStream_tbEUlT_E_NS1_11comp_targetILNS1_3genE4ELNS1_11target_archE910ELNS1_3gpuE8ELNS1_3repE0EEENS1_30default_config_static_selectorELNS0_4arch9wavefront6targetE0EEEvS10_
                                        ; -- End function
	.set _ZN7rocprim17ROCPRIM_400000_NS6detail17trampoline_kernelINS0_14default_configENS1_21merge_config_selectorINS0_5tupleIJddEEENS0_10empty_typeEEEZNS1_10merge_implIS3_NS0_12zip_iteratorINS5_IJN6thrust23THRUST_200600_302600_NS6detail15normal_iteratorINSC_10device_ptrIKdEEEESI_EEEEESK_NSA_INS5_IJNSE_INSF_IdEEEESM_EEEEEPS7_SP_SP_NSC_11hip_rocprim7__merge17predicate_wrapperIddNSC_4lessIdEEEEEE10hipError_tPvRmT0_T1_T2_T3_T4_T5_mmT6_P12ihipStream_tbEUlT_E_NS1_11comp_targetILNS1_3genE4ELNS1_11target_archE910ELNS1_3gpuE8ELNS1_3repE0EEENS1_30default_config_static_selectorELNS0_4arch9wavefront6targetE0EEEvS10_.num_vgpr, 0
	.set _ZN7rocprim17ROCPRIM_400000_NS6detail17trampoline_kernelINS0_14default_configENS1_21merge_config_selectorINS0_5tupleIJddEEENS0_10empty_typeEEEZNS1_10merge_implIS3_NS0_12zip_iteratorINS5_IJN6thrust23THRUST_200600_302600_NS6detail15normal_iteratorINSC_10device_ptrIKdEEEESI_EEEEESK_NSA_INS5_IJNSE_INSF_IdEEEESM_EEEEEPS7_SP_SP_NSC_11hip_rocprim7__merge17predicate_wrapperIddNSC_4lessIdEEEEEE10hipError_tPvRmT0_T1_T2_T3_T4_T5_mmT6_P12ihipStream_tbEUlT_E_NS1_11comp_targetILNS1_3genE4ELNS1_11target_archE910ELNS1_3gpuE8ELNS1_3repE0EEENS1_30default_config_static_selectorELNS0_4arch9wavefront6targetE0EEEvS10_.num_agpr, 0
	.set _ZN7rocprim17ROCPRIM_400000_NS6detail17trampoline_kernelINS0_14default_configENS1_21merge_config_selectorINS0_5tupleIJddEEENS0_10empty_typeEEEZNS1_10merge_implIS3_NS0_12zip_iteratorINS5_IJN6thrust23THRUST_200600_302600_NS6detail15normal_iteratorINSC_10device_ptrIKdEEEESI_EEEEESK_NSA_INS5_IJNSE_INSF_IdEEEESM_EEEEEPS7_SP_SP_NSC_11hip_rocprim7__merge17predicate_wrapperIddNSC_4lessIdEEEEEE10hipError_tPvRmT0_T1_T2_T3_T4_T5_mmT6_P12ihipStream_tbEUlT_E_NS1_11comp_targetILNS1_3genE4ELNS1_11target_archE910ELNS1_3gpuE8ELNS1_3repE0EEENS1_30default_config_static_selectorELNS0_4arch9wavefront6targetE0EEEvS10_.numbered_sgpr, 0
	.set _ZN7rocprim17ROCPRIM_400000_NS6detail17trampoline_kernelINS0_14default_configENS1_21merge_config_selectorINS0_5tupleIJddEEENS0_10empty_typeEEEZNS1_10merge_implIS3_NS0_12zip_iteratorINS5_IJN6thrust23THRUST_200600_302600_NS6detail15normal_iteratorINSC_10device_ptrIKdEEEESI_EEEEESK_NSA_INS5_IJNSE_INSF_IdEEEESM_EEEEEPS7_SP_SP_NSC_11hip_rocprim7__merge17predicate_wrapperIddNSC_4lessIdEEEEEE10hipError_tPvRmT0_T1_T2_T3_T4_T5_mmT6_P12ihipStream_tbEUlT_E_NS1_11comp_targetILNS1_3genE4ELNS1_11target_archE910ELNS1_3gpuE8ELNS1_3repE0EEENS1_30default_config_static_selectorELNS0_4arch9wavefront6targetE0EEEvS10_.num_named_barrier, 0
	.set _ZN7rocprim17ROCPRIM_400000_NS6detail17trampoline_kernelINS0_14default_configENS1_21merge_config_selectorINS0_5tupleIJddEEENS0_10empty_typeEEEZNS1_10merge_implIS3_NS0_12zip_iteratorINS5_IJN6thrust23THRUST_200600_302600_NS6detail15normal_iteratorINSC_10device_ptrIKdEEEESI_EEEEESK_NSA_INS5_IJNSE_INSF_IdEEEESM_EEEEEPS7_SP_SP_NSC_11hip_rocprim7__merge17predicate_wrapperIddNSC_4lessIdEEEEEE10hipError_tPvRmT0_T1_T2_T3_T4_T5_mmT6_P12ihipStream_tbEUlT_E_NS1_11comp_targetILNS1_3genE4ELNS1_11target_archE910ELNS1_3gpuE8ELNS1_3repE0EEENS1_30default_config_static_selectorELNS0_4arch9wavefront6targetE0EEEvS10_.private_seg_size, 0
	.set _ZN7rocprim17ROCPRIM_400000_NS6detail17trampoline_kernelINS0_14default_configENS1_21merge_config_selectorINS0_5tupleIJddEEENS0_10empty_typeEEEZNS1_10merge_implIS3_NS0_12zip_iteratorINS5_IJN6thrust23THRUST_200600_302600_NS6detail15normal_iteratorINSC_10device_ptrIKdEEEESI_EEEEESK_NSA_INS5_IJNSE_INSF_IdEEEESM_EEEEEPS7_SP_SP_NSC_11hip_rocprim7__merge17predicate_wrapperIddNSC_4lessIdEEEEEE10hipError_tPvRmT0_T1_T2_T3_T4_T5_mmT6_P12ihipStream_tbEUlT_E_NS1_11comp_targetILNS1_3genE4ELNS1_11target_archE910ELNS1_3gpuE8ELNS1_3repE0EEENS1_30default_config_static_selectorELNS0_4arch9wavefront6targetE0EEEvS10_.uses_vcc, 0
	.set _ZN7rocprim17ROCPRIM_400000_NS6detail17trampoline_kernelINS0_14default_configENS1_21merge_config_selectorINS0_5tupleIJddEEENS0_10empty_typeEEEZNS1_10merge_implIS3_NS0_12zip_iteratorINS5_IJN6thrust23THRUST_200600_302600_NS6detail15normal_iteratorINSC_10device_ptrIKdEEEESI_EEEEESK_NSA_INS5_IJNSE_INSF_IdEEEESM_EEEEEPS7_SP_SP_NSC_11hip_rocprim7__merge17predicate_wrapperIddNSC_4lessIdEEEEEE10hipError_tPvRmT0_T1_T2_T3_T4_T5_mmT6_P12ihipStream_tbEUlT_E_NS1_11comp_targetILNS1_3genE4ELNS1_11target_archE910ELNS1_3gpuE8ELNS1_3repE0EEENS1_30default_config_static_selectorELNS0_4arch9wavefront6targetE0EEEvS10_.uses_flat_scratch, 0
	.set _ZN7rocprim17ROCPRIM_400000_NS6detail17trampoline_kernelINS0_14default_configENS1_21merge_config_selectorINS0_5tupleIJddEEENS0_10empty_typeEEEZNS1_10merge_implIS3_NS0_12zip_iteratorINS5_IJN6thrust23THRUST_200600_302600_NS6detail15normal_iteratorINSC_10device_ptrIKdEEEESI_EEEEESK_NSA_INS5_IJNSE_INSF_IdEEEESM_EEEEEPS7_SP_SP_NSC_11hip_rocprim7__merge17predicate_wrapperIddNSC_4lessIdEEEEEE10hipError_tPvRmT0_T1_T2_T3_T4_T5_mmT6_P12ihipStream_tbEUlT_E_NS1_11comp_targetILNS1_3genE4ELNS1_11target_archE910ELNS1_3gpuE8ELNS1_3repE0EEENS1_30default_config_static_selectorELNS0_4arch9wavefront6targetE0EEEvS10_.has_dyn_sized_stack, 0
	.set _ZN7rocprim17ROCPRIM_400000_NS6detail17trampoline_kernelINS0_14default_configENS1_21merge_config_selectorINS0_5tupleIJddEEENS0_10empty_typeEEEZNS1_10merge_implIS3_NS0_12zip_iteratorINS5_IJN6thrust23THRUST_200600_302600_NS6detail15normal_iteratorINSC_10device_ptrIKdEEEESI_EEEEESK_NSA_INS5_IJNSE_INSF_IdEEEESM_EEEEEPS7_SP_SP_NSC_11hip_rocprim7__merge17predicate_wrapperIddNSC_4lessIdEEEEEE10hipError_tPvRmT0_T1_T2_T3_T4_T5_mmT6_P12ihipStream_tbEUlT_E_NS1_11comp_targetILNS1_3genE4ELNS1_11target_archE910ELNS1_3gpuE8ELNS1_3repE0EEENS1_30default_config_static_selectorELNS0_4arch9wavefront6targetE0EEEvS10_.has_recursion, 0
	.set _ZN7rocprim17ROCPRIM_400000_NS6detail17trampoline_kernelINS0_14default_configENS1_21merge_config_selectorINS0_5tupleIJddEEENS0_10empty_typeEEEZNS1_10merge_implIS3_NS0_12zip_iteratorINS5_IJN6thrust23THRUST_200600_302600_NS6detail15normal_iteratorINSC_10device_ptrIKdEEEESI_EEEEESK_NSA_INS5_IJNSE_INSF_IdEEEESM_EEEEEPS7_SP_SP_NSC_11hip_rocprim7__merge17predicate_wrapperIddNSC_4lessIdEEEEEE10hipError_tPvRmT0_T1_T2_T3_T4_T5_mmT6_P12ihipStream_tbEUlT_E_NS1_11comp_targetILNS1_3genE4ELNS1_11target_archE910ELNS1_3gpuE8ELNS1_3repE0EEENS1_30default_config_static_selectorELNS0_4arch9wavefront6targetE0EEEvS10_.has_indirect_call, 0
	.section	.AMDGPU.csdata,"",@progbits
; Kernel info:
; codeLenInByte = 0
; TotalNumSgprs: 0
; NumVgprs: 0
; ScratchSize: 0
; MemoryBound: 0
; FloatMode: 240
; IeeeMode: 1
; LDSByteSize: 0 bytes/workgroup (compile time only)
; SGPRBlocks: 0
; VGPRBlocks: 0
; NumSGPRsForWavesPerEU: 1
; NumVGPRsForWavesPerEU: 1
; NamedBarCnt: 0
; Occupancy: 16
; WaveLimiterHint : 0
; COMPUTE_PGM_RSRC2:SCRATCH_EN: 0
; COMPUTE_PGM_RSRC2:USER_SGPR: 2
; COMPUTE_PGM_RSRC2:TRAP_HANDLER: 0
; COMPUTE_PGM_RSRC2:TGID_X_EN: 1
; COMPUTE_PGM_RSRC2:TGID_Y_EN: 0
; COMPUTE_PGM_RSRC2:TGID_Z_EN: 0
; COMPUTE_PGM_RSRC2:TIDIG_COMP_CNT: 0
	.section	.text._ZN7rocprim17ROCPRIM_400000_NS6detail17trampoline_kernelINS0_14default_configENS1_21merge_config_selectorINS0_5tupleIJddEEENS0_10empty_typeEEEZNS1_10merge_implIS3_NS0_12zip_iteratorINS5_IJN6thrust23THRUST_200600_302600_NS6detail15normal_iteratorINSC_10device_ptrIKdEEEESI_EEEEESK_NSA_INS5_IJNSE_INSF_IdEEEESM_EEEEEPS7_SP_SP_NSC_11hip_rocprim7__merge17predicate_wrapperIddNSC_4lessIdEEEEEE10hipError_tPvRmT0_T1_T2_T3_T4_T5_mmT6_P12ihipStream_tbEUlT_E_NS1_11comp_targetILNS1_3genE3ELNS1_11target_archE908ELNS1_3gpuE7ELNS1_3repE0EEENS1_30default_config_static_selectorELNS0_4arch9wavefront6targetE0EEEvS10_,"axG",@progbits,_ZN7rocprim17ROCPRIM_400000_NS6detail17trampoline_kernelINS0_14default_configENS1_21merge_config_selectorINS0_5tupleIJddEEENS0_10empty_typeEEEZNS1_10merge_implIS3_NS0_12zip_iteratorINS5_IJN6thrust23THRUST_200600_302600_NS6detail15normal_iteratorINSC_10device_ptrIKdEEEESI_EEEEESK_NSA_INS5_IJNSE_INSF_IdEEEESM_EEEEEPS7_SP_SP_NSC_11hip_rocprim7__merge17predicate_wrapperIddNSC_4lessIdEEEEEE10hipError_tPvRmT0_T1_T2_T3_T4_T5_mmT6_P12ihipStream_tbEUlT_E_NS1_11comp_targetILNS1_3genE3ELNS1_11target_archE908ELNS1_3gpuE7ELNS1_3repE0EEENS1_30default_config_static_selectorELNS0_4arch9wavefront6targetE0EEEvS10_,comdat
	.protected	_ZN7rocprim17ROCPRIM_400000_NS6detail17trampoline_kernelINS0_14default_configENS1_21merge_config_selectorINS0_5tupleIJddEEENS0_10empty_typeEEEZNS1_10merge_implIS3_NS0_12zip_iteratorINS5_IJN6thrust23THRUST_200600_302600_NS6detail15normal_iteratorINSC_10device_ptrIKdEEEESI_EEEEESK_NSA_INS5_IJNSE_INSF_IdEEEESM_EEEEEPS7_SP_SP_NSC_11hip_rocprim7__merge17predicate_wrapperIddNSC_4lessIdEEEEEE10hipError_tPvRmT0_T1_T2_T3_T4_T5_mmT6_P12ihipStream_tbEUlT_E_NS1_11comp_targetILNS1_3genE3ELNS1_11target_archE908ELNS1_3gpuE7ELNS1_3repE0EEENS1_30default_config_static_selectorELNS0_4arch9wavefront6targetE0EEEvS10_ ; -- Begin function _ZN7rocprim17ROCPRIM_400000_NS6detail17trampoline_kernelINS0_14default_configENS1_21merge_config_selectorINS0_5tupleIJddEEENS0_10empty_typeEEEZNS1_10merge_implIS3_NS0_12zip_iteratorINS5_IJN6thrust23THRUST_200600_302600_NS6detail15normal_iteratorINSC_10device_ptrIKdEEEESI_EEEEESK_NSA_INS5_IJNSE_INSF_IdEEEESM_EEEEEPS7_SP_SP_NSC_11hip_rocprim7__merge17predicate_wrapperIddNSC_4lessIdEEEEEE10hipError_tPvRmT0_T1_T2_T3_T4_T5_mmT6_P12ihipStream_tbEUlT_E_NS1_11comp_targetILNS1_3genE3ELNS1_11target_archE908ELNS1_3gpuE7ELNS1_3repE0EEENS1_30default_config_static_selectorELNS0_4arch9wavefront6targetE0EEEvS10_
	.globl	_ZN7rocprim17ROCPRIM_400000_NS6detail17trampoline_kernelINS0_14default_configENS1_21merge_config_selectorINS0_5tupleIJddEEENS0_10empty_typeEEEZNS1_10merge_implIS3_NS0_12zip_iteratorINS5_IJN6thrust23THRUST_200600_302600_NS6detail15normal_iteratorINSC_10device_ptrIKdEEEESI_EEEEESK_NSA_INS5_IJNSE_INSF_IdEEEESM_EEEEEPS7_SP_SP_NSC_11hip_rocprim7__merge17predicate_wrapperIddNSC_4lessIdEEEEEE10hipError_tPvRmT0_T1_T2_T3_T4_T5_mmT6_P12ihipStream_tbEUlT_E_NS1_11comp_targetILNS1_3genE3ELNS1_11target_archE908ELNS1_3gpuE7ELNS1_3repE0EEENS1_30default_config_static_selectorELNS0_4arch9wavefront6targetE0EEEvS10_
	.p2align	8
	.type	_ZN7rocprim17ROCPRIM_400000_NS6detail17trampoline_kernelINS0_14default_configENS1_21merge_config_selectorINS0_5tupleIJddEEENS0_10empty_typeEEEZNS1_10merge_implIS3_NS0_12zip_iteratorINS5_IJN6thrust23THRUST_200600_302600_NS6detail15normal_iteratorINSC_10device_ptrIKdEEEESI_EEEEESK_NSA_INS5_IJNSE_INSF_IdEEEESM_EEEEEPS7_SP_SP_NSC_11hip_rocprim7__merge17predicate_wrapperIddNSC_4lessIdEEEEEE10hipError_tPvRmT0_T1_T2_T3_T4_T5_mmT6_P12ihipStream_tbEUlT_E_NS1_11comp_targetILNS1_3genE3ELNS1_11target_archE908ELNS1_3gpuE7ELNS1_3repE0EEENS1_30default_config_static_selectorELNS0_4arch9wavefront6targetE0EEEvS10_,@function
_ZN7rocprim17ROCPRIM_400000_NS6detail17trampoline_kernelINS0_14default_configENS1_21merge_config_selectorINS0_5tupleIJddEEENS0_10empty_typeEEEZNS1_10merge_implIS3_NS0_12zip_iteratorINS5_IJN6thrust23THRUST_200600_302600_NS6detail15normal_iteratorINSC_10device_ptrIKdEEEESI_EEEEESK_NSA_INS5_IJNSE_INSF_IdEEEESM_EEEEEPS7_SP_SP_NSC_11hip_rocprim7__merge17predicate_wrapperIddNSC_4lessIdEEEEEE10hipError_tPvRmT0_T1_T2_T3_T4_T5_mmT6_P12ihipStream_tbEUlT_E_NS1_11comp_targetILNS1_3genE3ELNS1_11target_archE908ELNS1_3gpuE7ELNS1_3repE0EEENS1_30default_config_static_selectorELNS0_4arch9wavefront6targetE0EEEvS10_: ; @_ZN7rocprim17ROCPRIM_400000_NS6detail17trampoline_kernelINS0_14default_configENS1_21merge_config_selectorINS0_5tupleIJddEEENS0_10empty_typeEEEZNS1_10merge_implIS3_NS0_12zip_iteratorINS5_IJN6thrust23THRUST_200600_302600_NS6detail15normal_iteratorINSC_10device_ptrIKdEEEESI_EEEEESK_NSA_INS5_IJNSE_INSF_IdEEEESM_EEEEEPS7_SP_SP_NSC_11hip_rocprim7__merge17predicate_wrapperIddNSC_4lessIdEEEEEE10hipError_tPvRmT0_T1_T2_T3_T4_T5_mmT6_P12ihipStream_tbEUlT_E_NS1_11comp_targetILNS1_3genE3ELNS1_11target_archE908ELNS1_3gpuE7ELNS1_3repE0EEENS1_30default_config_static_selectorELNS0_4arch9wavefront6targetE0EEEvS10_
; %bb.0:
	.section	.rodata,"a",@progbits
	.p2align	6, 0x0
	.amdhsa_kernel _ZN7rocprim17ROCPRIM_400000_NS6detail17trampoline_kernelINS0_14default_configENS1_21merge_config_selectorINS0_5tupleIJddEEENS0_10empty_typeEEEZNS1_10merge_implIS3_NS0_12zip_iteratorINS5_IJN6thrust23THRUST_200600_302600_NS6detail15normal_iteratorINSC_10device_ptrIKdEEEESI_EEEEESK_NSA_INS5_IJNSE_INSF_IdEEEESM_EEEEEPS7_SP_SP_NSC_11hip_rocprim7__merge17predicate_wrapperIddNSC_4lessIdEEEEEE10hipError_tPvRmT0_T1_T2_T3_T4_T5_mmT6_P12ihipStream_tbEUlT_E_NS1_11comp_targetILNS1_3genE3ELNS1_11target_archE908ELNS1_3gpuE7ELNS1_3repE0EEENS1_30default_config_static_selectorELNS0_4arch9wavefront6targetE0EEEvS10_
		.amdhsa_group_segment_fixed_size 0
		.amdhsa_private_segment_fixed_size 0
		.amdhsa_kernarg_size 64
		.amdhsa_user_sgpr_count 2
		.amdhsa_user_sgpr_dispatch_ptr 0
		.amdhsa_user_sgpr_queue_ptr 0
		.amdhsa_user_sgpr_kernarg_segment_ptr 1
		.amdhsa_user_sgpr_dispatch_id 0
		.amdhsa_user_sgpr_kernarg_preload_length 0
		.amdhsa_user_sgpr_kernarg_preload_offset 0
		.amdhsa_user_sgpr_private_segment_size 0
		.amdhsa_wavefront_size32 1
		.amdhsa_uses_dynamic_stack 0
		.amdhsa_enable_private_segment 0
		.amdhsa_system_sgpr_workgroup_id_x 1
		.amdhsa_system_sgpr_workgroup_id_y 0
		.amdhsa_system_sgpr_workgroup_id_z 0
		.amdhsa_system_sgpr_workgroup_info 0
		.amdhsa_system_vgpr_workitem_id 0
		.amdhsa_next_free_vgpr 1
		.amdhsa_next_free_sgpr 1
		.amdhsa_named_barrier_count 0
		.amdhsa_reserve_vcc 0
		.amdhsa_float_round_mode_32 0
		.amdhsa_float_round_mode_16_64 0
		.amdhsa_float_denorm_mode_32 3
		.amdhsa_float_denorm_mode_16_64 3
		.amdhsa_fp16_overflow 0
		.amdhsa_memory_ordered 1
		.amdhsa_forward_progress 1
		.amdhsa_inst_pref_size 0
		.amdhsa_round_robin_scheduling 0
		.amdhsa_exception_fp_ieee_invalid_op 0
		.amdhsa_exception_fp_denorm_src 0
		.amdhsa_exception_fp_ieee_div_zero 0
		.amdhsa_exception_fp_ieee_overflow 0
		.amdhsa_exception_fp_ieee_underflow 0
		.amdhsa_exception_fp_ieee_inexact 0
		.amdhsa_exception_int_div_zero 0
	.end_amdhsa_kernel
	.section	.text._ZN7rocprim17ROCPRIM_400000_NS6detail17trampoline_kernelINS0_14default_configENS1_21merge_config_selectorINS0_5tupleIJddEEENS0_10empty_typeEEEZNS1_10merge_implIS3_NS0_12zip_iteratorINS5_IJN6thrust23THRUST_200600_302600_NS6detail15normal_iteratorINSC_10device_ptrIKdEEEESI_EEEEESK_NSA_INS5_IJNSE_INSF_IdEEEESM_EEEEEPS7_SP_SP_NSC_11hip_rocprim7__merge17predicate_wrapperIddNSC_4lessIdEEEEEE10hipError_tPvRmT0_T1_T2_T3_T4_T5_mmT6_P12ihipStream_tbEUlT_E_NS1_11comp_targetILNS1_3genE3ELNS1_11target_archE908ELNS1_3gpuE7ELNS1_3repE0EEENS1_30default_config_static_selectorELNS0_4arch9wavefront6targetE0EEEvS10_,"axG",@progbits,_ZN7rocprim17ROCPRIM_400000_NS6detail17trampoline_kernelINS0_14default_configENS1_21merge_config_selectorINS0_5tupleIJddEEENS0_10empty_typeEEEZNS1_10merge_implIS3_NS0_12zip_iteratorINS5_IJN6thrust23THRUST_200600_302600_NS6detail15normal_iteratorINSC_10device_ptrIKdEEEESI_EEEEESK_NSA_INS5_IJNSE_INSF_IdEEEESM_EEEEEPS7_SP_SP_NSC_11hip_rocprim7__merge17predicate_wrapperIddNSC_4lessIdEEEEEE10hipError_tPvRmT0_T1_T2_T3_T4_T5_mmT6_P12ihipStream_tbEUlT_E_NS1_11comp_targetILNS1_3genE3ELNS1_11target_archE908ELNS1_3gpuE7ELNS1_3repE0EEENS1_30default_config_static_selectorELNS0_4arch9wavefront6targetE0EEEvS10_,comdat
.Lfunc_end4:
	.size	_ZN7rocprim17ROCPRIM_400000_NS6detail17trampoline_kernelINS0_14default_configENS1_21merge_config_selectorINS0_5tupleIJddEEENS0_10empty_typeEEEZNS1_10merge_implIS3_NS0_12zip_iteratorINS5_IJN6thrust23THRUST_200600_302600_NS6detail15normal_iteratorINSC_10device_ptrIKdEEEESI_EEEEESK_NSA_INS5_IJNSE_INSF_IdEEEESM_EEEEEPS7_SP_SP_NSC_11hip_rocprim7__merge17predicate_wrapperIddNSC_4lessIdEEEEEE10hipError_tPvRmT0_T1_T2_T3_T4_T5_mmT6_P12ihipStream_tbEUlT_E_NS1_11comp_targetILNS1_3genE3ELNS1_11target_archE908ELNS1_3gpuE7ELNS1_3repE0EEENS1_30default_config_static_selectorELNS0_4arch9wavefront6targetE0EEEvS10_, .Lfunc_end4-_ZN7rocprim17ROCPRIM_400000_NS6detail17trampoline_kernelINS0_14default_configENS1_21merge_config_selectorINS0_5tupleIJddEEENS0_10empty_typeEEEZNS1_10merge_implIS3_NS0_12zip_iteratorINS5_IJN6thrust23THRUST_200600_302600_NS6detail15normal_iteratorINSC_10device_ptrIKdEEEESI_EEEEESK_NSA_INS5_IJNSE_INSF_IdEEEESM_EEEEEPS7_SP_SP_NSC_11hip_rocprim7__merge17predicate_wrapperIddNSC_4lessIdEEEEEE10hipError_tPvRmT0_T1_T2_T3_T4_T5_mmT6_P12ihipStream_tbEUlT_E_NS1_11comp_targetILNS1_3genE3ELNS1_11target_archE908ELNS1_3gpuE7ELNS1_3repE0EEENS1_30default_config_static_selectorELNS0_4arch9wavefront6targetE0EEEvS10_
                                        ; -- End function
	.set _ZN7rocprim17ROCPRIM_400000_NS6detail17trampoline_kernelINS0_14default_configENS1_21merge_config_selectorINS0_5tupleIJddEEENS0_10empty_typeEEEZNS1_10merge_implIS3_NS0_12zip_iteratorINS5_IJN6thrust23THRUST_200600_302600_NS6detail15normal_iteratorINSC_10device_ptrIKdEEEESI_EEEEESK_NSA_INS5_IJNSE_INSF_IdEEEESM_EEEEEPS7_SP_SP_NSC_11hip_rocprim7__merge17predicate_wrapperIddNSC_4lessIdEEEEEE10hipError_tPvRmT0_T1_T2_T3_T4_T5_mmT6_P12ihipStream_tbEUlT_E_NS1_11comp_targetILNS1_3genE3ELNS1_11target_archE908ELNS1_3gpuE7ELNS1_3repE0EEENS1_30default_config_static_selectorELNS0_4arch9wavefront6targetE0EEEvS10_.num_vgpr, 0
	.set _ZN7rocprim17ROCPRIM_400000_NS6detail17trampoline_kernelINS0_14default_configENS1_21merge_config_selectorINS0_5tupleIJddEEENS0_10empty_typeEEEZNS1_10merge_implIS3_NS0_12zip_iteratorINS5_IJN6thrust23THRUST_200600_302600_NS6detail15normal_iteratorINSC_10device_ptrIKdEEEESI_EEEEESK_NSA_INS5_IJNSE_INSF_IdEEEESM_EEEEEPS7_SP_SP_NSC_11hip_rocprim7__merge17predicate_wrapperIddNSC_4lessIdEEEEEE10hipError_tPvRmT0_T1_T2_T3_T4_T5_mmT6_P12ihipStream_tbEUlT_E_NS1_11comp_targetILNS1_3genE3ELNS1_11target_archE908ELNS1_3gpuE7ELNS1_3repE0EEENS1_30default_config_static_selectorELNS0_4arch9wavefront6targetE0EEEvS10_.num_agpr, 0
	.set _ZN7rocprim17ROCPRIM_400000_NS6detail17trampoline_kernelINS0_14default_configENS1_21merge_config_selectorINS0_5tupleIJddEEENS0_10empty_typeEEEZNS1_10merge_implIS3_NS0_12zip_iteratorINS5_IJN6thrust23THRUST_200600_302600_NS6detail15normal_iteratorINSC_10device_ptrIKdEEEESI_EEEEESK_NSA_INS5_IJNSE_INSF_IdEEEESM_EEEEEPS7_SP_SP_NSC_11hip_rocprim7__merge17predicate_wrapperIddNSC_4lessIdEEEEEE10hipError_tPvRmT0_T1_T2_T3_T4_T5_mmT6_P12ihipStream_tbEUlT_E_NS1_11comp_targetILNS1_3genE3ELNS1_11target_archE908ELNS1_3gpuE7ELNS1_3repE0EEENS1_30default_config_static_selectorELNS0_4arch9wavefront6targetE0EEEvS10_.numbered_sgpr, 0
	.set _ZN7rocprim17ROCPRIM_400000_NS6detail17trampoline_kernelINS0_14default_configENS1_21merge_config_selectorINS0_5tupleIJddEEENS0_10empty_typeEEEZNS1_10merge_implIS3_NS0_12zip_iteratorINS5_IJN6thrust23THRUST_200600_302600_NS6detail15normal_iteratorINSC_10device_ptrIKdEEEESI_EEEEESK_NSA_INS5_IJNSE_INSF_IdEEEESM_EEEEEPS7_SP_SP_NSC_11hip_rocprim7__merge17predicate_wrapperIddNSC_4lessIdEEEEEE10hipError_tPvRmT0_T1_T2_T3_T4_T5_mmT6_P12ihipStream_tbEUlT_E_NS1_11comp_targetILNS1_3genE3ELNS1_11target_archE908ELNS1_3gpuE7ELNS1_3repE0EEENS1_30default_config_static_selectorELNS0_4arch9wavefront6targetE0EEEvS10_.num_named_barrier, 0
	.set _ZN7rocprim17ROCPRIM_400000_NS6detail17trampoline_kernelINS0_14default_configENS1_21merge_config_selectorINS0_5tupleIJddEEENS0_10empty_typeEEEZNS1_10merge_implIS3_NS0_12zip_iteratorINS5_IJN6thrust23THRUST_200600_302600_NS6detail15normal_iteratorINSC_10device_ptrIKdEEEESI_EEEEESK_NSA_INS5_IJNSE_INSF_IdEEEESM_EEEEEPS7_SP_SP_NSC_11hip_rocprim7__merge17predicate_wrapperIddNSC_4lessIdEEEEEE10hipError_tPvRmT0_T1_T2_T3_T4_T5_mmT6_P12ihipStream_tbEUlT_E_NS1_11comp_targetILNS1_3genE3ELNS1_11target_archE908ELNS1_3gpuE7ELNS1_3repE0EEENS1_30default_config_static_selectorELNS0_4arch9wavefront6targetE0EEEvS10_.private_seg_size, 0
	.set _ZN7rocprim17ROCPRIM_400000_NS6detail17trampoline_kernelINS0_14default_configENS1_21merge_config_selectorINS0_5tupleIJddEEENS0_10empty_typeEEEZNS1_10merge_implIS3_NS0_12zip_iteratorINS5_IJN6thrust23THRUST_200600_302600_NS6detail15normal_iteratorINSC_10device_ptrIKdEEEESI_EEEEESK_NSA_INS5_IJNSE_INSF_IdEEEESM_EEEEEPS7_SP_SP_NSC_11hip_rocprim7__merge17predicate_wrapperIddNSC_4lessIdEEEEEE10hipError_tPvRmT0_T1_T2_T3_T4_T5_mmT6_P12ihipStream_tbEUlT_E_NS1_11comp_targetILNS1_3genE3ELNS1_11target_archE908ELNS1_3gpuE7ELNS1_3repE0EEENS1_30default_config_static_selectorELNS0_4arch9wavefront6targetE0EEEvS10_.uses_vcc, 0
	.set _ZN7rocprim17ROCPRIM_400000_NS6detail17trampoline_kernelINS0_14default_configENS1_21merge_config_selectorINS0_5tupleIJddEEENS0_10empty_typeEEEZNS1_10merge_implIS3_NS0_12zip_iteratorINS5_IJN6thrust23THRUST_200600_302600_NS6detail15normal_iteratorINSC_10device_ptrIKdEEEESI_EEEEESK_NSA_INS5_IJNSE_INSF_IdEEEESM_EEEEEPS7_SP_SP_NSC_11hip_rocprim7__merge17predicate_wrapperIddNSC_4lessIdEEEEEE10hipError_tPvRmT0_T1_T2_T3_T4_T5_mmT6_P12ihipStream_tbEUlT_E_NS1_11comp_targetILNS1_3genE3ELNS1_11target_archE908ELNS1_3gpuE7ELNS1_3repE0EEENS1_30default_config_static_selectorELNS0_4arch9wavefront6targetE0EEEvS10_.uses_flat_scratch, 0
	.set _ZN7rocprim17ROCPRIM_400000_NS6detail17trampoline_kernelINS0_14default_configENS1_21merge_config_selectorINS0_5tupleIJddEEENS0_10empty_typeEEEZNS1_10merge_implIS3_NS0_12zip_iteratorINS5_IJN6thrust23THRUST_200600_302600_NS6detail15normal_iteratorINSC_10device_ptrIKdEEEESI_EEEEESK_NSA_INS5_IJNSE_INSF_IdEEEESM_EEEEEPS7_SP_SP_NSC_11hip_rocprim7__merge17predicate_wrapperIddNSC_4lessIdEEEEEE10hipError_tPvRmT0_T1_T2_T3_T4_T5_mmT6_P12ihipStream_tbEUlT_E_NS1_11comp_targetILNS1_3genE3ELNS1_11target_archE908ELNS1_3gpuE7ELNS1_3repE0EEENS1_30default_config_static_selectorELNS0_4arch9wavefront6targetE0EEEvS10_.has_dyn_sized_stack, 0
	.set _ZN7rocprim17ROCPRIM_400000_NS6detail17trampoline_kernelINS0_14default_configENS1_21merge_config_selectorINS0_5tupleIJddEEENS0_10empty_typeEEEZNS1_10merge_implIS3_NS0_12zip_iteratorINS5_IJN6thrust23THRUST_200600_302600_NS6detail15normal_iteratorINSC_10device_ptrIKdEEEESI_EEEEESK_NSA_INS5_IJNSE_INSF_IdEEEESM_EEEEEPS7_SP_SP_NSC_11hip_rocprim7__merge17predicate_wrapperIddNSC_4lessIdEEEEEE10hipError_tPvRmT0_T1_T2_T3_T4_T5_mmT6_P12ihipStream_tbEUlT_E_NS1_11comp_targetILNS1_3genE3ELNS1_11target_archE908ELNS1_3gpuE7ELNS1_3repE0EEENS1_30default_config_static_selectorELNS0_4arch9wavefront6targetE0EEEvS10_.has_recursion, 0
	.set _ZN7rocprim17ROCPRIM_400000_NS6detail17trampoline_kernelINS0_14default_configENS1_21merge_config_selectorINS0_5tupleIJddEEENS0_10empty_typeEEEZNS1_10merge_implIS3_NS0_12zip_iteratorINS5_IJN6thrust23THRUST_200600_302600_NS6detail15normal_iteratorINSC_10device_ptrIKdEEEESI_EEEEESK_NSA_INS5_IJNSE_INSF_IdEEEESM_EEEEEPS7_SP_SP_NSC_11hip_rocprim7__merge17predicate_wrapperIddNSC_4lessIdEEEEEE10hipError_tPvRmT0_T1_T2_T3_T4_T5_mmT6_P12ihipStream_tbEUlT_E_NS1_11comp_targetILNS1_3genE3ELNS1_11target_archE908ELNS1_3gpuE7ELNS1_3repE0EEENS1_30default_config_static_selectorELNS0_4arch9wavefront6targetE0EEEvS10_.has_indirect_call, 0
	.section	.AMDGPU.csdata,"",@progbits
; Kernel info:
; codeLenInByte = 0
; TotalNumSgprs: 0
; NumVgprs: 0
; ScratchSize: 0
; MemoryBound: 0
; FloatMode: 240
; IeeeMode: 1
; LDSByteSize: 0 bytes/workgroup (compile time only)
; SGPRBlocks: 0
; VGPRBlocks: 0
; NumSGPRsForWavesPerEU: 1
; NumVGPRsForWavesPerEU: 1
; NamedBarCnt: 0
; Occupancy: 16
; WaveLimiterHint : 0
; COMPUTE_PGM_RSRC2:SCRATCH_EN: 0
; COMPUTE_PGM_RSRC2:USER_SGPR: 2
; COMPUTE_PGM_RSRC2:TRAP_HANDLER: 0
; COMPUTE_PGM_RSRC2:TGID_X_EN: 1
; COMPUTE_PGM_RSRC2:TGID_Y_EN: 0
; COMPUTE_PGM_RSRC2:TGID_Z_EN: 0
; COMPUTE_PGM_RSRC2:TIDIG_COMP_CNT: 0
	.section	.text._ZN7rocprim17ROCPRIM_400000_NS6detail17trampoline_kernelINS0_14default_configENS1_21merge_config_selectorINS0_5tupleIJddEEENS0_10empty_typeEEEZNS1_10merge_implIS3_NS0_12zip_iteratorINS5_IJN6thrust23THRUST_200600_302600_NS6detail15normal_iteratorINSC_10device_ptrIKdEEEESI_EEEEESK_NSA_INS5_IJNSE_INSF_IdEEEESM_EEEEEPS7_SP_SP_NSC_11hip_rocprim7__merge17predicate_wrapperIddNSC_4lessIdEEEEEE10hipError_tPvRmT0_T1_T2_T3_T4_T5_mmT6_P12ihipStream_tbEUlT_E_NS1_11comp_targetILNS1_3genE2ELNS1_11target_archE906ELNS1_3gpuE6ELNS1_3repE0EEENS1_30default_config_static_selectorELNS0_4arch9wavefront6targetE0EEEvS10_,"axG",@progbits,_ZN7rocprim17ROCPRIM_400000_NS6detail17trampoline_kernelINS0_14default_configENS1_21merge_config_selectorINS0_5tupleIJddEEENS0_10empty_typeEEEZNS1_10merge_implIS3_NS0_12zip_iteratorINS5_IJN6thrust23THRUST_200600_302600_NS6detail15normal_iteratorINSC_10device_ptrIKdEEEESI_EEEEESK_NSA_INS5_IJNSE_INSF_IdEEEESM_EEEEEPS7_SP_SP_NSC_11hip_rocprim7__merge17predicate_wrapperIddNSC_4lessIdEEEEEE10hipError_tPvRmT0_T1_T2_T3_T4_T5_mmT6_P12ihipStream_tbEUlT_E_NS1_11comp_targetILNS1_3genE2ELNS1_11target_archE906ELNS1_3gpuE6ELNS1_3repE0EEENS1_30default_config_static_selectorELNS0_4arch9wavefront6targetE0EEEvS10_,comdat
	.protected	_ZN7rocprim17ROCPRIM_400000_NS6detail17trampoline_kernelINS0_14default_configENS1_21merge_config_selectorINS0_5tupleIJddEEENS0_10empty_typeEEEZNS1_10merge_implIS3_NS0_12zip_iteratorINS5_IJN6thrust23THRUST_200600_302600_NS6detail15normal_iteratorINSC_10device_ptrIKdEEEESI_EEEEESK_NSA_INS5_IJNSE_INSF_IdEEEESM_EEEEEPS7_SP_SP_NSC_11hip_rocprim7__merge17predicate_wrapperIddNSC_4lessIdEEEEEE10hipError_tPvRmT0_T1_T2_T3_T4_T5_mmT6_P12ihipStream_tbEUlT_E_NS1_11comp_targetILNS1_3genE2ELNS1_11target_archE906ELNS1_3gpuE6ELNS1_3repE0EEENS1_30default_config_static_selectorELNS0_4arch9wavefront6targetE0EEEvS10_ ; -- Begin function _ZN7rocprim17ROCPRIM_400000_NS6detail17trampoline_kernelINS0_14default_configENS1_21merge_config_selectorINS0_5tupleIJddEEENS0_10empty_typeEEEZNS1_10merge_implIS3_NS0_12zip_iteratorINS5_IJN6thrust23THRUST_200600_302600_NS6detail15normal_iteratorINSC_10device_ptrIKdEEEESI_EEEEESK_NSA_INS5_IJNSE_INSF_IdEEEESM_EEEEEPS7_SP_SP_NSC_11hip_rocprim7__merge17predicate_wrapperIddNSC_4lessIdEEEEEE10hipError_tPvRmT0_T1_T2_T3_T4_T5_mmT6_P12ihipStream_tbEUlT_E_NS1_11comp_targetILNS1_3genE2ELNS1_11target_archE906ELNS1_3gpuE6ELNS1_3repE0EEENS1_30default_config_static_selectorELNS0_4arch9wavefront6targetE0EEEvS10_
	.globl	_ZN7rocprim17ROCPRIM_400000_NS6detail17trampoline_kernelINS0_14default_configENS1_21merge_config_selectorINS0_5tupleIJddEEENS0_10empty_typeEEEZNS1_10merge_implIS3_NS0_12zip_iteratorINS5_IJN6thrust23THRUST_200600_302600_NS6detail15normal_iteratorINSC_10device_ptrIKdEEEESI_EEEEESK_NSA_INS5_IJNSE_INSF_IdEEEESM_EEEEEPS7_SP_SP_NSC_11hip_rocprim7__merge17predicate_wrapperIddNSC_4lessIdEEEEEE10hipError_tPvRmT0_T1_T2_T3_T4_T5_mmT6_P12ihipStream_tbEUlT_E_NS1_11comp_targetILNS1_3genE2ELNS1_11target_archE906ELNS1_3gpuE6ELNS1_3repE0EEENS1_30default_config_static_selectorELNS0_4arch9wavefront6targetE0EEEvS10_
	.p2align	8
	.type	_ZN7rocprim17ROCPRIM_400000_NS6detail17trampoline_kernelINS0_14default_configENS1_21merge_config_selectorINS0_5tupleIJddEEENS0_10empty_typeEEEZNS1_10merge_implIS3_NS0_12zip_iteratorINS5_IJN6thrust23THRUST_200600_302600_NS6detail15normal_iteratorINSC_10device_ptrIKdEEEESI_EEEEESK_NSA_INS5_IJNSE_INSF_IdEEEESM_EEEEEPS7_SP_SP_NSC_11hip_rocprim7__merge17predicate_wrapperIddNSC_4lessIdEEEEEE10hipError_tPvRmT0_T1_T2_T3_T4_T5_mmT6_P12ihipStream_tbEUlT_E_NS1_11comp_targetILNS1_3genE2ELNS1_11target_archE906ELNS1_3gpuE6ELNS1_3repE0EEENS1_30default_config_static_selectorELNS0_4arch9wavefront6targetE0EEEvS10_,@function
_ZN7rocprim17ROCPRIM_400000_NS6detail17trampoline_kernelINS0_14default_configENS1_21merge_config_selectorINS0_5tupleIJddEEENS0_10empty_typeEEEZNS1_10merge_implIS3_NS0_12zip_iteratorINS5_IJN6thrust23THRUST_200600_302600_NS6detail15normal_iteratorINSC_10device_ptrIKdEEEESI_EEEEESK_NSA_INS5_IJNSE_INSF_IdEEEESM_EEEEEPS7_SP_SP_NSC_11hip_rocprim7__merge17predicate_wrapperIddNSC_4lessIdEEEEEE10hipError_tPvRmT0_T1_T2_T3_T4_T5_mmT6_P12ihipStream_tbEUlT_E_NS1_11comp_targetILNS1_3genE2ELNS1_11target_archE906ELNS1_3gpuE6ELNS1_3repE0EEENS1_30default_config_static_selectorELNS0_4arch9wavefront6targetE0EEEvS10_: ; @_ZN7rocprim17ROCPRIM_400000_NS6detail17trampoline_kernelINS0_14default_configENS1_21merge_config_selectorINS0_5tupleIJddEEENS0_10empty_typeEEEZNS1_10merge_implIS3_NS0_12zip_iteratorINS5_IJN6thrust23THRUST_200600_302600_NS6detail15normal_iteratorINSC_10device_ptrIKdEEEESI_EEEEESK_NSA_INS5_IJNSE_INSF_IdEEEESM_EEEEEPS7_SP_SP_NSC_11hip_rocprim7__merge17predicate_wrapperIddNSC_4lessIdEEEEEE10hipError_tPvRmT0_T1_T2_T3_T4_T5_mmT6_P12ihipStream_tbEUlT_E_NS1_11comp_targetILNS1_3genE2ELNS1_11target_archE906ELNS1_3gpuE6ELNS1_3repE0EEENS1_30default_config_static_selectorELNS0_4arch9wavefront6targetE0EEEvS10_
; %bb.0:
	.section	.rodata,"a",@progbits
	.p2align	6, 0x0
	.amdhsa_kernel _ZN7rocprim17ROCPRIM_400000_NS6detail17trampoline_kernelINS0_14default_configENS1_21merge_config_selectorINS0_5tupleIJddEEENS0_10empty_typeEEEZNS1_10merge_implIS3_NS0_12zip_iteratorINS5_IJN6thrust23THRUST_200600_302600_NS6detail15normal_iteratorINSC_10device_ptrIKdEEEESI_EEEEESK_NSA_INS5_IJNSE_INSF_IdEEEESM_EEEEEPS7_SP_SP_NSC_11hip_rocprim7__merge17predicate_wrapperIddNSC_4lessIdEEEEEE10hipError_tPvRmT0_T1_T2_T3_T4_T5_mmT6_P12ihipStream_tbEUlT_E_NS1_11comp_targetILNS1_3genE2ELNS1_11target_archE906ELNS1_3gpuE6ELNS1_3repE0EEENS1_30default_config_static_selectorELNS0_4arch9wavefront6targetE0EEEvS10_
		.amdhsa_group_segment_fixed_size 0
		.amdhsa_private_segment_fixed_size 0
		.amdhsa_kernarg_size 64
		.amdhsa_user_sgpr_count 2
		.amdhsa_user_sgpr_dispatch_ptr 0
		.amdhsa_user_sgpr_queue_ptr 0
		.amdhsa_user_sgpr_kernarg_segment_ptr 1
		.amdhsa_user_sgpr_dispatch_id 0
		.amdhsa_user_sgpr_kernarg_preload_length 0
		.amdhsa_user_sgpr_kernarg_preload_offset 0
		.amdhsa_user_sgpr_private_segment_size 0
		.amdhsa_wavefront_size32 1
		.amdhsa_uses_dynamic_stack 0
		.amdhsa_enable_private_segment 0
		.amdhsa_system_sgpr_workgroup_id_x 1
		.amdhsa_system_sgpr_workgroup_id_y 0
		.amdhsa_system_sgpr_workgroup_id_z 0
		.amdhsa_system_sgpr_workgroup_info 0
		.amdhsa_system_vgpr_workitem_id 0
		.amdhsa_next_free_vgpr 1
		.amdhsa_next_free_sgpr 1
		.amdhsa_named_barrier_count 0
		.amdhsa_reserve_vcc 0
		.amdhsa_float_round_mode_32 0
		.amdhsa_float_round_mode_16_64 0
		.amdhsa_float_denorm_mode_32 3
		.amdhsa_float_denorm_mode_16_64 3
		.amdhsa_fp16_overflow 0
		.amdhsa_memory_ordered 1
		.amdhsa_forward_progress 1
		.amdhsa_inst_pref_size 0
		.amdhsa_round_robin_scheduling 0
		.amdhsa_exception_fp_ieee_invalid_op 0
		.amdhsa_exception_fp_denorm_src 0
		.amdhsa_exception_fp_ieee_div_zero 0
		.amdhsa_exception_fp_ieee_overflow 0
		.amdhsa_exception_fp_ieee_underflow 0
		.amdhsa_exception_fp_ieee_inexact 0
		.amdhsa_exception_int_div_zero 0
	.end_amdhsa_kernel
	.section	.text._ZN7rocprim17ROCPRIM_400000_NS6detail17trampoline_kernelINS0_14default_configENS1_21merge_config_selectorINS0_5tupleIJddEEENS0_10empty_typeEEEZNS1_10merge_implIS3_NS0_12zip_iteratorINS5_IJN6thrust23THRUST_200600_302600_NS6detail15normal_iteratorINSC_10device_ptrIKdEEEESI_EEEEESK_NSA_INS5_IJNSE_INSF_IdEEEESM_EEEEEPS7_SP_SP_NSC_11hip_rocprim7__merge17predicate_wrapperIddNSC_4lessIdEEEEEE10hipError_tPvRmT0_T1_T2_T3_T4_T5_mmT6_P12ihipStream_tbEUlT_E_NS1_11comp_targetILNS1_3genE2ELNS1_11target_archE906ELNS1_3gpuE6ELNS1_3repE0EEENS1_30default_config_static_selectorELNS0_4arch9wavefront6targetE0EEEvS10_,"axG",@progbits,_ZN7rocprim17ROCPRIM_400000_NS6detail17trampoline_kernelINS0_14default_configENS1_21merge_config_selectorINS0_5tupleIJddEEENS0_10empty_typeEEEZNS1_10merge_implIS3_NS0_12zip_iteratorINS5_IJN6thrust23THRUST_200600_302600_NS6detail15normal_iteratorINSC_10device_ptrIKdEEEESI_EEEEESK_NSA_INS5_IJNSE_INSF_IdEEEESM_EEEEEPS7_SP_SP_NSC_11hip_rocprim7__merge17predicate_wrapperIddNSC_4lessIdEEEEEE10hipError_tPvRmT0_T1_T2_T3_T4_T5_mmT6_P12ihipStream_tbEUlT_E_NS1_11comp_targetILNS1_3genE2ELNS1_11target_archE906ELNS1_3gpuE6ELNS1_3repE0EEENS1_30default_config_static_selectorELNS0_4arch9wavefront6targetE0EEEvS10_,comdat
.Lfunc_end5:
	.size	_ZN7rocprim17ROCPRIM_400000_NS6detail17trampoline_kernelINS0_14default_configENS1_21merge_config_selectorINS0_5tupleIJddEEENS0_10empty_typeEEEZNS1_10merge_implIS3_NS0_12zip_iteratorINS5_IJN6thrust23THRUST_200600_302600_NS6detail15normal_iteratorINSC_10device_ptrIKdEEEESI_EEEEESK_NSA_INS5_IJNSE_INSF_IdEEEESM_EEEEEPS7_SP_SP_NSC_11hip_rocprim7__merge17predicate_wrapperIddNSC_4lessIdEEEEEE10hipError_tPvRmT0_T1_T2_T3_T4_T5_mmT6_P12ihipStream_tbEUlT_E_NS1_11comp_targetILNS1_3genE2ELNS1_11target_archE906ELNS1_3gpuE6ELNS1_3repE0EEENS1_30default_config_static_selectorELNS0_4arch9wavefront6targetE0EEEvS10_, .Lfunc_end5-_ZN7rocprim17ROCPRIM_400000_NS6detail17trampoline_kernelINS0_14default_configENS1_21merge_config_selectorINS0_5tupleIJddEEENS0_10empty_typeEEEZNS1_10merge_implIS3_NS0_12zip_iteratorINS5_IJN6thrust23THRUST_200600_302600_NS6detail15normal_iteratorINSC_10device_ptrIKdEEEESI_EEEEESK_NSA_INS5_IJNSE_INSF_IdEEEESM_EEEEEPS7_SP_SP_NSC_11hip_rocprim7__merge17predicate_wrapperIddNSC_4lessIdEEEEEE10hipError_tPvRmT0_T1_T2_T3_T4_T5_mmT6_P12ihipStream_tbEUlT_E_NS1_11comp_targetILNS1_3genE2ELNS1_11target_archE906ELNS1_3gpuE6ELNS1_3repE0EEENS1_30default_config_static_selectorELNS0_4arch9wavefront6targetE0EEEvS10_
                                        ; -- End function
	.set _ZN7rocprim17ROCPRIM_400000_NS6detail17trampoline_kernelINS0_14default_configENS1_21merge_config_selectorINS0_5tupleIJddEEENS0_10empty_typeEEEZNS1_10merge_implIS3_NS0_12zip_iteratorINS5_IJN6thrust23THRUST_200600_302600_NS6detail15normal_iteratorINSC_10device_ptrIKdEEEESI_EEEEESK_NSA_INS5_IJNSE_INSF_IdEEEESM_EEEEEPS7_SP_SP_NSC_11hip_rocprim7__merge17predicate_wrapperIddNSC_4lessIdEEEEEE10hipError_tPvRmT0_T1_T2_T3_T4_T5_mmT6_P12ihipStream_tbEUlT_E_NS1_11comp_targetILNS1_3genE2ELNS1_11target_archE906ELNS1_3gpuE6ELNS1_3repE0EEENS1_30default_config_static_selectorELNS0_4arch9wavefront6targetE0EEEvS10_.num_vgpr, 0
	.set _ZN7rocprim17ROCPRIM_400000_NS6detail17trampoline_kernelINS0_14default_configENS1_21merge_config_selectorINS0_5tupleIJddEEENS0_10empty_typeEEEZNS1_10merge_implIS3_NS0_12zip_iteratorINS5_IJN6thrust23THRUST_200600_302600_NS6detail15normal_iteratorINSC_10device_ptrIKdEEEESI_EEEEESK_NSA_INS5_IJNSE_INSF_IdEEEESM_EEEEEPS7_SP_SP_NSC_11hip_rocprim7__merge17predicate_wrapperIddNSC_4lessIdEEEEEE10hipError_tPvRmT0_T1_T2_T3_T4_T5_mmT6_P12ihipStream_tbEUlT_E_NS1_11comp_targetILNS1_3genE2ELNS1_11target_archE906ELNS1_3gpuE6ELNS1_3repE0EEENS1_30default_config_static_selectorELNS0_4arch9wavefront6targetE0EEEvS10_.num_agpr, 0
	.set _ZN7rocprim17ROCPRIM_400000_NS6detail17trampoline_kernelINS0_14default_configENS1_21merge_config_selectorINS0_5tupleIJddEEENS0_10empty_typeEEEZNS1_10merge_implIS3_NS0_12zip_iteratorINS5_IJN6thrust23THRUST_200600_302600_NS6detail15normal_iteratorINSC_10device_ptrIKdEEEESI_EEEEESK_NSA_INS5_IJNSE_INSF_IdEEEESM_EEEEEPS7_SP_SP_NSC_11hip_rocprim7__merge17predicate_wrapperIddNSC_4lessIdEEEEEE10hipError_tPvRmT0_T1_T2_T3_T4_T5_mmT6_P12ihipStream_tbEUlT_E_NS1_11comp_targetILNS1_3genE2ELNS1_11target_archE906ELNS1_3gpuE6ELNS1_3repE0EEENS1_30default_config_static_selectorELNS0_4arch9wavefront6targetE0EEEvS10_.numbered_sgpr, 0
	.set _ZN7rocprim17ROCPRIM_400000_NS6detail17trampoline_kernelINS0_14default_configENS1_21merge_config_selectorINS0_5tupleIJddEEENS0_10empty_typeEEEZNS1_10merge_implIS3_NS0_12zip_iteratorINS5_IJN6thrust23THRUST_200600_302600_NS6detail15normal_iteratorINSC_10device_ptrIKdEEEESI_EEEEESK_NSA_INS5_IJNSE_INSF_IdEEEESM_EEEEEPS7_SP_SP_NSC_11hip_rocprim7__merge17predicate_wrapperIddNSC_4lessIdEEEEEE10hipError_tPvRmT0_T1_T2_T3_T4_T5_mmT6_P12ihipStream_tbEUlT_E_NS1_11comp_targetILNS1_3genE2ELNS1_11target_archE906ELNS1_3gpuE6ELNS1_3repE0EEENS1_30default_config_static_selectorELNS0_4arch9wavefront6targetE0EEEvS10_.num_named_barrier, 0
	.set _ZN7rocprim17ROCPRIM_400000_NS6detail17trampoline_kernelINS0_14default_configENS1_21merge_config_selectorINS0_5tupleIJddEEENS0_10empty_typeEEEZNS1_10merge_implIS3_NS0_12zip_iteratorINS5_IJN6thrust23THRUST_200600_302600_NS6detail15normal_iteratorINSC_10device_ptrIKdEEEESI_EEEEESK_NSA_INS5_IJNSE_INSF_IdEEEESM_EEEEEPS7_SP_SP_NSC_11hip_rocprim7__merge17predicate_wrapperIddNSC_4lessIdEEEEEE10hipError_tPvRmT0_T1_T2_T3_T4_T5_mmT6_P12ihipStream_tbEUlT_E_NS1_11comp_targetILNS1_3genE2ELNS1_11target_archE906ELNS1_3gpuE6ELNS1_3repE0EEENS1_30default_config_static_selectorELNS0_4arch9wavefront6targetE0EEEvS10_.private_seg_size, 0
	.set _ZN7rocprim17ROCPRIM_400000_NS6detail17trampoline_kernelINS0_14default_configENS1_21merge_config_selectorINS0_5tupleIJddEEENS0_10empty_typeEEEZNS1_10merge_implIS3_NS0_12zip_iteratorINS5_IJN6thrust23THRUST_200600_302600_NS6detail15normal_iteratorINSC_10device_ptrIKdEEEESI_EEEEESK_NSA_INS5_IJNSE_INSF_IdEEEESM_EEEEEPS7_SP_SP_NSC_11hip_rocprim7__merge17predicate_wrapperIddNSC_4lessIdEEEEEE10hipError_tPvRmT0_T1_T2_T3_T4_T5_mmT6_P12ihipStream_tbEUlT_E_NS1_11comp_targetILNS1_3genE2ELNS1_11target_archE906ELNS1_3gpuE6ELNS1_3repE0EEENS1_30default_config_static_selectorELNS0_4arch9wavefront6targetE0EEEvS10_.uses_vcc, 0
	.set _ZN7rocprim17ROCPRIM_400000_NS6detail17trampoline_kernelINS0_14default_configENS1_21merge_config_selectorINS0_5tupleIJddEEENS0_10empty_typeEEEZNS1_10merge_implIS3_NS0_12zip_iteratorINS5_IJN6thrust23THRUST_200600_302600_NS6detail15normal_iteratorINSC_10device_ptrIKdEEEESI_EEEEESK_NSA_INS5_IJNSE_INSF_IdEEEESM_EEEEEPS7_SP_SP_NSC_11hip_rocprim7__merge17predicate_wrapperIddNSC_4lessIdEEEEEE10hipError_tPvRmT0_T1_T2_T3_T4_T5_mmT6_P12ihipStream_tbEUlT_E_NS1_11comp_targetILNS1_3genE2ELNS1_11target_archE906ELNS1_3gpuE6ELNS1_3repE0EEENS1_30default_config_static_selectorELNS0_4arch9wavefront6targetE0EEEvS10_.uses_flat_scratch, 0
	.set _ZN7rocprim17ROCPRIM_400000_NS6detail17trampoline_kernelINS0_14default_configENS1_21merge_config_selectorINS0_5tupleIJddEEENS0_10empty_typeEEEZNS1_10merge_implIS3_NS0_12zip_iteratorINS5_IJN6thrust23THRUST_200600_302600_NS6detail15normal_iteratorINSC_10device_ptrIKdEEEESI_EEEEESK_NSA_INS5_IJNSE_INSF_IdEEEESM_EEEEEPS7_SP_SP_NSC_11hip_rocprim7__merge17predicate_wrapperIddNSC_4lessIdEEEEEE10hipError_tPvRmT0_T1_T2_T3_T4_T5_mmT6_P12ihipStream_tbEUlT_E_NS1_11comp_targetILNS1_3genE2ELNS1_11target_archE906ELNS1_3gpuE6ELNS1_3repE0EEENS1_30default_config_static_selectorELNS0_4arch9wavefront6targetE0EEEvS10_.has_dyn_sized_stack, 0
	.set _ZN7rocprim17ROCPRIM_400000_NS6detail17trampoline_kernelINS0_14default_configENS1_21merge_config_selectorINS0_5tupleIJddEEENS0_10empty_typeEEEZNS1_10merge_implIS3_NS0_12zip_iteratorINS5_IJN6thrust23THRUST_200600_302600_NS6detail15normal_iteratorINSC_10device_ptrIKdEEEESI_EEEEESK_NSA_INS5_IJNSE_INSF_IdEEEESM_EEEEEPS7_SP_SP_NSC_11hip_rocprim7__merge17predicate_wrapperIddNSC_4lessIdEEEEEE10hipError_tPvRmT0_T1_T2_T3_T4_T5_mmT6_P12ihipStream_tbEUlT_E_NS1_11comp_targetILNS1_3genE2ELNS1_11target_archE906ELNS1_3gpuE6ELNS1_3repE0EEENS1_30default_config_static_selectorELNS0_4arch9wavefront6targetE0EEEvS10_.has_recursion, 0
	.set _ZN7rocprim17ROCPRIM_400000_NS6detail17trampoline_kernelINS0_14default_configENS1_21merge_config_selectorINS0_5tupleIJddEEENS0_10empty_typeEEEZNS1_10merge_implIS3_NS0_12zip_iteratorINS5_IJN6thrust23THRUST_200600_302600_NS6detail15normal_iteratorINSC_10device_ptrIKdEEEESI_EEEEESK_NSA_INS5_IJNSE_INSF_IdEEEESM_EEEEEPS7_SP_SP_NSC_11hip_rocprim7__merge17predicate_wrapperIddNSC_4lessIdEEEEEE10hipError_tPvRmT0_T1_T2_T3_T4_T5_mmT6_P12ihipStream_tbEUlT_E_NS1_11comp_targetILNS1_3genE2ELNS1_11target_archE906ELNS1_3gpuE6ELNS1_3repE0EEENS1_30default_config_static_selectorELNS0_4arch9wavefront6targetE0EEEvS10_.has_indirect_call, 0
	.section	.AMDGPU.csdata,"",@progbits
; Kernel info:
; codeLenInByte = 0
; TotalNumSgprs: 0
; NumVgprs: 0
; ScratchSize: 0
; MemoryBound: 0
; FloatMode: 240
; IeeeMode: 1
; LDSByteSize: 0 bytes/workgroup (compile time only)
; SGPRBlocks: 0
; VGPRBlocks: 0
; NumSGPRsForWavesPerEU: 1
; NumVGPRsForWavesPerEU: 1
; NamedBarCnt: 0
; Occupancy: 16
; WaveLimiterHint : 0
; COMPUTE_PGM_RSRC2:SCRATCH_EN: 0
; COMPUTE_PGM_RSRC2:USER_SGPR: 2
; COMPUTE_PGM_RSRC2:TRAP_HANDLER: 0
; COMPUTE_PGM_RSRC2:TGID_X_EN: 1
; COMPUTE_PGM_RSRC2:TGID_Y_EN: 0
; COMPUTE_PGM_RSRC2:TGID_Z_EN: 0
; COMPUTE_PGM_RSRC2:TIDIG_COMP_CNT: 0
	.section	.text._ZN7rocprim17ROCPRIM_400000_NS6detail17trampoline_kernelINS0_14default_configENS1_21merge_config_selectorINS0_5tupleIJddEEENS0_10empty_typeEEEZNS1_10merge_implIS3_NS0_12zip_iteratorINS5_IJN6thrust23THRUST_200600_302600_NS6detail15normal_iteratorINSC_10device_ptrIKdEEEESI_EEEEESK_NSA_INS5_IJNSE_INSF_IdEEEESM_EEEEEPS7_SP_SP_NSC_11hip_rocprim7__merge17predicate_wrapperIddNSC_4lessIdEEEEEE10hipError_tPvRmT0_T1_T2_T3_T4_T5_mmT6_P12ihipStream_tbEUlT_E_NS1_11comp_targetILNS1_3genE10ELNS1_11target_archE1201ELNS1_3gpuE5ELNS1_3repE0EEENS1_30default_config_static_selectorELNS0_4arch9wavefront6targetE0EEEvS10_,"axG",@progbits,_ZN7rocprim17ROCPRIM_400000_NS6detail17trampoline_kernelINS0_14default_configENS1_21merge_config_selectorINS0_5tupleIJddEEENS0_10empty_typeEEEZNS1_10merge_implIS3_NS0_12zip_iteratorINS5_IJN6thrust23THRUST_200600_302600_NS6detail15normal_iteratorINSC_10device_ptrIKdEEEESI_EEEEESK_NSA_INS5_IJNSE_INSF_IdEEEESM_EEEEEPS7_SP_SP_NSC_11hip_rocprim7__merge17predicate_wrapperIddNSC_4lessIdEEEEEE10hipError_tPvRmT0_T1_T2_T3_T4_T5_mmT6_P12ihipStream_tbEUlT_E_NS1_11comp_targetILNS1_3genE10ELNS1_11target_archE1201ELNS1_3gpuE5ELNS1_3repE0EEENS1_30default_config_static_selectorELNS0_4arch9wavefront6targetE0EEEvS10_,comdat
	.protected	_ZN7rocprim17ROCPRIM_400000_NS6detail17trampoline_kernelINS0_14default_configENS1_21merge_config_selectorINS0_5tupleIJddEEENS0_10empty_typeEEEZNS1_10merge_implIS3_NS0_12zip_iteratorINS5_IJN6thrust23THRUST_200600_302600_NS6detail15normal_iteratorINSC_10device_ptrIKdEEEESI_EEEEESK_NSA_INS5_IJNSE_INSF_IdEEEESM_EEEEEPS7_SP_SP_NSC_11hip_rocprim7__merge17predicate_wrapperIddNSC_4lessIdEEEEEE10hipError_tPvRmT0_T1_T2_T3_T4_T5_mmT6_P12ihipStream_tbEUlT_E_NS1_11comp_targetILNS1_3genE10ELNS1_11target_archE1201ELNS1_3gpuE5ELNS1_3repE0EEENS1_30default_config_static_selectorELNS0_4arch9wavefront6targetE0EEEvS10_ ; -- Begin function _ZN7rocprim17ROCPRIM_400000_NS6detail17trampoline_kernelINS0_14default_configENS1_21merge_config_selectorINS0_5tupleIJddEEENS0_10empty_typeEEEZNS1_10merge_implIS3_NS0_12zip_iteratorINS5_IJN6thrust23THRUST_200600_302600_NS6detail15normal_iteratorINSC_10device_ptrIKdEEEESI_EEEEESK_NSA_INS5_IJNSE_INSF_IdEEEESM_EEEEEPS7_SP_SP_NSC_11hip_rocprim7__merge17predicate_wrapperIddNSC_4lessIdEEEEEE10hipError_tPvRmT0_T1_T2_T3_T4_T5_mmT6_P12ihipStream_tbEUlT_E_NS1_11comp_targetILNS1_3genE10ELNS1_11target_archE1201ELNS1_3gpuE5ELNS1_3repE0EEENS1_30default_config_static_selectorELNS0_4arch9wavefront6targetE0EEEvS10_
	.globl	_ZN7rocprim17ROCPRIM_400000_NS6detail17trampoline_kernelINS0_14default_configENS1_21merge_config_selectorINS0_5tupleIJddEEENS0_10empty_typeEEEZNS1_10merge_implIS3_NS0_12zip_iteratorINS5_IJN6thrust23THRUST_200600_302600_NS6detail15normal_iteratorINSC_10device_ptrIKdEEEESI_EEEEESK_NSA_INS5_IJNSE_INSF_IdEEEESM_EEEEEPS7_SP_SP_NSC_11hip_rocprim7__merge17predicate_wrapperIddNSC_4lessIdEEEEEE10hipError_tPvRmT0_T1_T2_T3_T4_T5_mmT6_P12ihipStream_tbEUlT_E_NS1_11comp_targetILNS1_3genE10ELNS1_11target_archE1201ELNS1_3gpuE5ELNS1_3repE0EEENS1_30default_config_static_selectorELNS0_4arch9wavefront6targetE0EEEvS10_
	.p2align	8
	.type	_ZN7rocprim17ROCPRIM_400000_NS6detail17trampoline_kernelINS0_14default_configENS1_21merge_config_selectorINS0_5tupleIJddEEENS0_10empty_typeEEEZNS1_10merge_implIS3_NS0_12zip_iteratorINS5_IJN6thrust23THRUST_200600_302600_NS6detail15normal_iteratorINSC_10device_ptrIKdEEEESI_EEEEESK_NSA_INS5_IJNSE_INSF_IdEEEESM_EEEEEPS7_SP_SP_NSC_11hip_rocprim7__merge17predicate_wrapperIddNSC_4lessIdEEEEEE10hipError_tPvRmT0_T1_T2_T3_T4_T5_mmT6_P12ihipStream_tbEUlT_E_NS1_11comp_targetILNS1_3genE10ELNS1_11target_archE1201ELNS1_3gpuE5ELNS1_3repE0EEENS1_30default_config_static_selectorELNS0_4arch9wavefront6targetE0EEEvS10_,@function
_ZN7rocprim17ROCPRIM_400000_NS6detail17trampoline_kernelINS0_14default_configENS1_21merge_config_selectorINS0_5tupleIJddEEENS0_10empty_typeEEEZNS1_10merge_implIS3_NS0_12zip_iteratorINS5_IJN6thrust23THRUST_200600_302600_NS6detail15normal_iteratorINSC_10device_ptrIKdEEEESI_EEEEESK_NSA_INS5_IJNSE_INSF_IdEEEESM_EEEEEPS7_SP_SP_NSC_11hip_rocprim7__merge17predicate_wrapperIddNSC_4lessIdEEEEEE10hipError_tPvRmT0_T1_T2_T3_T4_T5_mmT6_P12ihipStream_tbEUlT_E_NS1_11comp_targetILNS1_3genE10ELNS1_11target_archE1201ELNS1_3gpuE5ELNS1_3repE0EEENS1_30default_config_static_selectorELNS0_4arch9wavefront6targetE0EEEvS10_: ; @_ZN7rocprim17ROCPRIM_400000_NS6detail17trampoline_kernelINS0_14default_configENS1_21merge_config_selectorINS0_5tupleIJddEEENS0_10empty_typeEEEZNS1_10merge_implIS3_NS0_12zip_iteratorINS5_IJN6thrust23THRUST_200600_302600_NS6detail15normal_iteratorINSC_10device_ptrIKdEEEESI_EEEEESK_NSA_INS5_IJNSE_INSF_IdEEEESM_EEEEEPS7_SP_SP_NSC_11hip_rocprim7__merge17predicate_wrapperIddNSC_4lessIdEEEEEE10hipError_tPvRmT0_T1_T2_T3_T4_T5_mmT6_P12ihipStream_tbEUlT_E_NS1_11comp_targetILNS1_3genE10ELNS1_11target_archE1201ELNS1_3gpuE5ELNS1_3repE0EEENS1_30default_config_static_selectorELNS0_4arch9wavefront6targetE0EEEvS10_
; %bb.0:
	.section	.rodata,"a",@progbits
	.p2align	6, 0x0
	.amdhsa_kernel _ZN7rocprim17ROCPRIM_400000_NS6detail17trampoline_kernelINS0_14default_configENS1_21merge_config_selectorINS0_5tupleIJddEEENS0_10empty_typeEEEZNS1_10merge_implIS3_NS0_12zip_iteratorINS5_IJN6thrust23THRUST_200600_302600_NS6detail15normal_iteratorINSC_10device_ptrIKdEEEESI_EEEEESK_NSA_INS5_IJNSE_INSF_IdEEEESM_EEEEEPS7_SP_SP_NSC_11hip_rocprim7__merge17predicate_wrapperIddNSC_4lessIdEEEEEE10hipError_tPvRmT0_T1_T2_T3_T4_T5_mmT6_P12ihipStream_tbEUlT_E_NS1_11comp_targetILNS1_3genE10ELNS1_11target_archE1201ELNS1_3gpuE5ELNS1_3repE0EEENS1_30default_config_static_selectorELNS0_4arch9wavefront6targetE0EEEvS10_
		.amdhsa_group_segment_fixed_size 0
		.amdhsa_private_segment_fixed_size 0
		.amdhsa_kernarg_size 64
		.amdhsa_user_sgpr_count 2
		.amdhsa_user_sgpr_dispatch_ptr 0
		.amdhsa_user_sgpr_queue_ptr 0
		.amdhsa_user_sgpr_kernarg_segment_ptr 1
		.amdhsa_user_sgpr_dispatch_id 0
		.amdhsa_user_sgpr_kernarg_preload_length 0
		.amdhsa_user_sgpr_kernarg_preload_offset 0
		.amdhsa_user_sgpr_private_segment_size 0
		.amdhsa_wavefront_size32 1
		.amdhsa_uses_dynamic_stack 0
		.amdhsa_enable_private_segment 0
		.amdhsa_system_sgpr_workgroup_id_x 1
		.amdhsa_system_sgpr_workgroup_id_y 0
		.amdhsa_system_sgpr_workgroup_id_z 0
		.amdhsa_system_sgpr_workgroup_info 0
		.amdhsa_system_vgpr_workitem_id 0
		.amdhsa_next_free_vgpr 1
		.amdhsa_next_free_sgpr 1
		.amdhsa_named_barrier_count 0
		.amdhsa_reserve_vcc 0
		.amdhsa_float_round_mode_32 0
		.amdhsa_float_round_mode_16_64 0
		.amdhsa_float_denorm_mode_32 3
		.amdhsa_float_denorm_mode_16_64 3
		.amdhsa_fp16_overflow 0
		.amdhsa_memory_ordered 1
		.amdhsa_forward_progress 1
		.amdhsa_inst_pref_size 0
		.amdhsa_round_robin_scheduling 0
		.amdhsa_exception_fp_ieee_invalid_op 0
		.amdhsa_exception_fp_denorm_src 0
		.amdhsa_exception_fp_ieee_div_zero 0
		.amdhsa_exception_fp_ieee_overflow 0
		.amdhsa_exception_fp_ieee_underflow 0
		.amdhsa_exception_fp_ieee_inexact 0
		.amdhsa_exception_int_div_zero 0
	.end_amdhsa_kernel
	.section	.text._ZN7rocprim17ROCPRIM_400000_NS6detail17trampoline_kernelINS0_14default_configENS1_21merge_config_selectorINS0_5tupleIJddEEENS0_10empty_typeEEEZNS1_10merge_implIS3_NS0_12zip_iteratorINS5_IJN6thrust23THRUST_200600_302600_NS6detail15normal_iteratorINSC_10device_ptrIKdEEEESI_EEEEESK_NSA_INS5_IJNSE_INSF_IdEEEESM_EEEEEPS7_SP_SP_NSC_11hip_rocprim7__merge17predicate_wrapperIddNSC_4lessIdEEEEEE10hipError_tPvRmT0_T1_T2_T3_T4_T5_mmT6_P12ihipStream_tbEUlT_E_NS1_11comp_targetILNS1_3genE10ELNS1_11target_archE1201ELNS1_3gpuE5ELNS1_3repE0EEENS1_30default_config_static_selectorELNS0_4arch9wavefront6targetE0EEEvS10_,"axG",@progbits,_ZN7rocprim17ROCPRIM_400000_NS6detail17trampoline_kernelINS0_14default_configENS1_21merge_config_selectorINS0_5tupleIJddEEENS0_10empty_typeEEEZNS1_10merge_implIS3_NS0_12zip_iteratorINS5_IJN6thrust23THRUST_200600_302600_NS6detail15normal_iteratorINSC_10device_ptrIKdEEEESI_EEEEESK_NSA_INS5_IJNSE_INSF_IdEEEESM_EEEEEPS7_SP_SP_NSC_11hip_rocprim7__merge17predicate_wrapperIddNSC_4lessIdEEEEEE10hipError_tPvRmT0_T1_T2_T3_T4_T5_mmT6_P12ihipStream_tbEUlT_E_NS1_11comp_targetILNS1_3genE10ELNS1_11target_archE1201ELNS1_3gpuE5ELNS1_3repE0EEENS1_30default_config_static_selectorELNS0_4arch9wavefront6targetE0EEEvS10_,comdat
.Lfunc_end6:
	.size	_ZN7rocprim17ROCPRIM_400000_NS6detail17trampoline_kernelINS0_14default_configENS1_21merge_config_selectorINS0_5tupleIJddEEENS0_10empty_typeEEEZNS1_10merge_implIS3_NS0_12zip_iteratorINS5_IJN6thrust23THRUST_200600_302600_NS6detail15normal_iteratorINSC_10device_ptrIKdEEEESI_EEEEESK_NSA_INS5_IJNSE_INSF_IdEEEESM_EEEEEPS7_SP_SP_NSC_11hip_rocprim7__merge17predicate_wrapperIddNSC_4lessIdEEEEEE10hipError_tPvRmT0_T1_T2_T3_T4_T5_mmT6_P12ihipStream_tbEUlT_E_NS1_11comp_targetILNS1_3genE10ELNS1_11target_archE1201ELNS1_3gpuE5ELNS1_3repE0EEENS1_30default_config_static_selectorELNS0_4arch9wavefront6targetE0EEEvS10_, .Lfunc_end6-_ZN7rocprim17ROCPRIM_400000_NS6detail17trampoline_kernelINS0_14default_configENS1_21merge_config_selectorINS0_5tupleIJddEEENS0_10empty_typeEEEZNS1_10merge_implIS3_NS0_12zip_iteratorINS5_IJN6thrust23THRUST_200600_302600_NS6detail15normal_iteratorINSC_10device_ptrIKdEEEESI_EEEEESK_NSA_INS5_IJNSE_INSF_IdEEEESM_EEEEEPS7_SP_SP_NSC_11hip_rocprim7__merge17predicate_wrapperIddNSC_4lessIdEEEEEE10hipError_tPvRmT0_T1_T2_T3_T4_T5_mmT6_P12ihipStream_tbEUlT_E_NS1_11comp_targetILNS1_3genE10ELNS1_11target_archE1201ELNS1_3gpuE5ELNS1_3repE0EEENS1_30default_config_static_selectorELNS0_4arch9wavefront6targetE0EEEvS10_
                                        ; -- End function
	.set _ZN7rocprim17ROCPRIM_400000_NS6detail17trampoline_kernelINS0_14default_configENS1_21merge_config_selectorINS0_5tupleIJddEEENS0_10empty_typeEEEZNS1_10merge_implIS3_NS0_12zip_iteratorINS5_IJN6thrust23THRUST_200600_302600_NS6detail15normal_iteratorINSC_10device_ptrIKdEEEESI_EEEEESK_NSA_INS5_IJNSE_INSF_IdEEEESM_EEEEEPS7_SP_SP_NSC_11hip_rocprim7__merge17predicate_wrapperIddNSC_4lessIdEEEEEE10hipError_tPvRmT0_T1_T2_T3_T4_T5_mmT6_P12ihipStream_tbEUlT_E_NS1_11comp_targetILNS1_3genE10ELNS1_11target_archE1201ELNS1_3gpuE5ELNS1_3repE0EEENS1_30default_config_static_selectorELNS0_4arch9wavefront6targetE0EEEvS10_.num_vgpr, 0
	.set _ZN7rocprim17ROCPRIM_400000_NS6detail17trampoline_kernelINS0_14default_configENS1_21merge_config_selectorINS0_5tupleIJddEEENS0_10empty_typeEEEZNS1_10merge_implIS3_NS0_12zip_iteratorINS5_IJN6thrust23THRUST_200600_302600_NS6detail15normal_iteratorINSC_10device_ptrIKdEEEESI_EEEEESK_NSA_INS5_IJNSE_INSF_IdEEEESM_EEEEEPS7_SP_SP_NSC_11hip_rocprim7__merge17predicate_wrapperIddNSC_4lessIdEEEEEE10hipError_tPvRmT0_T1_T2_T3_T4_T5_mmT6_P12ihipStream_tbEUlT_E_NS1_11comp_targetILNS1_3genE10ELNS1_11target_archE1201ELNS1_3gpuE5ELNS1_3repE0EEENS1_30default_config_static_selectorELNS0_4arch9wavefront6targetE0EEEvS10_.num_agpr, 0
	.set _ZN7rocprim17ROCPRIM_400000_NS6detail17trampoline_kernelINS0_14default_configENS1_21merge_config_selectorINS0_5tupleIJddEEENS0_10empty_typeEEEZNS1_10merge_implIS3_NS0_12zip_iteratorINS5_IJN6thrust23THRUST_200600_302600_NS6detail15normal_iteratorINSC_10device_ptrIKdEEEESI_EEEEESK_NSA_INS5_IJNSE_INSF_IdEEEESM_EEEEEPS7_SP_SP_NSC_11hip_rocprim7__merge17predicate_wrapperIddNSC_4lessIdEEEEEE10hipError_tPvRmT0_T1_T2_T3_T4_T5_mmT6_P12ihipStream_tbEUlT_E_NS1_11comp_targetILNS1_3genE10ELNS1_11target_archE1201ELNS1_3gpuE5ELNS1_3repE0EEENS1_30default_config_static_selectorELNS0_4arch9wavefront6targetE0EEEvS10_.numbered_sgpr, 0
	.set _ZN7rocprim17ROCPRIM_400000_NS6detail17trampoline_kernelINS0_14default_configENS1_21merge_config_selectorINS0_5tupleIJddEEENS0_10empty_typeEEEZNS1_10merge_implIS3_NS0_12zip_iteratorINS5_IJN6thrust23THRUST_200600_302600_NS6detail15normal_iteratorINSC_10device_ptrIKdEEEESI_EEEEESK_NSA_INS5_IJNSE_INSF_IdEEEESM_EEEEEPS7_SP_SP_NSC_11hip_rocprim7__merge17predicate_wrapperIddNSC_4lessIdEEEEEE10hipError_tPvRmT0_T1_T2_T3_T4_T5_mmT6_P12ihipStream_tbEUlT_E_NS1_11comp_targetILNS1_3genE10ELNS1_11target_archE1201ELNS1_3gpuE5ELNS1_3repE0EEENS1_30default_config_static_selectorELNS0_4arch9wavefront6targetE0EEEvS10_.num_named_barrier, 0
	.set _ZN7rocprim17ROCPRIM_400000_NS6detail17trampoline_kernelINS0_14default_configENS1_21merge_config_selectorINS0_5tupleIJddEEENS0_10empty_typeEEEZNS1_10merge_implIS3_NS0_12zip_iteratorINS5_IJN6thrust23THRUST_200600_302600_NS6detail15normal_iteratorINSC_10device_ptrIKdEEEESI_EEEEESK_NSA_INS5_IJNSE_INSF_IdEEEESM_EEEEEPS7_SP_SP_NSC_11hip_rocprim7__merge17predicate_wrapperIddNSC_4lessIdEEEEEE10hipError_tPvRmT0_T1_T2_T3_T4_T5_mmT6_P12ihipStream_tbEUlT_E_NS1_11comp_targetILNS1_3genE10ELNS1_11target_archE1201ELNS1_3gpuE5ELNS1_3repE0EEENS1_30default_config_static_selectorELNS0_4arch9wavefront6targetE0EEEvS10_.private_seg_size, 0
	.set _ZN7rocprim17ROCPRIM_400000_NS6detail17trampoline_kernelINS0_14default_configENS1_21merge_config_selectorINS0_5tupleIJddEEENS0_10empty_typeEEEZNS1_10merge_implIS3_NS0_12zip_iteratorINS5_IJN6thrust23THRUST_200600_302600_NS6detail15normal_iteratorINSC_10device_ptrIKdEEEESI_EEEEESK_NSA_INS5_IJNSE_INSF_IdEEEESM_EEEEEPS7_SP_SP_NSC_11hip_rocprim7__merge17predicate_wrapperIddNSC_4lessIdEEEEEE10hipError_tPvRmT0_T1_T2_T3_T4_T5_mmT6_P12ihipStream_tbEUlT_E_NS1_11comp_targetILNS1_3genE10ELNS1_11target_archE1201ELNS1_3gpuE5ELNS1_3repE0EEENS1_30default_config_static_selectorELNS0_4arch9wavefront6targetE0EEEvS10_.uses_vcc, 0
	.set _ZN7rocprim17ROCPRIM_400000_NS6detail17trampoline_kernelINS0_14default_configENS1_21merge_config_selectorINS0_5tupleIJddEEENS0_10empty_typeEEEZNS1_10merge_implIS3_NS0_12zip_iteratorINS5_IJN6thrust23THRUST_200600_302600_NS6detail15normal_iteratorINSC_10device_ptrIKdEEEESI_EEEEESK_NSA_INS5_IJNSE_INSF_IdEEEESM_EEEEEPS7_SP_SP_NSC_11hip_rocprim7__merge17predicate_wrapperIddNSC_4lessIdEEEEEE10hipError_tPvRmT0_T1_T2_T3_T4_T5_mmT6_P12ihipStream_tbEUlT_E_NS1_11comp_targetILNS1_3genE10ELNS1_11target_archE1201ELNS1_3gpuE5ELNS1_3repE0EEENS1_30default_config_static_selectorELNS0_4arch9wavefront6targetE0EEEvS10_.uses_flat_scratch, 0
	.set _ZN7rocprim17ROCPRIM_400000_NS6detail17trampoline_kernelINS0_14default_configENS1_21merge_config_selectorINS0_5tupleIJddEEENS0_10empty_typeEEEZNS1_10merge_implIS3_NS0_12zip_iteratorINS5_IJN6thrust23THRUST_200600_302600_NS6detail15normal_iteratorINSC_10device_ptrIKdEEEESI_EEEEESK_NSA_INS5_IJNSE_INSF_IdEEEESM_EEEEEPS7_SP_SP_NSC_11hip_rocprim7__merge17predicate_wrapperIddNSC_4lessIdEEEEEE10hipError_tPvRmT0_T1_T2_T3_T4_T5_mmT6_P12ihipStream_tbEUlT_E_NS1_11comp_targetILNS1_3genE10ELNS1_11target_archE1201ELNS1_3gpuE5ELNS1_3repE0EEENS1_30default_config_static_selectorELNS0_4arch9wavefront6targetE0EEEvS10_.has_dyn_sized_stack, 0
	.set _ZN7rocprim17ROCPRIM_400000_NS6detail17trampoline_kernelINS0_14default_configENS1_21merge_config_selectorINS0_5tupleIJddEEENS0_10empty_typeEEEZNS1_10merge_implIS3_NS0_12zip_iteratorINS5_IJN6thrust23THRUST_200600_302600_NS6detail15normal_iteratorINSC_10device_ptrIKdEEEESI_EEEEESK_NSA_INS5_IJNSE_INSF_IdEEEESM_EEEEEPS7_SP_SP_NSC_11hip_rocprim7__merge17predicate_wrapperIddNSC_4lessIdEEEEEE10hipError_tPvRmT0_T1_T2_T3_T4_T5_mmT6_P12ihipStream_tbEUlT_E_NS1_11comp_targetILNS1_3genE10ELNS1_11target_archE1201ELNS1_3gpuE5ELNS1_3repE0EEENS1_30default_config_static_selectorELNS0_4arch9wavefront6targetE0EEEvS10_.has_recursion, 0
	.set _ZN7rocprim17ROCPRIM_400000_NS6detail17trampoline_kernelINS0_14default_configENS1_21merge_config_selectorINS0_5tupleIJddEEENS0_10empty_typeEEEZNS1_10merge_implIS3_NS0_12zip_iteratorINS5_IJN6thrust23THRUST_200600_302600_NS6detail15normal_iteratorINSC_10device_ptrIKdEEEESI_EEEEESK_NSA_INS5_IJNSE_INSF_IdEEEESM_EEEEEPS7_SP_SP_NSC_11hip_rocprim7__merge17predicate_wrapperIddNSC_4lessIdEEEEEE10hipError_tPvRmT0_T1_T2_T3_T4_T5_mmT6_P12ihipStream_tbEUlT_E_NS1_11comp_targetILNS1_3genE10ELNS1_11target_archE1201ELNS1_3gpuE5ELNS1_3repE0EEENS1_30default_config_static_selectorELNS0_4arch9wavefront6targetE0EEEvS10_.has_indirect_call, 0
	.section	.AMDGPU.csdata,"",@progbits
; Kernel info:
; codeLenInByte = 0
; TotalNumSgprs: 0
; NumVgprs: 0
; ScratchSize: 0
; MemoryBound: 0
; FloatMode: 240
; IeeeMode: 1
; LDSByteSize: 0 bytes/workgroup (compile time only)
; SGPRBlocks: 0
; VGPRBlocks: 0
; NumSGPRsForWavesPerEU: 1
; NumVGPRsForWavesPerEU: 1
; NamedBarCnt: 0
; Occupancy: 16
; WaveLimiterHint : 0
; COMPUTE_PGM_RSRC2:SCRATCH_EN: 0
; COMPUTE_PGM_RSRC2:USER_SGPR: 2
; COMPUTE_PGM_RSRC2:TRAP_HANDLER: 0
; COMPUTE_PGM_RSRC2:TGID_X_EN: 1
; COMPUTE_PGM_RSRC2:TGID_Y_EN: 0
; COMPUTE_PGM_RSRC2:TGID_Z_EN: 0
; COMPUTE_PGM_RSRC2:TIDIG_COMP_CNT: 0
	.section	.text._ZN7rocprim17ROCPRIM_400000_NS6detail17trampoline_kernelINS0_14default_configENS1_21merge_config_selectorINS0_5tupleIJddEEENS0_10empty_typeEEEZNS1_10merge_implIS3_NS0_12zip_iteratorINS5_IJN6thrust23THRUST_200600_302600_NS6detail15normal_iteratorINSC_10device_ptrIKdEEEESI_EEEEESK_NSA_INS5_IJNSE_INSF_IdEEEESM_EEEEEPS7_SP_SP_NSC_11hip_rocprim7__merge17predicate_wrapperIddNSC_4lessIdEEEEEE10hipError_tPvRmT0_T1_T2_T3_T4_T5_mmT6_P12ihipStream_tbEUlT_E_NS1_11comp_targetILNS1_3genE10ELNS1_11target_archE1200ELNS1_3gpuE4ELNS1_3repE0EEENS1_30default_config_static_selectorELNS0_4arch9wavefront6targetE0EEEvS10_,"axG",@progbits,_ZN7rocprim17ROCPRIM_400000_NS6detail17trampoline_kernelINS0_14default_configENS1_21merge_config_selectorINS0_5tupleIJddEEENS0_10empty_typeEEEZNS1_10merge_implIS3_NS0_12zip_iteratorINS5_IJN6thrust23THRUST_200600_302600_NS6detail15normal_iteratorINSC_10device_ptrIKdEEEESI_EEEEESK_NSA_INS5_IJNSE_INSF_IdEEEESM_EEEEEPS7_SP_SP_NSC_11hip_rocprim7__merge17predicate_wrapperIddNSC_4lessIdEEEEEE10hipError_tPvRmT0_T1_T2_T3_T4_T5_mmT6_P12ihipStream_tbEUlT_E_NS1_11comp_targetILNS1_3genE10ELNS1_11target_archE1200ELNS1_3gpuE4ELNS1_3repE0EEENS1_30default_config_static_selectorELNS0_4arch9wavefront6targetE0EEEvS10_,comdat
	.protected	_ZN7rocprim17ROCPRIM_400000_NS6detail17trampoline_kernelINS0_14default_configENS1_21merge_config_selectorINS0_5tupleIJddEEENS0_10empty_typeEEEZNS1_10merge_implIS3_NS0_12zip_iteratorINS5_IJN6thrust23THRUST_200600_302600_NS6detail15normal_iteratorINSC_10device_ptrIKdEEEESI_EEEEESK_NSA_INS5_IJNSE_INSF_IdEEEESM_EEEEEPS7_SP_SP_NSC_11hip_rocprim7__merge17predicate_wrapperIddNSC_4lessIdEEEEEE10hipError_tPvRmT0_T1_T2_T3_T4_T5_mmT6_P12ihipStream_tbEUlT_E_NS1_11comp_targetILNS1_3genE10ELNS1_11target_archE1200ELNS1_3gpuE4ELNS1_3repE0EEENS1_30default_config_static_selectorELNS0_4arch9wavefront6targetE0EEEvS10_ ; -- Begin function _ZN7rocprim17ROCPRIM_400000_NS6detail17trampoline_kernelINS0_14default_configENS1_21merge_config_selectorINS0_5tupleIJddEEENS0_10empty_typeEEEZNS1_10merge_implIS3_NS0_12zip_iteratorINS5_IJN6thrust23THRUST_200600_302600_NS6detail15normal_iteratorINSC_10device_ptrIKdEEEESI_EEEEESK_NSA_INS5_IJNSE_INSF_IdEEEESM_EEEEEPS7_SP_SP_NSC_11hip_rocprim7__merge17predicate_wrapperIddNSC_4lessIdEEEEEE10hipError_tPvRmT0_T1_T2_T3_T4_T5_mmT6_P12ihipStream_tbEUlT_E_NS1_11comp_targetILNS1_3genE10ELNS1_11target_archE1200ELNS1_3gpuE4ELNS1_3repE0EEENS1_30default_config_static_selectorELNS0_4arch9wavefront6targetE0EEEvS10_
	.globl	_ZN7rocprim17ROCPRIM_400000_NS6detail17trampoline_kernelINS0_14default_configENS1_21merge_config_selectorINS0_5tupleIJddEEENS0_10empty_typeEEEZNS1_10merge_implIS3_NS0_12zip_iteratorINS5_IJN6thrust23THRUST_200600_302600_NS6detail15normal_iteratorINSC_10device_ptrIKdEEEESI_EEEEESK_NSA_INS5_IJNSE_INSF_IdEEEESM_EEEEEPS7_SP_SP_NSC_11hip_rocprim7__merge17predicate_wrapperIddNSC_4lessIdEEEEEE10hipError_tPvRmT0_T1_T2_T3_T4_T5_mmT6_P12ihipStream_tbEUlT_E_NS1_11comp_targetILNS1_3genE10ELNS1_11target_archE1200ELNS1_3gpuE4ELNS1_3repE0EEENS1_30default_config_static_selectorELNS0_4arch9wavefront6targetE0EEEvS10_
	.p2align	8
	.type	_ZN7rocprim17ROCPRIM_400000_NS6detail17trampoline_kernelINS0_14default_configENS1_21merge_config_selectorINS0_5tupleIJddEEENS0_10empty_typeEEEZNS1_10merge_implIS3_NS0_12zip_iteratorINS5_IJN6thrust23THRUST_200600_302600_NS6detail15normal_iteratorINSC_10device_ptrIKdEEEESI_EEEEESK_NSA_INS5_IJNSE_INSF_IdEEEESM_EEEEEPS7_SP_SP_NSC_11hip_rocprim7__merge17predicate_wrapperIddNSC_4lessIdEEEEEE10hipError_tPvRmT0_T1_T2_T3_T4_T5_mmT6_P12ihipStream_tbEUlT_E_NS1_11comp_targetILNS1_3genE10ELNS1_11target_archE1200ELNS1_3gpuE4ELNS1_3repE0EEENS1_30default_config_static_selectorELNS0_4arch9wavefront6targetE0EEEvS10_,@function
_ZN7rocprim17ROCPRIM_400000_NS6detail17trampoline_kernelINS0_14default_configENS1_21merge_config_selectorINS0_5tupleIJddEEENS0_10empty_typeEEEZNS1_10merge_implIS3_NS0_12zip_iteratorINS5_IJN6thrust23THRUST_200600_302600_NS6detail15normal_iteratorINSC_10device_ptrIKdEEEESI_EEEEESK_NSA_INS5_IJNSE_INSF_IdEEEESM_EEEEEPS7_SP_SP_NSC_11hip_rocprim7__merge17predicate_wrapperIddNSC_4lessIdEEEEEE10hipError_tPvRmT0_T1_T2_T3_T4_T5_mmT6_P12ihipStream_tbEUlT_E_NS1_11comp_targetILNS1_3genE10ELNS1_11target_archE1200ELNS1_3gpuE4ELNS1_3repE0EEENS1_30default_config_static_selectorELNS0_4arch9wavefront6targetE0EEEvS10_: ; @_ZN7rocprim17ROCPRIM_400000_NS6detail17trampoline_kernelINS0_14default_configENS1_21merge_config_selectorINS0_5tupleIJddEEENS0_10empty_typeEEEZNS1_10merge_implIS3_NS0_12zip_iteratorINS5_IJN6thrust23THRUST_200600_302600_NS6detail15normal_iteratorINSC_10device_ptrIKdEEEESI_EEEEESK_NSA_INS5_IJNSE_INSF_IdEEEESM_EEEEEPS7_SP_SP_NSC_11hip_rocprim7__merge17predicate_wrapperIddNSC_4lessIdEEEEEE10hipError_tPvRmT0_T1_T2_T3_T4_T5_mmT6_P12ihipStream_tbEUlT_E_NS1_11comp_targetILNS1_3genE10ELNS1_11target_archE1200ELNS1_3gpuE4ELNS1_3repE0EEENS1_30default_config_static_selectorELNS0_4arch9wavefront6targetE0EEEvS10_
; %bb.0:
	.section	.rodata,"a",@progbits
	.p2align	6, 0x0
	.amdhsa_kernel _ZN7rocprim17ROCPRIM_400000_NS6detail17trampoline_kernelINS0_14default_configENS1_21merge_config_selectorINS0_5tupleIJddEEENS0_10empty_typeEEEZNS1_10merge_implIS3_NS0_12zip_iteratorINS5_IJN6thrust23THRUST_200600_302600_NS6detail15normal_iteratorINSC_10device_ptrIKdEEEESI_EEEEESK_NSA_INS5_IJNSE_INSF_IdEEEESM_EEEEEPS7_SP_SP_NSC_11hip_rocprim7__merge17predicate_wrapperIddNSC_4lessIdEEEEEE10hipError_tPvRmT0_T1_T2_T3_T4_T5_mmT6_P12ihipStream_tbEUlT_E_NS1_11comp_targetILNS1_3genE10ELNS1_11target_archE1200ELNS1_3gpuE4ELNS1_3repE0EEENS1_30default_config_static_selectorELNS0_4arch9wavefront6targetE0EEEvS10_
		.amdhsa_group_segment_fixed_size 0
		.amdhsa_private_segment_fixed_size 0
		.amdhsa_kernarg_size 64
		.amdhsa_user_sgpr_count 2
		.amdhsa_user_sgpr_dispatch_ptr 0
		.amdhsa_user_sgpr_queue_ptr 0
		.amdhsa_user_sgpr_kernarg_segment_ptr 1
		.amdhsa_user_sgpr_dispatch_id 0
		.amdhsa_user_sgpr_kernarg_preload_length 0
		.amdhsa_user_sgpr_kernarg_preload_offset 0
		.amdhsa_user_sgpr_private_segment_size 0
		.amdhsa_wavefront_size32 1
		.amdhsa_uses_dynamic_stack 0
		.amdhsa_enable_private_segment 0
		.amdhsa_system_sgpr_workgroup_id_x 1
		.amdhsa_system_sgpr_workgroup_id_y 0
		.amdhsa_system_sgpr_workgroup_id_z 0
		.amdhsa_system_sgpr_workgroup_info 0
		.amdhsa_system_vgpr_workitem_id 0
		.amdhsa_next_free_vgpr 1
		.amdhsa_next_free_sgpr 1
		.amdhsa_named_barrier_count 0
		.amdhsa_reserve_vcc 0
		.amdhsa_float_round_mode_32 0
		.amdhsa_float_round_mode_16_64 0
		.amdhsa_float_denorm_mode_32 3
		.amdhsa_float_denorm_mode_16_64 3
		.amdhsa_fp16_overflow 0
		.amdhsa_memory_ordered 1
		.amdhsa_forward_progress 1
		.amdhsa_inst_pref_size 0
		.amdhsa_round_robin_scheduling 0
		.amdhsa_exception_fp_ieee_invalid_op 0
		.amdhsa_exception_fp_denorm_src 0
		.amdhsa_exception_fp_ieee_div_zero 0
		.amdhsa_exception_fp_ieee_overflow 0
		.amdhsa_exception_fp_ieee_underflow 0
		.amdhsa_exception_fp_ieee_inexact 0
		.amdhsa_exception_int_div_zero 0
	.end_amdhsa_kernel
	.section	.text._ZN7rocprim17ROCPRIM_400000_NS6detail17trampoline_kernelINS0_14default_configENS1_21merge_config_selectorINS0_5tupleIJddEEENS0_10empty_typeEEEZNS1_10merge_implIS3_NS0_12zip_iteratorINS5_IJN6thrust23THRUST_200600_302600_NS6detail15normal_iteratorINSC_10device_ptrIKdEEEESI_EEEEESK_NSA_INS5_IJNSE_INSF_IdEEEESM_EEEEEPS7_SP_SP_NSC_11hip_rocprim7__merge17predicate_wrapperIddNSC_4lessIdEEEEEE10hipError_tPvRmT0_T1_T2_T3_T4_T5_mmT6_P12ihipStream_tbEUlT_E_NS1_11comp_targetILNS1_3genE10ELNS1_11target_archE1200ELNS1_3gpuE4ELNS1_3repE0EEENS1_30default_config_static_selectorELNS0_4arch9wavefront6targetE0EEEvS10_,"axG",@progbits,_ZN7rocprim17ROCPRIM_400000_NS6detail17trampoline_kernelINS0_14default_configENS1_21merge_config_selectorINS0_5tupleIJddEEENS0_10empty_typeEEEZNS1_10merge_implIS3_NS0_12zip_iteratorINS5_IJN6thrust23THRUST_200600_302600_NS6detail15normal_iteratorINSC_10device_ptrIKdEEEESI_EEEEESK_NSA_INS5_IJNSE_INSF_IdEEEESM_EEEEEPS7_SP_SP_NSC_11hip_rocprim7__merge17predicate_wrapperIddNSC_4lessIdEEEEEE10hipError_tPvRmT0_T1_T2_T3_T4_T5_mmT6_P12ihipStream_tbEUlT_E_NS1_11comp_targetILNS1_3genE10ELNS1_11target_archE1200ELNS1_3gpuE4ELNS1_3repE0EEENS1_30default_config_static_selectorELNS0_4arch9wavefront6targetE0EEEvS10_,comdat
.Lfunc_end7:
	.size	_ZN7rocprim17ROCPRIM_400000_NS6detail17trampoline_kernelINS0_14default_configENS1_21merge_config_selectorINS0_5tupleIJddEEENS0_10empty_typeEEEZNS1_10merge_implIS3_NS0_12zip_iteratorINS5_IJN6thrust23THRUST_200600_302600_NS6detail15normal_iteratorINSC_10device_ptrIKdEEEESI_EEEEESK_NSA_INS5_IJNSE_INSF_IdEEEESM_EEEEEPS7_SP_SP_NSC_11hip_rocprim7__merge17predicate_wrapperIddNSC_4lessIdEEEEEE10hipError_tPvRmT0_T1_T2_T3_T4_T5_mmT6_P12ihipStream_tbEUlT_E_NS1_11comp_targetILNS1_3genE10ELNS1_11target_archE1200ELNS1_3gpuE4ELNS1_3repE0EEENS1_30default_config_static_selectorELNS0_4arch9wavefront6targetE0EEEvS10_, .Lfunc_end7-_ZN7rocprim17ROCPRIM_400000_NS6detail17trampoline_kernelINS0_14default_configENS1_21merge_config_selectorINS0_5tupleIJddEEENS0_10empty_typeEEEZNS1_10merge_implIS3_NS0_12zip_iteratorINS5_IJN6thrust23THRUST_200600_302600_NS6detail15normal_iteratorINSC_10device_ptrIKdEEEESI_EEEEESK_NSA_INS5_IJNSE_INSF_IdEEEESM_EEEEEPS7_SP_SP_NSC_11hip_rocprim7__merge17predicate_wrapperIddNSC_4lessIdEEEEEE10hipError_tPvRmT0_T1_T2_T3_T4_T5_mmT6_P12ihipStream_tbEUlT_E_NS1_11comp_targetILNS1_3genE10ELNS1_11target_archE1200ELNS1_3gpuE4ELNS1_3repE0EEENS1_30default_config_static_selectorELNS0_4arch9wavefront6targetE0EEEvS10_
                                        ; -- End function
	.set _ZN7rocprim17ROCPRIM_400000_NS6detail17trampoline_kernelINS0_14default_configENS1_21merge_config_selectorINS0_5tupleIJddEEENS0_10empty_typeEEEZNS1_10merge_implIS3_NS0_12zip_iteratorINS5_IJN6thrust23THRUST_200600_302600_NS6detail15normal_iteratorINSC_10device_ptrIKdEEEESI_EEEEESK_NSA_INS5_IJNSE_INSF_IdEEEESM_EEEEEPS7_SP_SP_NSC_11hip_rocprim7__merge17predicate_wrapperIddNSC_4lessIdEEEEEE10hipError_tPvRmT0_T1_T2_T3_T4_T5_mmT6_P12ihipStream_tbEUlT_E_NS1_11comp_targetILNS1_3genE10ELNS1_11target_archE1200ELNS1_3gpuE4ELNS1_3repE0EEENS1_30default_config_static_selectorELNS0_4arch9wavefront6targetE0EEEvS10_.num_vgpr, 0
	.set _ZN7rocprim17ROCPRIM_400000_NS6detail17trampoline_kernelINS0_14default_configENS1_21merge_config_selectorINS0_5tupleIJddEEENS0_10empty_typeEEEZNS1_10merge_implIS3_NS0_12zip_iteratorINS5_IJN6thrust23THRUST_200600_302600_NS6detail15normal_iteratorINSC_10device_ptrIKdEEEESI_EEEEESK_NSA_INS5_IJNSE_INSF_IdEEEESM_EEEEEPS7_SP_SP_NSC_11hip_rocprim7__merge17predicate_wrapperIddNSC_4lessIdEEEEEE10hipError_tPvRmT0_T1_T2_T3_T4_T5_mmT6_P12ihipStream_tbEUlT_E_NS1_11comp_targetILNS1_3genE10ELNS1_11target_archE1200ELNS1_3gpuE4ELNS1_3repE0EEENS1_30default_config_static_selectorELNS0_4arch9wavefront6targetE0EEEvS10_.num_agpr, 0
	.set _ZN7rocprim17ROCPRIM_400000_NS6detail17trampoline_kernelINS0_14default_configENS1_21merge_config_selectorINS0_5tupleIJddEEENS0_10empty_typeEEEZNS1_10merge_implIS3_NS0_12zip_iteratorINS5_IJN6thrust23THRUST_200600_302600_NS6detail15normal_iteratorINSC_10device_ptrIKdEEEESI_EEEEESK_NSA_INS5_IJNSE_INSF_IdEEEESM_EEEEEPS7_SP_SP_NSC_11hip_rocprim7__merge17predicate_wrapperIddNSC_4lessIdEEEEEE10hipError_tPvRmT0_T1_T2_T3_T4_T5_mmT6_P12ihipStream_tbEUlT_E_NS1_11comp_targetILNS1_3genE10ELNS1_11target_archE1200ELNS1_3gpuE4ELNS1_3repE0EEENS1_30default_config_static_selectorELNS0_4arch9wavefront6targetE0EEEvS10_.numbered_sgpr, 0
	.set _ZN7rocprim17ROCPRIM_400000_NS6detail17trampoline_kernelINS0_14default_configENS1_21merge_config_selectorINS0_5tupleIJddEEENS0_10empty_typeEEEZNS1_10merge_implIS3_NS0_12zip_iteratorINS5_IJN6thrust23THRUST_200600_302600_NS6detail15normal_iteratorINSC_10device_ptrIKdEEEESI_EEEEESK_NSA_INS5_IJNSE_INSF_IdEEEESM_EEEEEPS7_SP_SP_NSC_11hip_rocprim7__merge17predicate_wrapperIddNSC_4lessIdEEEEEE10hipError_tPvRmT0_T1_T2_T3_T4_T5_mmT6_P12ihipStream_tbEUlT_E_NS1_11comp_targetILNS1_3genE10ELNS1_11target_archE1200ELNS1_3gpuE4ELNS1_3repE0EEENS1_30default_config_static_selectorELNS0_4arch9wavefront6targetE0EEEvS10_.num_named_barrier, 0
	.set _ZN7rocprim17ROCPRIM_400000_NS6detail17trampoline_kernelINS0_14default_configENS1_21merge_config_selectorINS0_5tupleIJddEEENS0_10empty_typeEEEZNS1_10merge_implIS3_NS0_12zip_iteratorINS5_IJN6thrust23THRUST_200600_302600_NS6detail15normal_iteratorINSC_10device_ptrIKdEEEESI_EEEEESK_NSA_INS5_IJNSE_INSF_IdEEEESM_EEEEEPS7_SP_SP_NSC_11hip_rocprim7__merge17predicate_wrapperIddNSC_4lessIdEEEEEE10hipError_tPvRmT0_T1_T2_T3_T4_T5_mmT6_P12ihipStream_tbEUlT_E_NS1_11comp_targetILNS1_3genE10ELNS1_11target_archE1200ELNS1_3gpuE4ELNS1_3repE0EEENS1_30default_config_static_selectorELNS0_4arch9wavefront6targetE0EEEvS10_.private_seg_size, 0
	.set _ZN7rocprim17ROCPRIM_400000_NS6detail17trampoline_kernelINS0_14default_configENS1_21merge_config_selectorINS0_5tupleIJddEEENS0_10empty_typeEEEZNS1_10merge_implIS3_NS0_12zip_iteratorINS5_IJN6thrust23THRUST_200600_302600_NS6detail15normal_iteratorINSC_10device_ptrIKdEEEESI_EEEEESK_NSA_INS5_IJNSE_INSF_IdEEEESM_EEEEEPS7_SP_SP_NSC_11hip_rocprim7__merge17predicate_wrapperIddNSC_4lessIdEEEEEE10hipError_tPvRmT0_T1_T2_T3_T4_T5_mmT6_P12ihipStream_tbEUlT_E_NS1_11comp_targetILNS1_3genE10ELNS1_11target_archE1200ELNS1_3gpuE4ELNS1_3repE0EEENS1_30default_config_static_selectorELNS0_4arch9wavefront6targetE0EEEvS10_.uses_vcc, 0
	.set _ZN7rocprim17ROCPRIM_400000_NS6detail17trampoline_kernelINS0_14default_configENS1_21merge_config_selectorINS0_5tupleIJddEEENS0_10empty_typeEEEZNS1_10merge_implIS3_NS0_12zip_iteratorINS5_IJN6thrust23THRUST_200600_302600_NS6detail15normal_iteratorINSC_10device_ptrIKdEEEESI_EEEEESK_NSA_INS5_IJNSE_INSF_IdEEEESM_EEEEEPS7_SP_SP_NSC_11hip_rocprim7__merge17predicate_wrapperIddNSC_4lessIdEEEEEE10hipError_tPvRmT0_T1_T2_T3_T4_T5_mmT6_P12ihipStream_tbEUlT_E_NS1_11comp_targetILNS1_3genE10ELNS1_11target_archE1200ELNS1_3gpuE4ELNS1_3repE0EEENS1_30default_config_static_selectorELNS0_4arch9wavefront6targetE0EEEvS10_.uses_flat_scratch, 0
	.set _ZN7rocprim17ROCPRIM_400000_NS6detail17trampoline_kernelINS0_14default_configENS1_21merge_config_selectorINS0_5tupleIJddEEENS0_10empty_typeEEEZNS1_10merge_implIS3_NS0_12zip_iteratorINS5_IJN6thrust23THRUST_200600_302600_NS6detail15normal_iteratorINSC_10device_ptrIKdEEEESI_EEEEESK_NSA_INS5_IJNSE_INSF_IdEEEESM_EEEEEPS7_SP_SP_NSC_11hip_rocprim7__merge17predicate_wrapperIddNSC_4lessIdEEEEEE10hipError_tPvRmT0_T1_T2_T3_T4_T5_mmT6_P12ihipStream_tbEUlT_E_NS1_11comp_targetILNS1_3genE10ELNS1_11target_archE1200ELNS1_3gpuE4ELNS1_3repE0EEENS1_30default_config_static_selectorELNS0_4arch9wavefront6targetE0EEEvS10_.has_dyn_sized_stack, 0
	.set _ZN7rocprim17ROCPRIM_400000_NS6detail17trampoline_kernelINS0_14default_configENS1_21merge_config_selectorINS0_5tupleIJddEEENS0_10empty_typeEEEZNS1_10merge_implIS3_NS0_12zip_iteratorINS5_IJN6thrust23THRUST_200600_302600_NS6detail15normal_iteratorINSC_10device_ptrIKdEEEESI_EEEEESK_NSA_INS5_IJNSE_INSF_IdEEEESM_EEEEEPS7_SP_SP_NSC_11hip_rocprim7__merge17predicate_wrapperIddNSC_4lessIdEEEEEE10hipError_tPvRmT0_T1_T2_T3_T4_T5_mmT6_P12ihipStream_tbEUlT_E_NS1_11comp_targetILNS1_3genE10ELNS1_11target_archE1200ELNS1_3gpuE4ELNS1_3repE0EEENS1_30default_config_static_selectorELNS0_4arch9wavefront6targetE0EEEvS10_.has_recursion, 0
	.set _ZN7rocprim17ROCPRIM_400000_NS6detail17trampoline_kernelINS0_14default_configENS1_21merge_config_selectorINS0_5tupleIJddEEENS0_10empty_typeEEEZNS1_10merge_implIS3_NS0_12zip_iteratorINS5_IJN6thrust23THRUST_200600_302600_NS6detail15normal_iteratorINSC_10device_ptrIKdEEEESI_EEEEESK_NSA_INS5_IJNSE_INSF_IdEEEESM_EEEEEPS7_SP_SP_NSC_11hip_rocprim7__merge17predicate_wrapperIddNSC_4lessIdEEEEEE10hipError_tPvRmT0_T1_T2_T3_T4_T5_mmT6_P12ihipStream_tbEUlT_E_NS1_11comp_targetILNS1_3genE10ELNS1_11target_archE1200ELNS1_3gpuE4ELNS1_3repE0EEENS1_30default_config_static_selectorELNS0_4arch9wavefront6targetE0EEEvS10_.has_indirect_call, 0
	.section	.AMDGPU.csdata,"",@progbits
; Kernel info:
; codeLenInByte = 0
; TotalNumSgprs: 0
; NumVgprs: 0
; ScratchSize: 0
; MemoryBound: 0
; FloatMode: 240
; IeeeMode: 1
; LDSByteSize: 0 bytes/workgroup (compile time only)
; SGPRBlocks: 0
; VGPRBlocks: 0
; NumSGPRsForWavesPerEU: 1
; NumVGPRsForWavesPerEU: 1
; NamedBarCnt: 0
; Occupancy: 16
; WaveLimiterHint : 0
; COMPUTE_PGM_RSRC2:SCRATCH_EN: 0
; COMPUTE_PGM_RSRC2:USER_SGPR: 2
; COMPUTE_PGM_RSRC2:TRAP_HANDLER: 0
; COMPUTE_PGM_RSRC2:TGID_X_EN: 1
; COMPUTE_PGM_RSRC2:TGID_Y_EN: 0
; COMPUTE_PGM_RSRC2:TGID_Z_EN: 0
; COMPUTE_PGM_RSRC2:TIDIG_COMP_CNT: 0
	.section	.text._ZN7rocprim17ROCPRIM_400000_NS6detail17trampoline_kernelINS0_14default_configENS1_21merge_config_selectorINS0_5tupleIJddEEENS0_10empty_typeEEEZNS1_10merge_implIS3_NS0_12zip_iteratorINS5_IJN6thrust23THRUST_200600_302600_NS6detail15normal_iteratorINSC_10device_ptrIKdEEEESI_EEEEESK_NSA_INS5_IJNSE_INSF_IdEEEESM_EEEEEPS7_SP_SP_NSC_11hip_rocprim7__merge17predicate_wrapperIddNSC_4lessIdEEEEEE10hipError_tPvRmT0_T1_T2_T3_T4_T5_mmT6_P12ihipStream_tbEUlT_E_NS1_11comp_targetILNS1_3genE9ELNS1_11target_archE1100ELNS1_3gpuE3ELNS1_3repE0EEENS1_30default_config_static_selectorELNS0_4arch9wavefront6targetE0EEEvS10_,"axG",@progbits,_ZN7rocprim17ROCPRIM_400000_NS6detail17trampoline_kernelINS0_14default_configENS1_21merge_config_selectorINS0_5tupleIJddEEENS0_10empty_typeEEEZNS1_10merge_implIS3_NS0_12zip_iteratorINS5_IJN6thrust23THRUST_200600_302600_NS6detail15normal_iteratorINSC_10device_ptrIKdEEEESI_EEEEESK_NSA_INS5_IJNSE_INSF_IdEEEESM_EEEEEPS7_SP_SP_NSC_11hip_rocprim7__merge17predicate_wrapperIddNSC_4lessIdEEEEEE10hipError_tPvRmT0_T1_T2_T3_T4_T5_mmT6_P12ihipStream_tbEUlT_E_NS1_11comp_targetILNS1_3genE9ELNS1_11target_archE1100ELNS1_3gpuE3ELNS1_3repE0EEENS1_30default_config_static_selectorELNS0_4arch9wavefront6targetE0EEEvS10_,comdat
	.protected	_ZN7rocprim17ROCPRIM_400000_NS6detail17trampoline_kernelINS0_14default_configENS1_21merge_config_selectorINS0_5tupleIJddEEENS0_10empty_typeEEEZNS1_10merge_implIS3_NS0_12zip_iteratorINS5_IJN6thrust23THRUST_200600_302600_NS6detail15normal_iteratorINSC_10device_ptrIKdEEEESI_EEEEESK_NSA_INS5_IJNSE_INSF_IdEEEESM_EEEEEPS7_SP_SP_NSC_11hip_rocprim7__merge17predicate_wrapperIddNSC_4lessIdEEEEEE10hipError_tPvRmT0_T1_T2_T3_T4_T5_mmT6_P12ihipStream_tbEUlT_E_NS1_11comp_targetILNS1_3genE9ELNS1_11target_archE1100ELNS1_3gpuE3ELNS1_3repE0EEENS1_30default_config_static_selectorELNS0_4arch9wavefront6targetE0EEEvS10_ ; -- Begin function _ZN7rocprim17ROCPRIM_400000_NS6detail17trampoline_kernelINS0_14default_configENS1_21merge_config_selectorINS0_5tupleIJddEEENS0_10empty_typeEEEZNS1_10merge_implIS3_NS0_12zip_iteratorINS5_IJN6thrust23THRUST_200600_302600_NS6detail15normal_iteratorINSC_10device_ptrIKdEEEESI_EEEEESK_NSA_INS5_IJNSE_INSF_IdEEEESM_EEEEEPS7_SP_SP_NSC_11hip_rocprim7__merge17predicate_wrapperIddNSC_4lessIdEEEEEE10hipError_tPvRmT0_T1_T2_T3_T4_T5_mmT6_P12ihipStream_tbEUlT_E_NS1_11comp_targetILNS1_3genE9ELNS1_11target_archE1100ELNS1_3gpuE3ELNS1_3repE0EEENS1_30default_config_static_selectorELNS0_4arch9wavefront6targetE0EEEvS10_
	.globl	_ZN7rocprim17ROCPRIM_400000_NS6detail17trampoline_kernelINS0_14default_configENS1_21merge_config_selectorINS0_5tupleIJddEEENS0_10empty_typeEEEZNS1_10merge_implIS3_NS0_12zip_iteratorINS5_IJN6thrust23THRUST_200600_302600_NS6detail15normal_iteratorINSC_10device_ptrIKdEEEESI_EEEEESK_NSA_INS5_IJNSE_INSF_IdEEEESM_EEEEEPS7_SP_SP_NSC_11hip_rocprim7__merge17predicate_wrapperIddNSC_4lessIdEEEEEE10hipError_tPvRmT0_T1_T2_T3_T4_T5_mmT6_P12ihipStream_tbEUlT_E_NS1_11comp_targetILNS1_3genE9ELNS1_11target_archE1100ELNS1_3gpuE3ELNS1_3repE0EEENS1_30default_config_static_selectorELNS0_4arch9wavefront6targetE0EEEvS10_
	.p2align	8
	.type	_ZN7rocprim17ROCPRIM_400000_NS6detail17trampoline_kernelINS0_14default_configENS1_21merge_config_selectorINS0_5tupleIJddEEENS0_10empty_typeEEEZNS1_10merge_implIS3_NS0_12zip_iteratorINS5_IJN6thrust23THRUST_200600_302600_NS6detail15normal_iteratorINSC_10device_ptrIKdEEEESI_EEEEESK_NSA_INS5_IJNSE_INSF_IdEEEESM_EEEEEPS7_SP_SP_NSC_11hip_rocprim7__merge17predicate_wrapperIddNSC_4lessIdEEEEEE10hipError_tPvRmT0_T1_T2_T3_T4_T5_mmT6_P12ihipStream_tbEUlT_E_NS1_11comp_targetILNS1_3genE9ELNS1_11target_archE1100ELNS1_3gpuE3ELNS1_3repE0EEENS1_30default_config_static_selectorELNS0_4arch9wavefront6targetE0EEEvS10_,@function
_ZN7rocprim17ROCPRIM_400000_NS6detail17trampoline_kernelINS0_14default_configENS1_21merge_config_selectorINS0_5tupleIJddEEENS0_10empty_typeEEEZNS1_10merge_implIS3_NS0_12zip_iteratorINS5_IJN6thrust23THRUST_200600_302600_NS6detail15normal_iteratorINSC_10device_ptrIKdEEEESI_EEEEESK_NSA_INS5_IJNSE_INSF_IdEEEESM_EEEEEPS7_SP_SP_NSC_11hip_rocprim7__merge17predicate_wrapperIddNSC_4lessIdEEEEEE10hipError_tPvRmT0_T1_T2_T3_T4_T5_mmT6_P12ihipStream_tbEUlT_E_NS1_11comp_targetILNS1_3genE9ELNS1_11target_archE1100ELNS1_3gpuE3ELNS1_3repE0EEENS1_30default_config_static_selectorELNS0_4arch9wavefront6targetE0EEEvS10_: ; @_ZN7rocprim17ROCPRIM_400000_NS6detail17trampoline_kernelINS0_14default_configENS1_21merge_config_selectorINS0_5tupleIJddEEENS0_10empty_typeEEEZNS1_10merge_implIS3_NS0_12zip_iteratorINS5_IJN6thrust23THRUST_200600_302600_NS6detail15normal_iteratorINSC_10device_ptrIKdEEEESI_EEEEESK_NSA_INS5_IJNSE_INSF_IdEEEESM_EEEEEPS7_SP_SP_NSC_11hip_rocprim7__merge17predicate_wrapperIddNSC_4lessIdEEEEEE10hipError_tPvRmT0_T1_T2_T3_T4_T5_mmT6_P12ihipStream_tbEUlT_E_NS1_11comp_targetILNS1_3genE9ELNS1_11target_archE1100ELNS1_3gpuE3ELNS1_3repE0EEENS1_30default_config_static_selectorELNS0_4arch9wavefront6targetE0EEEvS10_
; %bb.0:
	.section	.rodata,"a",@progbits
	.p2align	6, 0x0
	.amdhsa_kernel _ZN7rocprim17ROCPRIM_400000_NS6detail17trampoline_kernelINS0_14default_configENS1_21merge_config_selectorINS0_5tupleIJddEEENS0_10empty_typeEEEZNS1_10merge_implIS3_NS0_12zip_iteratorINS5_IJN6thrust23THRUST_200600_302600_NS6detail15normal_iteratorINSC_10device_ptrIKdEEEESI_EEEEESK_NSA_INS5_IJNSE_INSF_IdEEEESM_EEEEEPS7_SP_SP_NSC_11hip_rocprim7__merge17predicate_wrapperIddNSC_4lessIdEEEEEE10hipError_tPvRmT0_T1_T2_T3_T4_T5_mmT6_P12ihipStream_tbEUlT_E_NS1_11comp_targetILNS1_3genE9ELNS1_11target_archE1100ELNS1_3gpuE3ELNS1_3repE0EEENS1_30default_config_static_selectorELNS0_4arch9wavefront6targetE0EEEvS10_
		.amdhsa_group_segment_fixed_size 0
		.amdhsa_private_segment_fixed_size 0
		.amdhsa_kernarg_size 64
		.amdhsa_user_sgpr_count 2
		.amdhsa_user_sgpr_dispatch_ptr 0
		.amdhsa_user_sgpr_queue_ptr 0
		.amdhsa_user_sgpr_kernarg_segment_ptr 1
		.amdhsa_user_sgpr_dispatch_id 0
		.amdhsa_user_sgpr_kernarg_preload_length 0
		.amdhsa_user_sgpr_kernarg_preload_offset 0
		.amdhsa_user_sgpr_private_segment_size 0
		.amdhsa_wavefront_size32 1
		.amdhsa_uses_dynamic_stack 0
		.amdhsa_enable_private_segment 0
		.amdhsa_system_sgpr_workgroup_id_x 1
		.amdhsa_system_sgpr_workgroup_id_y 0
		.amdhsa_system_sgpr_workgroup_id_z 0
		.amdhsa_system_sgpr_workgroup_info 0
		.amdhsa_system_vgpr_workitem_id 0
		.amdhsa_next_free_vgpr 1
		.amdhsa_next_free_sgpr 1
		.amdhsa_named_barrier_count 0
		.amdhsa_reserve_vcc 0
		.amdhsa_float_round_mode_32 0
		.amdhsa_float_round_mode_16_64 0
		.amdhsa_float_denorm_mode_32 3
		.amdhsa_float_denorm_mode_16_64 3
		.amdhsa_fp16_overflow 0
		.amdhsa_memory_ordered 1
		.amdhsa_forward_progress 1
		.amdhsa_inst_pref_size 0
		.amdhsa_round_robin_scheduling 0
		.amdhsa_exception_fp_ieee_invalid_op 0
		.amdhsa_exception_fp_denorm_src 0
		.amdhsa_exception_fp_ieee_div_zero 0
		.amdhsa_exception_fp_ieee_overflow 0
		.amdhsa_exception_fp_ieee_underflow 0
		.amdhsa_exception_fp_ieee_inexact 0
		.amdhsa_exception_int_div_zero 0
	.end_amdhsa_kernel
	.section	.text._ZN7rocprim17ROCPRIM_400000_NS6detail17trampoline_kernelINS0_14default_configENS1_21merge_config_selectorINS0_5tupleIJddEEENS0_10empty_typeEEEZNS1_10merge_implIS3_NS0_12zip_iteratorINS5_IJN6thrust23THRUST_200600_302600_NS6detail15normal_iteratorINSC_10device_ptrIKdEEEESI_EEEEESK_NSA_INS5_IJNSE_INSF_IdEEEESM_EEEEEPS7_SP_SP_NSC_11hip_rocprim7__merge17predicate_wrapperIddNSC_4lessIdEEEEEE10hipError_tPvRmT0_T1_T2_T3_T4_T5_mmT6_P12ihipStream_tbEUlT_E_NS1_11comp_targetILNS1_3genE9ELNS1_11target_archE1100ELNS1_3gpuE3ELNS1_3repE0EEENS1_30default_config_static_selectorELNS0_4arch9wavefront6targetE0EEEvS10_,"axG",@progbits,_ZN7rocprim17ROCPRIM_400000_NS6detail17trampoline_kernelINS0_14default_configENS1_21merge_config_selectorINS0_5tupleIJddEEENS0_10empty_typeEEEZNS1_10merge_implIS3_NS0_12zip_iteratorINS5_IJN6thrust23THRUST_200600_302600_NS6detail15normal_iteratorINSC_10device_ptrIKdEEEESI_EEEEESK_NSA_INS5_IJNSE_INSF_IdEEEESM_EEEEEPS7_SP_SP_NSC_11hip_rocprim7__merge17predicate_wrapperIddNSC_4lessIdEEEEEE10hipError_tPvRmT0_T1_T2_T3_T4_T5_mmT6_P12ihipStream_tbEUlT_E_NS1_11comp_targetILNS1_3genE9ELNS1_11target_archE1100ELNS1_3gpuE3ELNS1_3repE0EEENS1_30default_config_static_selectorELNS0_4arch9wavefront6targetE0EEEvS10_,comdat
.Lfunc_end8:
	.size	_ZN7rocprim17ROCPRIM_400000_NS6detail17trampoline_kernelINS0_14default_configENS1_21merge_config_selectorINS0_5tupleIJddEEENS0_10empty_typeEEEZNS1_10merge_implIS3_NS0_12zip_iteratorINS5_IJN6thrust23THRUST_200600_302600_NS6detail15normal_iteratorINSC_10device_ptrIKdEEEESI_EEEEESK_NSA_INS5_IJNSE_INSF_IdEEEESM_EEEEEPS7_SP_SP_NSC_11hip_rocprim7__merge17predicate_wrapperIddNSC_4lessIdEEEEEE10hipError_tPvRmT0_T1_T2_T3_T4_T5_mmT6_P12ihipStream_tbEUlT_E_NS1_11comp_targetILNS1_3genE9ELNS1_11target_archE1100ELNS1_3gpuE3ELNS1_3repE0EEENS1_30default_config_static_selectorELNS0_4arch9wavefront6targetE0EEEvS10_, .Lfunc_end8-_ZN7rocprim17ROCPRIM_400000_NS6detail17trampoline_kernelINS0_14default_configENS1_21merge_config_selectorINS0_5tupleIJddEEENS0_10empty_typeEEEZNS1_10merge_implIS3_NS0_12zip_iteratorINS5_IJN6thrust23THRUST_200600_302600_NS6detail15normal_iteratorINSC_10device_ptrIKdEEEESI_EEEEESK_NSA_INS5_IJNSE_INSF_IdEEEESM_EEEEEPS7_SP_SP_NSC_11hip_rocprim7__merge17predicate_wrapperIddNSC_4lessIdEEEEEE10hipError_tPvRmT0_T1_T2_T3_T4_T5_mmT6_P12ihipStream_tbEUlT_E_NS1_11comp_targetILNS1_3genE9ELNS1_11target_archE1100ELNS1_3gpuE3ELNS1_3repE0EEENS1_30default_config_static_selectorELNS0_4arch9wavefront6targetE0EEEvS10_
                                        ; -- End function
	.set _ZN7rocprim17ROCPRIM_400000_NS6detail17trampoline_kernelINS0_14default_configENS1_21merge_config_selectorINS0_5tupleIJddEEENS0_10empty_typeEEEZNS1_10merge_implIS3_NS0_12zip_iteratorINS5_IJN6thrust23THRUST_200600_302600_NS6detail15normal_iteratorINSC_10device_ptrIKdEEEESI_EEEEESK_NSA_INS5_IJNSE_INSF_IdEEEESM_EEEEEPS7_SP_SP_NSC_11hip_rocprim7__merge17predicate_wrapperIddNSC_4lessIdEEEEEE10hipError_tPvRmT0_T1_T2_T3_T4_T5_mmT6_P12ihipStream_tbEUlT_E_NS1_11comp_targetILNS1_3genE9ELNS1_11target_archE1100ELNS1_3gpuE3ELNS1_3repE0EEENS1_30default_config_static_selectorELNS0_4arch9wavefront6targetE0EEEvS10_.num_vgpr, 0
	.set _ZN7rocprim17ROCPRIM_400000_NS6detail17trampoline_kernelINS0_14default_configENS1_21merge_config_selectorINS0_5tupleIJddEEENS0_10empty_typeEEEZNS1_10merge_implIS3_NS0_12zip_iteratorINS5_IJN6thrust23THRUST_200600_302600_NS6detail15normal_iteratorINSC_10device_ptrIKdEEEESI_EEEEESK_NSA_INS5_IJNSE_INSF_IdEEEESM_EEEEEPS7_SP_SP_NSC_11hip_rocprim7__merge17predicate_wrapperIddNSC_4lessIdEEEEEE10hipError_tPvRmT0_T1_T2_T3_T4_T5_mmT6_P12ihipStream_tbEUlT_E_NS1_11comp_targetILNS1_3genE9ELNS1_11target_archE1100ELNS1_3gpuE3ELNS1_3repE0EEENS1_30default_config_static_selectorELNS0_4arch9wavefront6targetE0EEEvS10_.num_agpr, 0
	.set _ZN7rocprim17ROCPRIM_400000_NS6detail17trampoline_kernelINS0_14default_configENS1_21merge_config_selectorINS0_5tupleIJddEEENS0_10empty_typeEEEZNS1_10merge_implIS3_NS0_12zip_iteratorINS5_IJN6thrust23THRUST_200600_302600_NS6detail15normal_iteratorINSC_10device_ptrIKdEEEESI_EEEEESK_NSA_INS5_IJNSE_INSF_IdEEEESM_EEEEEPS7_SP_SP_NSC_11hip_rocprim7__merge17predicate_wrapperIddNSC_4lessIdEEEEEE10hipError_tPvRmT0_T1_T2_T3_T4_T5_mmT6_P12ihipStream_tbEUlT_E_NS1_11comp_targetILNS1_3genE9ELNS1_11target_archE1100ELNS1_3gpuE3ELNS1_3repE0EEENS1_30default_config_static_selectorELNS0_4arch9wavefront6targetE0EEEvS10_.numbered_sgpr, 0
	.set _ZN7rocprim17ROCPRIM_400000_NS6detail17trampoline_kernelINS0_14default_configENS1_21merge_config_selectorINS0_5tupleIJddEEENS0_10empty_typeEEEZNS1_10merge_implIS3_NS0_12zip_iteratorINS5_IJN6thrust23THRUST_200600_302600_NS6detail15normal_iteratorINSC_10device_ptrIKdEEEESI_EEEEESK_NSA_INS5_IJNSE_INSF_IdEEEESM_EEEEEPS7_SP_SP_NSC_11hip_rocprim7__merge17predicate_wrapperIddNSC_4lessIdEEEEEE10hipError_tPvRmT0_T1_T2_T3_T4_T5_mmT6_P12ihipStream_tbEUlT_E_NS1_11comp_targetILNS1_3genE9ELNS1_11target_archE1100ELNS1_3gpuE3ELNS1_3repE0EEENS1_30default_config_static_selectorELNS0_4arch9wavefront6targetE0EEEvS10_.num_named_barrier, 0
	.set _ZN7rocprim17ROCPRIM_400000_NS6detail17trampoline_kernelINS0_14default_configENS1_21merge_config_selectorINS0_5tupleIJddEEENS0_10empty_typeEEEZNS1_10merge_implIS3_NS0_12zip_iteratorINS5_IJN6thrust23THRUST_200600_302600_NS6detail15normal_iteratorINSC_10device_ptrIKdEEEESI_EEEEESK_NSA_INS5_IJNSE_INSF_IdEEEESM_EEEEEPS7_SP_SP_NSC_11hip_rocprim7__merge17predicate_wrapperIddNSC_4lessIdEEEEEE10hipError_tPvRmT0_T1_T2_T3_T4_T5_mmT6_P12ihipStream_tbEUlT_E_NS1_11comp_targetILNS1_3genE9ELNS1_11target_archE1100ELNS1_3gpuE3ELNS1_3repE0EEENS1_30default_config_static_selectorELNS0_4arch9wavefront6targetE0EEEvS10_.private_seg_size, 0
	.set _ZN7rocprim17ROCPRIM_400000_NS6detail17trampoline_kernelINS0_14default_configENS1_21merge_config_selectorINS0_5tupleIJddEEENS0_10empty_typeEEEZNS1_10merge_implIS3_NS0_12zip_iteratorINS5_IJN6thrust23THRUST_200600_302600_NS6detail15normal_iteratorINSC_10device_ptrIKdEEEESI_EEEEESK_NSA_INS5_IJNSE_INSF_IdEEEESM_EEEEEPS7_SP_SP_NSC_11hip_rocprim7__merge17predicate_wrapperIddNSC_4lessIdEEEEEE10hipError_tPvRmT0_T1_T2_T3_T4_T5_mmT6_P12ihipStream_tbEUlT_E_NS1_11comp_targetILNS1_3genE9ELNS1_11target_archE1100ELNS1_3gpuE3ELNS1_3repE0EEENS1_30default_config_static_selectorELNS0_4arch9wavefront6targetE0EEEvS10_.uses_vcc, 0
	.set _ZN7rocprim17ROCPRIM_400000_NS6detail17trampoline_kernelINS0_14default_configENS1_21merge_config_selectorINS0_5tupleIJddEEENS0_10empty_typeEEEZNS1_10merge_implIS3_NS0_12zip_iteratorINS5_IJN6thrust23THRUST_200600_302600_NS6detail15normal_iteratorINSC_10device_ptrIKdEEEESI_EEEEESK_NSA_INS5_IJNSE_INSF_IdEEEESM_EEEEEPS7_SP_SP_NSC_11hip_rocprim7__merge17predicate_wrapperIddNSC_4lessIdEEEEEE10hipError_tPvRmT0_T1_T2_T3_T4_T5_mmT6_P12ihipStream_tbEUlT_E_NS1_11comp_targetILNS1_3genE9ELNS1_11target_archE1100ELNS1_3gpuE3ELNS1_3repE0EEENS1_30default_config_static_selectorELNS0_4arch9wavefront6targetE0EEEvS10_.uses_flat_scratch, 0
	.set _ZN7rocprim17ROCPRIM_400000_NS6detail17trampoline_kernelINS0_14default_configENS1_21merge_config_selectorINS0_5tupleIJddEEENS0_10empty_typeEEEZNS1_10merge_implIS3_NS0_12zip_iteratorINS5_IJN6thrust23THRUST_200600_302600_NS6detail15normal_iteratorINSC_10device_ptrIKdEEEESI_EEEEESK_NSA_INS5_IJNSE_INSF_IdEEEESM_EEEEEPS7_SP_SP_NSC_11hip_rocprim7__merge17predicate_wrapperIddNSC_4lessIdEEEEEE10hipError_tPvRmT0_T1_T2_T3_T4_T5_mmT6_P12ihipStream_tbEUlT_E_NS1_11comp_targetILNS1_3genE9ELNS1_11target_archE1100ELNS1_3gpuE3ELNS1_3repE0EEENS1_30default_config_static_selectorELNS0_4arch9wavefront6targetE0EEEvS10_.has_dyn_sized_stack, 0
	.set _ZN7rocprim17ROCPRIM_400000_NS6detail17trampoline_kernelINS0_14default_configENS1_21merge_config_selectorINS0_5tupleIJddEEENS0_10empty_typeEEEZNS1_10merge_implIS3_NS0_12zip_iteratorINS5_IJN6thrust23THRUST_200600_302600_NS6detail15normal_iteratorINSC_10device_ptrIKdEEEESI_EEEEESK_NSA_INS5_IJNSE_INSF_IdEEEESM_EEEEEPS7_SP_SP_NSC_11hip_rocprim7__merge17predicate_wrapperIddNSC_4lessIdEEEEEE10hipError_tPvRmT0_T1_T2_T3_T4_T5_mmT6_P12ihipStream_tbEUlT_E_NS1_11comp_targetILNS1_3genE9ELNS1_11target_archE1100ELNS1_3gpuE3ELNS1_3repE0EEENS1_30default_config_static_selectorELNS0_4arch9wavefront6targetE0EEEvS10_.has_recursion, 0
	.set _ZN7rocprim17ROCPRIM_400000_NS6detail17trampoline_kernelINS0_14default_configENS1_21merge_config_selectorINS0_5tupleIJddEEENS0_10empty_typeEEEZNS1_10merge_implIS3_NS0_12zip_iteratorINS5_IJN6thrust23THRUST_200600_302600_NS6detail15normal_iteratorINSC_10device_ptrIKdEEEESI_EEEEESK_NSA_INS5_IJNSE_INSF_IdEEEESM_EEEEEPS7_SP_SP_NSC_11hip_rocprim7__merge17predicate_wrapperIddNSC_4lessIdEEEEEE10hipError_tPvRmT0_T1_T2_T3_T4_T5_mmT6_P12ihipStream_tbEUlT_E_NS1_11comp_targetILNS1_3genE9ELNS1_11target_archE1100ELNS1_3gpuE3ELNS1_3repE0EEENS1_30default_config_static_selectorELNS0_4arch9wavefront6targetE0EEEvS10_.has_indirect_call, 0
	.section	.AMDGPU.csdata,"",@progbits
; Kernel info:
; codeLenInByte = 0
; TotalNumSgprs: 0
; NumVgprs: 0
; ScratchSize: 0
; MemoryBound: 0
; FloatMode: 240
; IeeeMode: 1
; LDSByteSize: 0 bytes/workgroup (compile time only)
; SGPRBlocks: 0
; VGPRBlocks: 0
; NumSGPRsForWavesPerEU: 1
; NumVGPRsForWavesPerEU: 1
; NamedBarCnt: 0
; Occupancy: 16
; WaveLimiterHint : 0
; COMPUTE_PGM_RSRC2:SCRATCH_EN: 0
; COMPUTE_PGM_RSRC2:USER_SGPR: 2
; COMPUTE_PGM_RSRC2:TRAP_HANDLER: 0
; COMPUTE_PGM_RSRC2:TGID_X_EN: 1
; COMPUTE_PGM_RSRC2:TGID_Y_EN: 0
; COMPUTE_PGM_RSRC2:TGID_Z_EN: 0
; COMPUTE_PGM_RSRC2:TIDIG_COMP_CNT: 0
	.section	.text._ZN7rocprim17ROCPRIM_400000_NS6detail17trampoline_kernelINS0_14default_configENS1_21merge_config_selectorINS0_5tupleIJddEEENS0_10empty_typeEEEZNS1_10merge_implIS3_NS0_12zip_iteratorINS5_IJN6thrust23THRUST_200600_302600_NS6detail15normal_iteratorINSC_10device_ptrIKdEEEESI_EEEEESK_NSA_INS5_IJNSE_INSF_IdEEEESM_EEEEEPS7_SP_SP_NSC_11hip_rocprim7__merge17predicate_wrapperIddNSC_4lessIdEEEEEE10hipError_tPvRmT0_T1_T2_T3_T4_T5_mmT6_P12ihipStream_tbEUlT_E_NS1_11comp_targetILNS1_3genE8ELNS1_11target_archE1030ELNS1_3gpuE2ELNS1_3repE0EEENS1_30default_config_static_selectorELNS0_4arch9wavefront6targetE0EEEvS10_,"axG",@progbits,_ZN7rocprim17ROCPRIM_400000_NS6detail17trampoline_kernelINS0_14default_configENS1_21merge_config_selectorINS0_5tupleIJddEEENS0_10empty_typeEEEZNS1_10merge_implIS3_NS0_12zip_iteratorINS5_IJN6thrust23THRUST_200600_302600_NS6detail15normal_iteratorINSC_10device_ptrIKdEEEESI_EEEEESK_NSA_INS5_IJNSE_INSF_IdEEEESM_EEEEEPS7_SP_SP_NSC_11hip_rocprim7__merge17predicate_wrapperIddNSC_4lessIdEEEEEE10hipError_tPvRmT0_T1_T2_T3_T4_T5_mmT6_P12ihipStream_tbEUlT_E_NS1_11comp_targetILNS1_3genE8ELNS1_11target_archE1030ELNS1_3gpuE2ELNS1_3repE0EEENS1_30default_config_static_selectorELNS0_4arch9wavefront6targetE0EEEvS10_,comdat
	.protected	_ZN7rocprim17ROCPRIM_400000_NS6detail17trampoline_kernelINS0_14default_configENS1_21merge_config_selectorINS0_5tupleIJddEEENS0_10empty_typeEEEZNS1_10merge_implIS3_NS0_12zip_iteratorINS5_IJN6thrust23THRUST_200600_302600_NS6detail15normal_iteratorINSC_10device_ptrIKdEEEESI_EEEEESK_NSA_INS5_IJNSE_INSF_IdEEEESM_EEEEEPS7_SP_SP_NSC_11hip_rocprim7__merge17predicate_wrapperIddNSC_4lessIdEEEEEE10hipError_tPvRmT0_T1_T2_T3_T4_T5_mmT6_P12ihipStream_tbEUlT_E_NS1_11comp_targetILNS1_3genE8ELNS1_11target_archE1030ELNS1_3gpuE2ELNS1_3repE0EEENS1_30default_config_static_selectorELNS0_4arch9wavefront6targetE0EEEvS10_ ; -- Begin function _ZN7rocprim17ROCPRIM_400000_NS6detail17trampoline_kernelINS0_14default_configENS1_21merge_config_selectorINS0_5tupleIJddEEENS0_10empty_typeEEEZNS1_10merge_implIS3_NS0_12zip_iteratorINS5_IJN6thrust23THRUST_200600_302600_NS6detail15normal_iteratorINSC_10device_ptrIKdEEEESI_EEEEESK_NSA_INS5_IJNSE_INSF_IdEEEESM_EEEEEPS7_SP_SP_NSC_11hip_rocprim7__merge17predicate_wrapperIddNSC_4lessIdEEEEEE10hipError_tPvRmT0_T1_T2_T3_T4_T5_mmT6_P12ihipStream_tbEUlT_E_NS1_11comp_targetILNS1_3genE8ELNS1_11target_archE1030ELNS1_3gpuE2ELNS1_3repE0EEENS1_30default_config_static_selectorELNS0_4arch9wavefront6targetE0EEEvS10_
	.globl	_ZN7rocprim17ROCPRIM_400000_NS6detail17trampoline_kernelINS0_14default_configENS1_21merge_config_selectorINS0_5tupleIJddEEENS0_10empty_typeEEEZNS1_10merge_implIS3_NS0_12zip_iteratorINS5_IJN6thrust23THRUST_200600_302600_NS6detail15normal_iteratorINSC_10device_ptrIKdEEEESI_EEEEESK_NSA_INS5_IJNSE_INSF_IdEEEESM_EEEEEPS7_SP_SP_NSC_11hip_rocprim7__merge17predicate_wrapperIddNSC_4lessIdEEEEEE10hipError_tPvRmT0_T1_T2_T3_T4_T5_mmT6_P12ihipStream_tbEUlT_E_NS1_11comp_targetILNS1_3genE8ELNS1_11target_archE1030ELNS1_3gpuE2ELNS1_3repE0EEENS1_30default_config_static_selectorELNS0_4arch9wavefront6targetE0EEEvS10_
	.p2align	8
	.type	_ZN7rocprim17ROCPRIM_400000_NS6detail17trampoline_kernelINS0_14default_configENS1_21merge_config_selectorINS0_5tupleIJddEEENS0_10empty_typeEEEZNS1_10merge_implIS3_NS0_12zip_iteratorINS5_IJN6thrust23THRUST_200600_302600_NS6detail15normal_iteratorINSC_10device_ptrIKdEEEESI_EEEEESK_NSA_INS5_IJNSE_INSF_IdEEEESM_EEEEEPS7_SP_SP_NSC_11hip_rocprim7__merge17predicate_wrapperIddNSC_4lessIdEEEEEE10hipError_tPvRmT0_T1_T2_T3_T4_T5_mmT6_P12ihipStream_tbEUlT_E_NS1_11comp_targetILNS1_3genE8ELNS1_11target_archE1030ELNS1_3gpuE2ELNS1_3repE0EEENS1_30default_config_static_selectorELNS0_4arch9wavefront6targetE0EEEvS10_,@function
_ZN7rocprim17ROCPRIM_400000_NS6detail17trampoline_kernelINS0_14default_configENS1_21merge_config_selectorINS0_5tupleIJddEEENS0_10empty_typeEEEZNS1_10merge_implIS3_NS0_12zip_iteratorINS5_IJN6thrust23THRUST_200600_302600_NS6detail15normal_iteratorINSC_10device_ptrIKdEEEESI_EEEEESK_NSA_INS5_IJNSE_INSF_IdEEEESM_EEEEEPS7_SP_SP_NSC_11hip_rocprim7__merge17predicate_wrapperIddNSC_4lessIdEEEEEE10hipError_tPvRmT0_T1_T2_T3_T4_T5_mmT6_P12ihipStream_tbEUlT_E_NS1_11comp_targetILNS1_3genE8ELNS1_11target_archE1030ELNS1_3gpuE2ELNS1_3repE0EEENS1_30default_config_static_selectorELNS0_4arch9wavefront6targetE0EEEvS10_: ; @_ZN7rocprim17ROCPRIM_400000_NS6detail17trampoline_kernelINS0_14default_configENS1_21merge_config_selectorINS0_5tupleIJddEEENS0_10empty_typeEEEZNS1_10merge_implIS3_NS0_12zip_iteratorINS5_IJN6thrust23THRUST_200600_302600_NS6detail15normal_iteratorINSC_10device_ptrIKdEEEESI_EEEEESK_NSA_INS5_IJNSE_INSF_IdEEEESM_EEEEEPS7_SP_SP_NSC_11hip_rocprim7__merge17predicate_wrapperIddNSC_4lessIdEEEEEE10hipError_tPvRmT0_T1_T2_T3_T4_T5_mmT6_P12ihipStream_tbEUlT_E_NS1_11comp_targetILNS1_3genE8ELNS1_11target_archE1030ELNS1_3gpuE2ELNS1_3repE0EEENS1_30default_config_static_selectorELNS0_4arch9wavefront6targetE0EEEvS10_
; %bb.0:
	.section	.rodata,"a",@progbits
	.p2align	6, 0x0
	.amdhsa_kernel _ZN7rocprim17ROCPRIM_400000_NS6detail17trampoline_kernelINS0_14default_configENS1_21merge_config_selectorINS0_5tupleIJddEEENS0_10empty_typeEEEZNS1_10merge_implIS3_NS0_12zip_iteratorINS5_IJN6thrust23THRUST_200600_302600_NS6detail15normal_iteratorINSC_10device_ptrIKdEEEESI_EEEEESK_NSA_INS5_IJNSE_INSF_IdEEEESM_EEEEEPS7_SP_SP_NSC_11hip_rocprim7__merge17predicate_wrapperIddNSC_4lessIdEEEEEE10hipError_tPvRmT0_T1_T2_T3_T4_T5_mmT6_P12ihipStream_tbEUlT_E_NS1_11comp_targetILNS1_3genE8ELNS1_11target_archE1030ELNS1_3gpuE2ELNS1_3repE0EEENS1_30default_config_static_selectorELNS0_4arch9wavefront6targetE0EEEvS10_
		.amdhsa_group_segment_fixed_size 0
		.amdhsa_private_segment_fixed_size 0
		.amdhsa_kernarg_size 64
		.amdhsa_user_sgpr_count 2
		.amdhsa_user_sgpr_dispatch_ptr 0
		.amdhsa_user_sgpr_queue_ptr 0
		.amdhsa_user_sgpr_kernarg_segment_ptr 1
		.amdhsa_user_sgpr_dispatch_id 0
		.amdhsa_user_sgpr_kernarg_preload_length 0
		.amdhsa_user_sgpr_kernarg_preload_offset 0
		.amdhsa_user_sgpr_private_segment_size 0
		.amdhsa_wavefront_size32 1
		.amdhsa_uses_dynamic_stack 0
		.amdhsa_enable_private_segment 0
		.amdhsa_system_sgpr_workgroup_id_x 1
		.amdhsa_system_sgpr_workgroup_id_y 0
		.amdhsa_system_sgpr_workgroup_id_z 0
		.amdhsa_system_sgpr_workgroup_info 0
		.amdhsa_system_vgpr_workitem_id 0
		.amdhsa_next_free_vgpr 1
		.amdhsa_next_free_sgpr 1
		.amdhsa_named_barrier_count 0
		.amdhsa_reserve_vcc 0
		.amdhsa_float_round_mode_32 0
		.amdhsa_float_round_mode_16_64 0
		.amdhsa_float_denorm_mode_32 3
		.amdhsa_float_denorm_mode_16_64 3
		.amdhsa_fp16_overflow 0
		.amdhsa_memory_ordered 1
		.amdhsa_forward_progress 1
		.amdhsa_inst_pref_size 0
		.amdhsa_round_robin_scheduling 0
		.amdhsa_exception_fp_ieee_invalid_op 0
		.amdhsa_exception_fp_denorm_src 0
		.amdhsa_exception_fp_ieee_div_zero 0
		.amdhsa_exception_fp_ieee_overflow 0
		.amdhsa_exception_fp_ieee_underflow 0
		.amdhsa_exception_fp_ieee_inexact 0
		.amdhsa_exception_int_div_zero 0
	.end_amdhsa_kernel
	.section	.text._ZN7rocprim17ROCPRIM_400000_NS6detail17trampoline_kernelINS0_14default_configENS1_21merge_config_selectorINS0_5tupleIJddEEENS0_10empty_typeEEEZNS1_10merge_implIS3_NS0_12zip_iteratorINS5_IJN6thrust23THRUST_200600_302600_NS6detail15normal_iteratorINSC_10device_ptrIKdEEEESI_EEEEESK_NSA_INS5_IJNSE_INSF_IdEEEESM_EEEEEPS7_SP_SP_NSC_11hip_rocprim7__merge17predicate_wrapperIddNSC_4lessIdEEEEEE10hipError_tPvRmT0_T1_T2_T3_T4_T5_mmT6_P12ihipStream_tbEUlT_E_NS1_11comp_targetILNS1_3genE8ELNS1_11target_archE1030ELNS1_3gpuE2ELNS1_3repE0EEENS1_30default_config_static_selectorELNS0_4arch9wavefront6targetE0EEEvS10_,"axG",@progbits,_ZN7rocprim17ROCPRIM_400000_NS6detail17trampoline_kernelINS0_14default_configENS1_21merge_config_selectorINS0_5tupleIJddEEENS0_10empty_typeEEEZNS1_10merge_implIS3_NS0_12zip_iteratorINS5_IJN6thrust23THRUST_200600_302600_NS6detail15normal_iteratorINSC_10device_ptrIKdEEEESI_EEEEESK_NSA_INS5_IJNSE_INSF_IdEEEESM_EEEEEPS7_SP_SP_NSC_11hip_rocprim7__merge17predicate_wrapperIddNSC_4lessIdEEEEEE10hipError_tPvRmT0_T1_T2_T3_T4_T5_mmT6_P12ihipStream_tbEUlT_E_NS1_11comp_targetILNS1_3genE8ELNS1_11target_archE1030ELNS1_3gpuE2ELNS1_3repE0EEENS1_30default_config_static_selectorELNS0_4arch9wavefront6targetE0EEEvS10_,comdat
.Lfunc_end9:
	.size	_ZN7rocprim17ROCPRIM_400000_NS6detail17trampoline_kernelINS0_14default_configENS1_21merge_config_selectorINS0_5tupleIJddEEENS0_10empty_typeEEEZNS1_10merge_implIS3_NS0_12zip_iteratorINS5_IJN6thrust23THRUST_200600_302600_NS6detail15normal_iteratorINSC_10device_ptrIKdEEEESI_EEEEESK_NSA_INS5_IJNSE_INSF_IdEEEESM_EEEEEPS7_SP_SP_NSC_11hip_rocprim7__merge17predicate_wrapperIddNSC_4lessIdEEEEEE10hipError_tPvRmT0_T1_T2_T3_T4_T5_mmT6_P12ihipStream_tbEUlT_E_NS1_11comp_targetILNS1_3genE8ELNS1_11target_archE1030ELNS1_3gpuE2ELNS1_3repE0EEENS1_30default_config_static_selectorELNS0_4arch9wavefront6targetE0EEEvS10_, .Lfunc_end9-_ZN7rocprim17ROCPRIM_400000_NS6detail17trampoline_kernelINS0_14default_configENS1_21merge_config_selectorINS0_5tupleIJddEEENS0_10empty_typeEEEZNS1_10merge_implIS3_NS0_12zip_iteratorINS5_IJN6thrust23THRUST_200600_302600_NS6detail15normal_iteratorINSC_10device_ptrIKdEEEESI_EEEEESK_NSA_INS5_IJNSE_INSF_IdEEEESM_EEEEEPS7_SP_SP_NSC_11hip_rocprim7__merge17predicate_wrapperIddNSC_4lessIdEEEEEE10hipError_tPvRmT0_T1_T2_T3_T4_T5_mmT6_P12ihipStream_tbEUlT_E_NS1_11comp_targetILNS1_3genE8ELNS1_11target_archE1030ELNS1_3gpuE2ELNS1_3repE0EEENS1_30default_config_static_selectorELNS0_4arch9wavefront6targetE0EEEvS10_
                                        ; -- End function
	.set _ZN7rocprim17ROCPRIM_400000_NS6detail17trampoline_kernelINS0_14default_configENS1_21merge_config_selectorINS0_5tupleIJddEEENS0_10empty_typeEEEZNS1_10merge_implIS3_NS0_12zip_iteratorINS5_IJN6thrust23THRUST_200600_302600_NS6detail15normal_iteratorINSC_10device_ptrIKdEEEESI_EEEEESK_NSA_INS5_IJNSE_INSF_IdEEEESM_EEEEEPS7_SP_SP_NSC_11hip_rocprim7__merge17predicate_wrapperIddNSC_4lessIdEEEEEE10hipError_tPvRmT0_T1_T2_T3_T4_T5_mmT6_P12ihipStream_tbEUlT_E_NS1_11comp_targetILNS1_3genE8ELNS1_11target_archE1030ELNS1_3gpuE2ELNS1_3repE0EEENS1_30default_config_static_selectorELNS0_4arch9wavefront6targetE0EEEvS10_.num_vgpr, 0
	.set _ZN7rocprim17ROCPRIM_400000_NS6detail17trampoline_kernelINS0_14default_configENS1_21merge_config_selectorINS0_5tupleIJddEEENS0_10empty_typeEEEZNS1_10merge_implIS3_NS0_12zip_iteratorINS5_IJN6thrust23THRUST_200600_302600_NS6detail15normal_iteratorINSC_10device_ptrIKdEEEESI_EEEEESK_NSA_INS5_IJNSE_INSF_IdEEEESM_EEEEEPS7_SP_SP_NSC_11hip_rocprim7__merge17predicate_wrapperIddNSC_4lessIdEEEEEE10hipError_tPvRmT0_T1_T2_T3_T4_T5_mmT6_P12ihipStream_tbEUlT_E_NS1_11comp_targetILNS1_3genE8ELNS1_11target_archE1030ELNS1_3gpuE2ELNS1_3repE0EEENS1_30default_config_static_selectorELNS0_4arch9wavefront6targetE0EEEvS10_.num_agpr, 0
	.set _ZN7rocprim17ROCPRIM_400000_NS6detail17trampoline_kernelINS0_14default_configENS1_21merge_config_selectorINS0_5tupleIJddEEENS0_10empty_typeEEEZNS1_10merge_implIS3_NS0_12zip_iteratorINS5_IJN6thrust23THRUST_200600_302600_NS6detail15normal_iteratorINSC_10device_ptrIKdEEEESI_EEEEESK_NSA_INS5_IJNSE_INSF_IdEEEESM_EEEEEPS7_SP_SP_NSC_11hip_rocprim7__merge17predicate_wrapperIddNSC_4lessIdEEEEEE10hipError_tPvRmT0_T1_T2_T3_T4_T5_mmT6_P12ihipStream_tbEUlT_E_NS1_11comp_targetILNS1_3genE8ELNS1_11target_archE1030ELNS1_3gpuE2ELNS1_3repE0EEENS1_30default_config_static_selectorELNS0_4arch9wavefront6targetE0EEEvS10_.numbered_sgpr, 0
	.set _ZN7rocprim17ROCPRIM_400000_NS6detail17trampoline_kernelINS0_14default_configENS1_21merge_config_selectorINS0_5tupleIJddEEENS0_10empty_typeEEEZNS1_10merge_implIS3_NS0_12zip_iteratorINS5_IJN6thrust23THRUST_200600_302600_NS6detail15normal_iteratorINSC_10device_ptrIKdEEEESI_EEEEESK_NSA_INS5_IJNSE_INSF_IdEEEESM_EEEEEPS7_SP_SP_NSC_11hip_rocprim7__merge17predicate_wrapperIddNSC_4lessIdEEEEEE10hipError_tPvRmT0_T1_T2_T3_T4_T5_mmT6_P12ihipStream_tbEUlT_E_NS1_11comp_targetILNS1_3genE8ELNS1_11target_archE1030ELNS1_3gpuE2ELNS1_3repE0EEENS1_30default_config_static_selectorELNS0_4arch9wavefront6targetE0EEEvS10_.num_named_barrier, 0
	.set _ZN7rocprim17ROCPRIM_400000_NS6detail17trampoline_kernelINS0_14default_configENS1_21merge_config_selectorINS0_5tupleIJddEEENS0_10empty_typeEEEZNS1_10merge_implIS3_NS0_12zip_iteratorINS5_IJN6thrust23THRUST_200600_302600_NS6detail15normal_iteratorINSC_10device_ptrIKdEEEESI_EEEEESK_NSA_INS5_IJNSE_INSF_IdEEEESM_EEEEEPS7_SP_SP_NSC_11hip_rocprim7__merge17predicate_wrapperIddNSC_4lessIdEEEEEE10hipError_tPvRmT0_T1_T2_T3_T4_T5_mmT6_P12ihipStream_tbEUlT_E_NS1_11comp_targetILNS1_3genE8ELNS1_11target_archE1030ELNS1_3gpuE2ELNS1_3repE0EEENS1_30default_config_static_selectorELNS0_4arch9wavefront6targetE0EEEvS10_.private_seg_size, 0
	.set _ZN7rocprim17ROCPRIM_400000_NS6detail17trampoline_kernelINS0_14default_configENS1_21merge_config_selectorINS0_5tupleIJddEEENS0_10empty_typeEEEZNS1_10merge_implIS3_NS0_12zip_iteratorINS5_IJN6thrust23THRUST_200600_302600_NS6detail15normal_iteratorINSC_10device_ptrIKdEEEESI_EEEEESK_NSA_INS5_IJNSE_INSF_IdEEEESM_EEEEEPS7_SP_SP_NSC_11hip_rocprim7__merge17predicate_wrapperIddNSC_4lessIdEEEEEE10hipError_tPvRmT0_T1_T2_T3_T4_T5_mmT6_P12ihipStream_tbEUlT_E_NS1_11comp_targetILNS1_3genE8ELNS1_11target_archE1030ELNS1_3gpuE2ELNS1_3repE0EEENS1_30default_config_static_selectorELNS0_4arch9wavefront6targetE0EEEvS10_.uses_vcc, 0
	.set _ZN7rocprim17ROCPRIM_400000_NS6detail17trampoline_kernelINS0_14default_configENS1_21merge_config_selectorINS0_5tupleIJddEEENS0_10empty_typeEEEZNS1_10merge_implIS3_NS0_12zip_iteratorINS5_IJN6thrust23THRUST_200600_302600_NS6detail15normal_iteratorINSC_10device_ptrIKdEEEESI_EEEEESK_NSA_INS5_IJNSE_INSF_IdEEEESM_EEEEEPS7_SP_SP_NSC_11hip_rocprim7__merge17predicate_wrapperIddNSC_4lessIdEEEEEE10hipError_tPvRmT0_T1_T2_T3_T4_T5_mmT6_P12ihipStream_tbEUlT_E_NS1_11comp_targetILNS1_3genE8ELNS1_11target_archE1030ELNS1_3gpuE2ELNS1_3repE0EEENS1_30default_config_static_selectorELNS0_4arch9wavefront6targetE0EEEvS10_.uses_flat_scratch, 0
	.set _ZN7rocprim17ROCPRIM_400000_NS6detail17trampoline_kernelINS0_14default_configENS1_21merge_config_selectorINS0_5tupleIJddEEENS0_10empty_typeEEEZNS1_10merge_implIS3_NS0_12zip_iteratorINS5_IJN6thrust23THRUST_200600_302600_NS6detail15normal_iteratorINSC_10device_ptrIKdEEEESI_EEEEESK_NSA_INS5_IJNSE_INSF_IdEEEESM_EEEEEPS7_SP_SP_NSC_11hip_rocprim7__merge17predicate_wrapperIddNSC_4lessIdEEEEEE10hipError_tPvRmT0_T1_T2_T3_T4_T5_mmT6_P12ihipStream_tbEUlT_E_NS1_11comp_targetILNS1_3genE8ELNS1_11target_archE1030ELNS1_3gpuE2ELNS1_3repE0EEENS1_30default_config_static_selectorELNS0_4arch9wavefront6targetE0EEEvS10_.has_dyn_sized_stack, 0
	.set _ZN7rocprim17ROCPRIM_400000_NS6detail17trampoline_kernelINS0_14default_configENS1_21merge_config_selectorINS0_5tupleIJddEEENS0_10empty_typeEEEZNS1_10merge_implIS3_NS0_12zip_iteratorINS5_IJN6thrust23THRUST_200600_302600_NS6detail15normal_iteratorINSC_10device_ptrIKdEEEESI_EEEEESK_NSA_INS5_IJNSE_INSF_IdEEEESM_EEEEEPS7_SP_SP_NSC_11hip_rocprim7__merge17predicate_wrapperIddNSC_4lessIdEEEEEE10hipError_tPvRmT0_T1_T2_T3_T4_T5_mmT6_P12ihipStream_tbEUlT_E_NS1_11comp_targetILNS1_3genE8ELNS1_11target_archE1030ELNS1_3gpuE2ELNS1_3repE0EEENS1_30default_config_static_selectorELNS0_4arch9wavefront6targetE0EEEvS10_.has_recursion, 0
	.set _ZN7rocprim17ROCPRIM_400000_NS6detail17trampoline_kernelINS0_14default_configENS1_21merge_config_selectorINS0_5tupleIJddEEENS0_10empty_typeEEEZNS1_10merge_implIS3_NS0_12zip_iteratorINS5_IJN6thrust23THRUST_200600_302600_NS6detail15normal_iteratorINSC_10device_ptrIKdEEEESI_EEEEESK_NSA_INS5_IJNSE_INSF_IdEEEESM_EEEEEPS7_SP_SP_NSC_11hip_rocprim7__merge17predicate_wrapperIddNSC_4lessIdEEEEEE10hipError_tPvRmT0_T1_T2_T3_T4_T5_mmT6_P12ihipStream_tbEUlT_E_NS1_11comp_targetILNS1_3genE8ELNS1_11target_archE1030ELNS1_3gpuE2ELNS1_3repE0EEENS1_30default_config_static_selectorELNS0_4arch9wavefront6targetE0EEEvS10_.has_indirect_call, 0
	.section	.AMDGPU.csdata,"",@progbits
; Kernel info:
; codeLenInByte = 0
; TotalNumSgprs: 0
; NumVgprs: 0
; ScratchSize: 0
; MemoryBound: 0
; FloatMode: 240
; IeeeMode: 1
; LDSByteSize: 0 bytes/workgroup (compile time only)
; SGPRBlocks: 0
; VGPRBlocks: 0
; NumSGPRsForWavesPerEU: 1
; NumVGPRsForWavesPerEU: 1
; NamedBarCnt: 0
; Occupancy: 16
; WaveLimiterHint : 0
; COMPUTE_PGM_RSRC2:SCRATCH_EN: 0
; COMPUTE_PGM_RSRC2:USER_SGPR: 2
; COMPUTE_PGM_RSRC2:TRAP_HANDLER: 0
; COMPUTE_PGM_RSRC2:TGID_X_EN: 1
; COMPUTE_PGM_RSRC2:TGID_Y_EN: 0
; COMPUTE_PGM_RSRC2:TGID_Z_EN: 0
; COMPUTE_PGM_RSRC2:TIDIG_COMP_CNT: 0
	.section	.text._ZN7rocprim17ROCPRIM_400000_NS6detail17trampoline_kernelINS0_14default_configENS1_21merge_config_selectorINS0_5tupleIJddEEENS0_10empty_typeEEEZNS1_10merge_implIS3_NS0_12zip_iteratorINS5_IJN6thrust23THRUST_200600_302600_NS6detail15normal_iteratorINSC_10device_ptrIKdEEEESI_EEEEESK_NSA_INS5_IJNSE_INSF_IdEEEESM_EEEEEPS7_SP_SP_NSC_11hip_rocprim7__merge17predicate_wrapperIddNSC_4lessIdEEEEEE10hipError_tPvRmT0_T1_T2_T3_T4_T5_mmT6_P12ihipStream_tbEUlT_E0_NS1_11comp_targetILNS1_3genE0ELNS1_11target_archE4294967295ELNS1_3gpuE0ELNS1_3repE0EEENS1_30default_config_static_selectorELNS0_4arch9wavefront6targetE0EEEvS10_,"axG",@progbits,_ZN7rocprim17ROCPRIM_400000_NS6detail17trampoline_kernelINS0_14default_configENS1_21merge_config_selectorINS0_5tupleIJddEEENS0_10empty_typeEEEZNS1_10merge_implIS3_NS0_12zip_iteratorINS5_IJN6thrust23THRUST_200600_302600_NS6detail15normal_iteratorINSC_10device_ptrIKdEEEESI_EEEEESK_NSA_INS5_IJNSE_INSF_IdEEEESM_EEEEEPS7_SP_SP_NSC_11hip_rocprim7__merge17predicate_wrapperIddNSC_4lessIdEEEEEE10hipError_tPvRmT0_T1_T2_T3_T4_T5_mmT6_P12ihipStream_tbEUlT_E0_NS1_11comp_targetILNS1_3genE0ELNS1_11target_archE4294967295ELNS1_3gpuE0ELNS1_3repE0EEENS1_30default_config_static_selectorELNS0_4arch9wavefront6targetE0EEEvS10_,comdat
	.protected	_ZN7rocprim17ROCPRIM_400000_NS6detail17trampoline_kernelINS0_14default_configENS1_21merge_config_selectorINS0_5tupleIJddEEENS0_10empty_typeEEEZNS1_10merge_implIS3_NS0_12zip_iteratorINS5_IJN6thrust23THRUST_200600_302600_NS6detail15normal_iteratorINSC_10device_ptrIKdEEEESI_EEEEESK_NSA_INS5_IJNSE_INSF_IdEEEESM_EEEEEPS7_SP_SP_NSC_11hip_rocprim7__merge17predicate_wrapperIddNSC_4lessIdEEEEEE10hipError_tPvRmT0_T1_T2_T3_T4_T5_mmT6_P12ihipStream_tbEUlT_E0_NS1_11comp_targetILNS1_3genE0ELNS1_11target_archE4294967295ELNS1_3gpuE0ELNS1_3repE0EEENS1_30default_config_static_selectorELNS0_4arch9wavefront6targetE0EEEvS10_ ; -- Begin function _ZN7rocprim17ROCPRIM_400000_NS6detail17trampoline_kernelINS0_14default_configENS1_21merge_config_selectorINS0_5tupleIJddEEENS0_10empty_typeEEEZNS1_10merge_implIS3_NS0_12zip_iteratorINS5_IJN6thrust23THRUST_200600_302600_NS6detail15normal_iteratorINSC_10device_ptrIKdEEEESI_EEEEESK_NSA_INS5_IJNSE_INSF_IdEEEESM_EEEEEPS7_SP_SP_NSC_11hip_rocprim7__merge17predicate_wrapperIddNSC_4lessIdEEEEEE10hipError_tPvRmT0_T1_T2_T3_T4_T5_mmT6_P12ihipStream_tbEUlT_E0_NS1_11comp_targetILNS1_3genE0ELNS1_11target_archE4294967295ELNS1_3gpuE0ELNS1_3repE0EEENS1_30default_config_static_selectorELNS0_4arch9wavefront6targetE0EEEvS10_
	.globl	_ZN7rocprim17ROCPRIM_400000_NS6detail17trampoline_kernelINS0_14default_configENS1_21merge_config_selectorINS0_5tupleIJddEEENS0_10empty_typeEEEZNS1_10merge_implIS3_NS0_12zip_iteratorINS5_IJN6thrust23THRUST_200600_302600_NS6detail15normal_iteratorINSC_10device_ptrIKdEEEESI_EEEEESK_NSA_INS5_IJNSE_INSF_IdEEEESM_EEEEEPS7_SP_SP_NSC_11hip_rocprim7__merge17predicate_wrapperIddNSC_4lessIdEEEEEE10hipError_tPvRmT0_T1_T2_T3_T4_T5_mmT6_P12ihipStream_tbEUlT_E0_NS1_11comp_targetILNS1_3genE0ELNS1_11target_archE4294967295ELNS1_3gpuE0ELNS1_3repE0EEENS1_30default_config_static_selectorELNS0_4arch9wavefront6targetE0EEEvS10_
	.p2align	8
	.type	_ZN7rocprim17ROCPRIM_400000_NS6detail17trampoline_kernelINS0_14default_configENS1_21merge_config_selectorINS0_5tupleIJddEEENS0_10empty_typeEEEZNS1_10merge_implIS3_NS0_12zip_iteratorINS5_IJN6thrust23THRUST_200600_302600_NS6detail15normal_iteratorINSC_10device_ptrIKdEEEESI_EEEEESK_NSA_INS5_IJNSE_INSF_IdEEEESM_EEEEEPS7_SP_SP_NSC_11hip_rocprim7__merge17predicate_wrapperIddNSC_4lessIdEEEEEE10hipError_tPvRmT0_T1_T2_T3_T4_T5_mmT6_P12ihipStream_tbEUlT_E0_NS1_11comp_targetILNS1_3genE0ELNS1_11target_archE4294967295ELNS1_3gpuE0ELNS1_3repE0EEENS1_30default_config_static_selectorELNS0_4arch9wavefront6targetE0EEEvS10_,@function
_ZN7rocprim17ROCPRIM_400000_NS6detail17trampoline_kernelINS0_14default_configENS1_21merge_config_selectorINS0_5tupleIJddEEENS0_10empty_typeEEEZNS1_10merge_implIS3_NS0_12zip_iteratorINS5_IJN6thrust23THRUST_200600_302600_NS6detail15normal_iteratorINSC_10device_ptrIKdEEEESI_EEEEESK_NSA_INS5_IJNSE_INSF_IdEEEESM_EEEEEPS7_SP_SP_NSC_11hip_rocprim7__merge17predicate_wrapperIddNSC_4lessIdEEEEEE10hipError_tPvRmT0_T1_T2_T3_T4_T5_mmT6_P12ihipStream_tbEUlT_E0_NS1_11comp_targetILNS1_3genE0ELNS1_11target_archE4294967295ELNS1_3gpuE0ELNS1_3repE0EEENS1_30default_config_static_selectorELNS0_4arch9wavefront6targetE0EEEvS10_: ; @_ZN7rocprim17ROCPRIM_400000_NS6detail17trampoline_kernelINS0_14default_configENS1_21merge_config_selectorINS0_5tupleIJddEEENS0_10empty_typeEEEZNS1_10merge_implIS3_NS0_12zip_iteratorINS5_IJN6thrust23THRUST_200600_302600_NS6detail15normal_iteratorINSC_10device_ptrIKdEEEESI_EEEEESK_NSA_INS5_IJNSE_INSF_IdEEEESM_EEEEEPS7_SP_SP_NSC_11hip_rocprim7__merge17predicate_wrapperIddNSC_4lessIdEEEEEE10hipError_tPvRmT0_T1_T2_T3_T4_T5_mmT6_P12ihipStream_tbEUlT_E0_NS1_11comp_targetILNS1_3genE0ELNS1_11target_archE4294967295ELNS1_3gpuE0ELNS1_3repE0EEENS1_30default_config_static_selectorELNS0_4arch9wavefront6targetE0EEEvS10_
; %bb.0:
	s_clause 0x1
	s_load_b128 s[12:15], s[0:1], 0x58
	s_load_b256 s[4:11], s[0:1], 0x8
	s_bfe_u32 s2, ttmp6, 0x4000c
	s_and_b32 s3, ttmp6, 15
	s_add_co_i32 s2, s2, 1
	s_wait_kmcnt 0x0
	s_getreg_b32 s13, hwreg(HW_REG_IB_STS2, 6, 4)
	s_mul_i32 s2, ttmp9, s2
	v_mov_b32_e32 v1, 0
	s_add_co_i32 s3, s3, s2
	s_cmp_eq_u32 s13, 0
	s_cselect_b32 s16, ttmp9, s3
	s_delay_alu instid0(SALU_CYCLE_1) | instskip(SKIP_1) | instid1(SALU_CYCLE_1)
	s_add_co_i32 s3, s16, 1
	s_add_co_i32 s24, s14, s12
	;; [unrolled: 1-line block ×3, first 2 shown]
	s_delay_alu instid0(SALU_CYCLE_1) | instskip(NEXT) | instid1(SALU_CYCLE_1)
	s_lshr_b32 s2, s2, 10
	s_min_u32 s17, s16, s2
	s_min_u32 s3, s3, s2
	s_clause 0x1
	s_load_b32 s2, s[4:5], s17 offset:0x0 scale_offset
	s_load_b32 s20, s[4:5], s3 offset:0x0 scale_offset
	s_load_b128 s[12:15], s[0:1], 0x28
	s_wait_xcnt 0x0
	s_mov_b32 s3, 0
	s_lshl_b32 s4, s16, 10
	s_mov_b32 s17, s3
	s_add_co_i32 s5, s4, 0x400
	s_delay_alu instid0(SALU_CYCLE_1)
	s_min_u32 s5, s24, s5
	s_wait_kmcnt 0x0
	s_sub_co_i32 s16, s4, s2
	s_lshl_b64 s[22:23], s[2:3], 3
	s_sub_co_i32 s2, s20, s2
	s_lshl_b64 s[18:19], s[16:17], 3
	s_add_co_i32 s20, s16, s20
	s_add_nc_u64 s[16:17], s[10:11], s[18:19]
	s_sub_co_i32 s10, s5, s20
	s_mov_b32 s11, s3
	s_add_nc_u64 s[12:13], s[12:13], s[18:19]
	s_add_nc_u64 s[20:21], s[10:11], s[2:3]
	s_mov_b32 s5, exec_lo
	v_cmpx_le_u32_e64 s2, v0
	s_xor_b32 s5, exec_lo, s5
	s_cbranch_execz .LBB10_4
; %bb.1:
	s_mov_b32 s11, exec_lo
	v_cmpx_gt_u64_e64 s[20:21], v[0:1]
	s_cbranch_execz .LBB10_3
; %bb.2:
	v_subrev_nc_u32_e32 v6, s2, v0
	s_clause 0x1
	global_load_b64 v[2:3], v6, s[16:17] scale_offset
	global_load_b64 v[4:5], v6, s[12:13] scale_offset
	s_wait_xcnt 0x0
	v_lshlrev_b32_e32 v6, 4, v0
	s_wait_loadcnt 0x0
	ds_store_b128 v6, v[2:5]
.LBB10_3:
	s_or_b32 exec_lo, exec_lo, s11
.LBB10_4:
	s_or_saveexec_b32 s5, s5
	v_lshlrev_b32_e32 v16, 4, v0
	s_add_nc_u64 s[18:19], s[6:7], s[22:23]
	s_add_nc_u64 s[8:9], s[8:9], s[22:23]
	s_xor_b32 exec_lo, exec_lo, s5
	s_cbranch_execz .LBB10_6
; %bb.5:
	s_clause 0x1
	global_load_b64 v[2:3], v0, s[18:19] scale_offset
	global_load_b64 v[4:5], v0, s[8:9] scale_offset
	s_wait_loadcnt 0x0
	ds_store_b128 v16, v[2:5]
.LBB10_6:
	s_or_b32 exec_lo, exec_lo, s5
	v_or_b32_e32 v14, 0x200, v0
	v_mov_b32_e32 v15, 0
	s_mov_b32 s5, exec_lo
	s_delay_alu instid0(VALU_DEP_2)
	v_cmpx_le_u32_e64 s2, v14
	s_xor_b32 s5, exec_lo, s5
	s_cbranch_execz .LBB10_10
; %bb.7:
	s_mov_b32 s6, exec_lo
	v_cmpx_gt_u64_e64 s[20:21], v[14:15]
	s_cbranch_execz .LBB10_9
; %bb.8:
	v_sub_nc_u64_e64 v[2:3], v[0:1], s[2:3]
	s_delay_alu instid0(VALU_DEP_1) | instskip(NEXT) | instid1(VALU_DEP_1)
	v_lshlrev_b64_e32 v[2:3], 3, v[2:3]
	v_add_nc_u64_e32 v[6:7], s[16:17], v[2:3]
	v_add_nc_u64_e32 v[8:9], s[12:13], v[2:3]
	global_load_b64 v[2:3], v[6:7], off offset:4096
	global_load_b64 v[4:5], v[8:9], off offset:4096
	s_wait_loadcnt 0x0
	ds_store_b128 v16, v[2:5] offset:8192
.LBB10_9:
	s_or_b32 exec_lo, exec_lo, s6
.LBB10_10:
	s_or_saveexec_b32 s3, s5
	s_load_b64 s[6:7], s[0:1], 0x38
	s_xor_b32 exec_lo, exec_lo, s3
	s_cbranch_execz .LBB10_12
; %bb.11:
	s_clause 0x1
	global_load_b64 v[2:3], v0, s[18:19] offset:4096 scale_offset
	global_load_b64 v[4:5], v0, s[8:9] offset:4096 scale_offset
	s_wait_loadcnt 0x0
	ds_store_b128 v16, v[2:5] offset:8192
.LBB10_12:
	s_or_b32 exec_lo, exec_lo, s3
	v_lshlrev_b32_e32 v1, 1, v0
	s_wait_xcnt 0x0
	s_mov_b32 s0, exec_lo
	s_wait_dscnt 0x0
	s_barrier_signal -1
	s_barrier_wait -1
	v_sub_nc_u32_e64 v15, v1, s10 clamp
	v_min_u32_e32 v2, s2, v1
	s_delay_alu instid0(VALU_DEP_1)
	v_cmpx_lt_u32_e64 v15, v2
	s_cbranch_execz .LBB10_16
; %bb.13:
	v_lshlrev_b32_e32 v3, 4, v1
	s_mov_b32 s1, 0
	s_delay_alu instid0(VALU_DEP_1)
	v_lshl_add_u32 v3, s2, 4, v3
.LBB10_14:                              ; =>This Inner Loop Header: Depth=1
	v_add_nc_u32_e32 v4, v2, v15
	s_delay_alu instid0(VALU_DEP_1) | instskip(NEXT) | instid1(VALU_DEP_1)
	v_lshrrev_b32_e32 v8, 1, v4
	v_not_b32_e32 v4, v8
	v_lshlrev_b32_e32 v5, 4, v8
	s_delay_alu instid0(VALU_DEP_2)
	v_lshl_add_u32 v6, v4, 4, v3
	ds_load_b64 v[4:5], v5
	ds_load_b64 v[6:7], v6
	s_wait_dscnt 0x0
	v_cmp_lt_f64_e32 vcc_lo, v[6:7], v[4:5]
	v_add_nc_u32_e32 v4, 1, v8
	s_delay_alu instid0(VALU_DEP_1) | instskip(NEXT) | instid1(VALU_DEP_1)
	v_dual_cndmask_b32 v15, v4, v15 :: v_dual_cndmask_b32 v2, v2, v8
	v_cmp_ge_u32_e32 vcc_lo, v15, v2
	s_or_b32 s1, vcc_lo, s1
	s_delay_alu instid0(SALU_CYCLE_1)
	s_and_not1_b32 exec_lo, exec_lo, s1
	s_cbranch_execnz .LBB10_14
; %bb.15:
	s_or_b32 exec_lo, exec_lo, s1
.LBB10_16:
	s_delay_alu instid0(SALU_CYCLE_1)
	s_or_b32 exec_lo, exec_lo, s0
	v_add_nc_u32_e32 v2, s2, v1
	s_add_co_i32 s5, s10, s2
	v_cmp_ge_u32_e32 vcc_lo, s2, v15
	v_mov_b64_e32 v[12:13], 0
	v_mov_b64_e32 v[4:5], 0
	v_sub_nc_u32_e32 v17, v2, v15
	v_mov_b64_e32 v[2:3], 0
	v_mov_b64_e32 v[10:11], 0
	s_delay_alu instid0(VALU_DEP_3) | instskip(SKIP_1) | instid1(SALU_CYCLE_1)
	v_cmp_ge_u32_e64 s0, s5, v17
	s_or_b32 s0, vcc_lo, s0
	s_and_saveexec_b32 s3, s0
	s_cbranch_execz .LBB10_22
; %bb.17:
	v_mov_b64_e32 v[8:9], 0
	v_mov_b64_e32 v[4:5], 0
	;; [unrolled: 1-line block ×3, first 2 shown]
	v_cmp_gt_u32_e32 vcc_lo, s2, v15
	s_and_saveexec_b32 s0, vcc_lo
; %bb.18:
	v_lshlrev_b32_e32 v2, 4, v15
	ds_load_b128 v[2:5], v2
; %bb.19:
	s_or_b32 exec_lo, exec_lo, s0
	v_mov_b64_e32 v[6:7], 0
	v_cmp_le_u32_e64 s0, s5, v17
	s_mov_b32 s8, exec_lo
	v_cmpx_gt_u32_e64 s5, v17
; %bb.20:
	v_lshlrev_b32_e32 v6, 4, v17
	ds_load_b128 v[6:9], v6
; %bb.21:
	s_or_b32 exec_lo, exec_lo, s8
	s_wait_dscnt 0x0
	v_cmp_nlt_f64_e64 s1, v[6:7], v[2:3]
	s_and_b32 s1, vcc_lo, s1
	s_delay_alu instid0(SALU_CYCLE_1) | instskip(SKIP_2) | instid1(VALU_DEP_2)
	s_or_b32 vcc_lo, s0, s1
	v_dual_mov_b32 v10, s2 :: v_dual_cndmask_b32 v11, v17, v15
	v_cndmask_b32_e32 v13, v9, v5, vcc_lo
	v_dual_cndmask_b32 v10, s5, v10, vcc_lo :: v_dual_add_nc_u32 v12, 1, v11
	v_cndmask_b32_e32 v11, v7, v3, vcc_lo
	s_delay_alu instid0(VALU_DEP_2) | instskip(NEXT) | instid1(VALU_DEP_1)
	v_add_min_u32_e64 v10, v10, -1, v12
	v_lshlrev_b32_e32 v10, 4, v10
	ds_load_b128 v[18:21], v10
	s_wait_dscnt 0x0
	v_dual_cndmask_b32 v10, v6, v2 :: v_dual_cndmask_b32 v23, v19, v7
	v_dual_cndmask_b32 v22, v18, v6 :: v_dual_cndmask_b32 v19, v3, v19
	;; [unrolled: 1-line block ×3, first 2 shown]
	v_cndmask_b32_e32 v7, v12, v17, vcc_lo
	v_cndmask_b32_e32 v12, v8, v4, vcc_lo
	v_dual_cndmask_b32 v6, v20, v8 :: v_dual_cndmask_b32 v5, v5, v21
	s_delay_alu instid0(VALU_DEP_4) | instskip(SKIP_4) | instid1(SALU_CYCLE_1)
	v_cmp_nlt_f64_e64 s0, v[22:23], v[18:19]
	v_cmp_gt_u32_e64 s1, s2, v3
	v_cmp_le_u32_e64 s2, s5, v7
	v_dual_cndmask_b32 v7, v21, v9 :: v_dual_cndmask_b32 v4, v4, v20
	s_and_b32 s0, s1, s0
	s_or_b32 vcc_lo, s2, s0
	v_dual_cndmask_b32 v3, v23, v19 :: v_dual_cndmask_b32 v2, v22, v18
	s_delay_alu instid0(VALU_DEP_2)
	v_dual_cndmask_b32 v5, v7, v5 :: v_dual_cndmask_b32 v4, v6, v4
.LBB10_22:
	s_or_b32 exec_lo, exec_lo, s3
	v_and_b32_e32 v6, 0x1f0, v0
	s_mov_b32 s5, 0
	s_sub_co_i32 s8, s24, s4
	s_lshl_b64 s[2:3], s[4:5], 3
	s_cmp_gt_u32 s8, 0x3ff
	v_lshl_add_u32 v6, v1, 4, v6
	v_lshrrev_b32_e32 v1, 1, v14
	s_add_nc_u64 s[0:1], s[14:15], s[2:3]
	s_wait_kmcnt 0x0
	s_add_nc_u64 s[2:3], s[6:7], s[2:3]
	s_barrier_signal -1
	s_barrier_wait -1
	ds_store_b128 v6, v[10:13]
	ds_store_b128 v6, v[2:5] offset:16
	s_wait_dscnt 0x0
	s_cbranch_scc0 .LBB10_24
; %bb.23:
	v_lshrrev_b32_e32 v2, 1, v0
	v_and_b32_e32 v3, 0x1f0, v1
	s_barrier_signal -1
	s_barrier_wait -1
	s_delay_alu instid0(VALU_DEP_2) | instskip(SKIP_1) | instid1(VALU_DEP_1)
	v_and_b32_e32 v2, 0xf0, v2
	s_mov_b32 s5, -1
	v_dual_add_nc_u32 v3, v3, v16 :: v_dual_add_nc_u32 v2, v2, v16
	ds_load_b128 v[6:9], v2
	ds_load_b128 v[2:5], v3 offset:8192
	s_wait_dscnt 0x1
	s_clause 0x1
	global_store_b64 v0, v[6:7], s[0:1] scale_offset
	global_store_b64 v0, v[8:9], s[2:3] scale_offset
	s_cbranch_execz .LBB10_25
	s_branch .LBB10_28
.LBB10_24:
                                        ; implicit-def: $vgpr4_vgpr5
.LBB10_25:
	v_and_b32_e32 v1, 0x1f0, v1
	s_barrier_signal -1
	s_barrier_wait -1
	s_wait_storecnt_dscnt 0x0
	s_mov_b32 s4, exec_lo
	v_lshl_add_u32 v1, v0, 4, v1
	ds_load_b128 v[2:5], v1 offset:8192
	s_wait_xcnt 0x0
	v_cmpx_gt_u32_e64 s8, v0
	s_cbranch_execz .LBB10_27
; %bb.26:
	v_lshrrev_b32_e32 v1, 1, v0
	s_delay_alu instid0(VALU_DEP_1) | instskip(NEXT) | instid1(VALU_DEP_1)
	v_and_b32_e32 v1, 0xf0, v1
	v_lshl_add_u32 v1, v0, 4, v1
	ds_load_b128 v[6:9], v1
	s_wait_dscnt 0x0
	s_clause 0x1
	global_store_b64 v0, v[6:7], s[0:1] scale_offset
	global_store_b64 v0, v[8:9], s[2:3] scale_offset
.LBB10_27:
	s_wait_xcnt 0x0
	s_or_b32 exec_lo, exec_lo, s4
	v_cmp_gt_u32_e64 s5, s8, v14
.LBB10_28:
	s_wait_xcnt 0x0
	s_delay_alu instid0(VALU_DEP_1)
	s_and_saveexec_b32 s4, s5
	s_cbranch_execnz .LBB10_30
; %bb.29:
	s_endpgm
.LBB10_30:
	s_wait_dscnt 0x0
	s_clause 0x1
	global_store_b64 v0, v[2:3], s[0:1] offset:4096 scale_offset
	global_store_b64 v0, v[4:5], s[2:3] offset:4096 scale_offset
	s_endpgm
	.section	.rodata,"a",@progbits
	.p2align	6, 0x0
	.amdhsa_kernel _ZN7rocprim17ROCPRIM_400000_NS6detail17trampoline_kernelINS0_14default_configENS1_21merge_config_selectorINS0_5tupleIJddEEENS0_10empty_typeEEEZNS1_10merge_implIS3_NS0_12zip_iteratorINS5_IJN6thrust23THRUST_200600_302600_NS6detail15normal_iteratorINSC_10device_ptrIKdEEEESI_EEEEESK_NSA_INS5_IJNSE_INSF_IdEEEESM_EEEEEPS7_SP_SP_NSC_11hip_rocprim7__merge17predicate_wrapperIddNSC_4lessIdEEEEEE10hipError_tPvRmT0_T1_T2_T3_T4_T5_mmT6_P12ihipStream_tbEUlT_E0_NS1_11comp_targetILNS1_3genE0ELNS1_11target_archE4294967295ELNS1_3gpuE0ELNS1_3repE0EEENS1_30default_config_static_selectorELNS0_4arch9wavefront6targetE0EEEvS10_
		.amdhsa_group_segment_fixed_size 16896
		.amdhsa_private_segment_fixed_size 0
		.amdhsa_kernarg_size 112
		.amdhsa_user_sgpr_count 2
		.amdhsa_user_sgpr_dispatch_ptr 0
		.amdhsa_user_sgpr_queue_ptr 0
		.amdhsa_user_sgpr_kernarg_segment_ptr 1
		.amdhsa_user_sgpr_dispatch_id 0
		.amdhsa_user_sgpr_kernarg_preload_length 0
		.amdhsa_user_sgpr_kernarg_preload_offset 0
		.amdhsa_user_sgpr_private_segment_size 0
		.amdhsa_wavefront_size32 1
		.amdhsa_uses_dynamic_stack 0
		.amdhsa_enable_private_segment 0
		.amdhsa_system_sgpr_workgroup_id_x 1
		.amdhsa_system_sgpr_workgroup_id_y 0
		.amdhsa_system_sgpr_workgroup_id_z 0
		.amdhsa_system_sgpr_workgroup_info 0
		.amdhsa_system_vgpr_workitem_id 0
		.amdhsa_next_free_vgpr 24
		.amdhsa_next_free_sgpr 25
		.amdhsa_named_barrier_count 0
		.amdhsa_reserve_vcc 1
		.amdhsa_float_round_mode_32 0
		.amdhsa_float_round_mode_16_64 0
		.amdhsa_float_denorm_mode_32 3
		.amdhsa_float_denorm_mode_16_64 3
		.amdhsa_fp16_overflow 0
		.amdhsa_memory_ordered 1
		.amdhsa_forward_progress 1
		.amdhsa_inst_pref_size 12
		.amdhsa_round_robin_scheduling 0
		.amdhsa_exception_fp_ieee_invalid_op 0
		.amdhsa_exception_fp_denorm_src 0
		.amdhsa_exception_fp_ieee_div_zero 0
		.amdhsa_exception_fp_ieee_overflow 0
		.amdhsa_exception_fp_ieee_underflow 0
		.amdhsa_exception_fp_ieee_inexact 0
		.amdhsa_exception_int_div_zero 0
	.end_amdhsa_kernel
	.section	.text._ZN7rocprim17ROCPRIM_400000_NS6detail17trampoline_kernelINS0_14default_configENS1_21merge_config_selectorINS0_5tupleIJddEEENS0_10empty_typeEEEZNS1_10merge_implIS3_NS0_12zip_iteratorINS5_IJN6thrust23THRUST_200600_302600_NS6detail15normal_iteratorINSC_10device_ptrIKdEEEESI_EEEEESK_NSA_INS5_IJNSE_INSF_IdEEEESM_EEEEEPS7_SP_SP_NSC_11hip_rocprim7__merge17predicate_wrapperIddNSC_4lessIdEEEEEE10hipError_tPvRmT0_T1_T2_T3_T4_T5_mmT6_P12ihipStream_tbEUlT_E0_NS1_11comp_targetILNS1_3genE0ELNS1_11target_archE4294967295ELNS1_3gpuE0ELNS1_3repE0EEENS1_30default_config_static_selectorELNS0_4arch9wavefront6targetE0EEEvS10_,"axG",@progbits,_ZN7rocprim17ROCPRIM_400000_NS6detail17trampoline_kernelINS0_14default_configENS1_21merge_config_selectorINS0_5tupleIJddEEENS0_10empty_typeEEEZNS1_10merge_implIS3_NS0_12zip_iteratorINS5_IJN6thrust23THRUST_200600_302600_NS6detail15normal_iteratorINSC_10device_ptrIKdEEEESI_EEEEESK_NSA_INS5_IJNSE_INSF_IdEEEESM_EEEEEPS7_SP_SP_NSC_11hip_rocprim7__merge17predicate_wrapperIddNSC_4lessIdEEEEEE10hipError_tPvRmT0_T1_T2_T3_T4_T5_mmT6_P12ihipStream_tbEUlT_E0_NS1_11comp_targetILNS1_3genE0ELNS1_11target_archE4294967295ELNS1_3gpuE0ELNS1_3repE0EEENS1_30default_config_static_selectorELNS0_4arch9wavefront6targetE0EEEvS10_,comdat
.Lfunc_end10:
	.size	_ZN7rocprim17ROCPRIM_400000_NS6detail17trampoline_kernelINS0_14default_configENS1_21merge_config_selectorINS0_5tupleIJddEEENS0_10empty_typeEEEZNS1_10merge_implIS3_NS0_12zip_iteratorINS5_IJN6thrust23THRUST_200600_302600_NS6detail15normal_iteratorINSC_10device_ptrIKdEEEESI_EEEEESK_NSA_INS5_IJNSE_INSF_IdEEEESM_EEEEEPS7_SP_SP_NSC_11hip_rocprim7__merge17predicate_wrapperIddNSC_4lessIdEEEEEE10hipError_tPvRmT0_T1_T2_T3_T4_T5_mmT6_P12ihipStream_tbEUlT_E0_NS1_11comp_targetILNS1_3genE0ELNS1_11target_archE4294967295ELNS1_3gpuE0ELNS1_3repE0EEENS1_30default_config_static_selectorELNS0_4arch9wavefront6targetE0EEEvS10_, .Lfunc_end10-_ZN7rocprim17ROCPRIM_400000_NS6detail17trampoline_kernelINS0_14default_configENS1_21merge_config_selectorINS0_5tupleIJddEEENS0_10empty_typeEEEZNS1_10merge_implIS3_NS0_12zip_iteratorINS5_IJN6thrust23THRUST_200600_302600_NS6detail15normal_iteratorINSC_10device_ptrIKdEEEESI_EEEEESK_NSA_INS5_IJNSE_INSF_IdEEEESM_EEEEEPS7_SP_SP_NSC_11hip_rocprim7__merge17predicate_wrapperIddNSC_4lessIdEEEEEE10hipError_tPvRmT0_T1_T2_T3_T4_T5_mmT6_P12ihipStream_tbEUlT_E0_NS1_11comp_targetILNS1_3genE0ELNS1_11target_archE4294967295ELNS1_3gpuE0ELNS1_3repE0EEENS1_30default_config_static_selectorELNS0_4arch9wavefront6targetE0EEEvS10_
                                        ; -- End function
	.set _ZN7rocprim17ROCPRIM_400000_NS6detail17trampoline_kernelINS0_14default_configENS1_21merge_config_selectorINS0_5tupleIJddEEENS0_10empty_typeEEEZNS1_10merge_implIS3_NS0_12zip_iteratorINS5_IJN6thrust23THRUST_200600_302600_NS6detail15normal_iteratorINSC_10device_ptrIKdEEEESI_EEEEESK_NSA_INS5_IJNSE_INSF_IdEEEESM_EEEEEPS7_SP_SP_NSC_11hip_rocprim7__merge17predicate_wrapperIddNSC_4lessIdEEEEEE10hipError_tPvRmT0_T1_T2_T3_T4_T5_mmT6_P12ihipStream_tbEUlT_E0_NS1_11comp_targetILNS1_3genE0ELNS1_11target_archE4294967295ELNS1_3gpuE0ELNS1_3repE0EEENS1_30default_config_static_selectorELNS0_4arch9wavefront6targetE0EEEvS10_.num_vgpr, 24
	.set _ZN7rocprim17ROCPRIM_400000_NS6detail17trampoline_kernelINS0_14default_configENS1_21merge_config_selectorINS0_5tupleIJddEEENS0_10empty_typeEEEZNS1_10merge_implIS3_NS0_12zip_iteratorINS5_IJN6thrust23THRUST_200600_302600_NS6detail15normal_iteratorINSC_10device_ptrIKdEEEESI_EEEEESK_NSA_INS5_IJNSE_INSF_IdEEEESM_EEEEEPS7_SP_SP_NSC_11hip_rocprim7__merge17predicate_wrapperIddNSC_4lessIdEEEEEE10hipError_tPvRmT0_T1_T2_T3_T4_T5_mmT6_P12ihipStream_tbEUlT_E0_NS1_11comp_targetILNS1_3genE0ELNS1_11target_archE4294967295ELNS1_3gpuE0ELNS1_3repE0EEENS1_30default_config_static_selectorELNS0_4arch9wavefront6targetE0EEEvS10_.num_agpr, 0
	.set _ZN7rocprim17ROCPRIM_400000_NS6detail17trampoline_kernelINS0_14default_configENS1_21merge_config_selectorINS0_5tupleIJddEEENS0_10empty_typeEEEZNS1_10merge_implIS3_NS0_12zip_iteratorINS5_IJN6thrust23THRUST_200600_302600_NS6detail15normal_iteratorINSC_10device_ptrIKdEEEESI_EEEEESK_NSA_INS5_IJNSE_INSF_IdEEEESM_EEEEEPS7_SP_SP_NSC_11hip_rocprim7__merge17predicate_wrapperIddNSC_4lessIdEEEEEE10hipError_tPvRmT0_T1_T2_T3_T4_T5_mmT6_P12ihipStream_tbEUlT_E0_NS1_11comp_targetILNS1_3genE0ELNS1_11target_archE4294967295ELNS1_3gpuE0ELNS1_3repE0EEENS1_30default_config_static_selectorELNS0_4arch9wavefront6targetE0EEEvS10_.numbered_sgpr, 25
	.set _ZN7rocprim17ROCPRIM_400000_NS6detail17trampoline_kernelINS0_14default_configENS1_21merge_config_selectorINS0_5tupleIJddEEENS0_10empty_typeEEEZNS1_10merge_implIS3_NS0_12zip_iteratorINS5_IJN6thrust23THRUST_200600_302600_NS6detail15normal_iteratorINSC_10device_ptrIKdEEEESI_EEEEESK_NSA_INS5_IJNSE_INSF_IdEEEESM_EEEEEPS7_SP_SP_NSC_11hip_rocprim7__merge17predicate_wrapperIddNSC_4lessIdEEEEEE10hipError_tPvRmT0_T1_T2_T3_T4_T5_mmT6_P12ihipStream_tbEUlT_E0_NS1_11comp_targetILNS1_3genE0ELNS1_11target_archE4294967295ELNS1_3gpuE0ELNS1_3repE0EEENS1_30default_config_static_selectorELNS0_4arch9wavefront6targetE0EEEvS10_.num_named_barrier, 0
	.set _ZN7rocprim17ROCPRIM_400000_NS6detail17trampoline_kernelINS0_14default_configENS1_21merge_config_selectorINS0_5tupleIJddEEENS0_10empty_typeEEEZNS1_10merge_implIS3_NS0_12zip_iteratorINS5_IJN6thrust23THRUST_200600_302600_NS6detail15normal_iteratorINSC_10device_ptrIKdEEEESI_EEEEESK_NSA_INS5_IJNSE_INSF_IdEEEESM_EEEEEPS7_SP_SP_NSC_11hip_rocprim7__merge17predicate_wrapperIddNSC_4lessIdEEEEEE10hipError_tPvRmT0_T1_T2_T3_T4_T5_mmT6_P12ihipStream_tbEUlT_E0_NS1_11comp_targetILNS1_3genE0ELNS1_11target_archE4294967295ELNS1_3gpuE0ELNS1_3repE0EEENS1_30default_config_static_selectorELNS0_4arch9wavefront6targetE0EEEvS10_.private_seg_size, 0
	.set _ZN7rocprim17ROCPRIM_400000_NS6detail17trampoline_kernelINS0_14default_configENS1_21merge_config_selectorINS0_5tupleIJddEEENS0_10empty_typeEEEZNS1_10merge_implIS3_NS0_12zip_iteratorINS5_IJN6thrust23THRUST_200600_302600_NS6detail15normal_iteratorINSC_10device_ptrIKdEEEESI_EEEEESK_NSA_INS5_IJNSE_INSF_IdEEEESM_EEEEEPS7_SP_SP_NSC_11hip_rocprim7__merge17predicate_wrapperIddNSC_4lessIdEEEEEE10hipError_tPvRmT0_T1_T2_T3_T4_T5_mmT6_P12ihipStream_tbEUlT_E0_NS1_11comp_targetILNS1_3genE0ELNS1_11target_archE4294967295ELNS1_3gpuE0ELNS1_3repE0EEENS1_30default_config_static_selectorELNS0_4arch9wavefront6targetE0EEEvS10_.uses_vcc, 1
	.set _ZN7rocprim17ROCPRIM_400000_NS6detail17trampoline_kernelINS0_14default_configENS1_21merge_config_selectorINS0_5tupleIJddEEENS0_10empty_typeEEEZNS1_10merge_implIS3_NS0_12zip_iteratorINS5_IJN6thrust23THRUST_200600_302600_NS6detail15normal_iteratorINSC_10device_ptrIKdEEEESI_EEEEESK_NSA_INS5_IJNSE_INSF_IdEEEESM_EEEEEPS7_SP_SP_NSC_11hip_rocprim7__merge17predicate_wrapperIddNSC_4lessIdEEEEEE10hipError_tPvRmT0_T1_T2_T3_T4_T5_mmT6_P12ihipStream_tbEUlT_E0_NS1_11comp_targetILNS1_3genE0ELNS1_11target_archE4294967295ELNS1_3gpuE0ELNS1_3repE0EEENS1_30default_config_static_selectorELNS0_4arch9wavefront6targetE0EEEvS10_.uses_flat_scratch, 0
	.set _ZN7rocprim17ROCPRIM_400000_NS6detail17trampoline_kernelINS0_14default_configENS1_21merge_config_selectorINS0_5tupleIJddEEENS0_10empty_typeEEEZNS1_10merge_implIS3_NS0_12zip_iteratorINS5_IJN6thrust23THRUST_200600_302600_NS6detail15normal_iteratorINSC_10device_ptrIKdEEEESI_EEEEESK_NSA_INS5_IJNSE_INSF_IdEEEESM_EEEEEPS7_SP_SP_NSC_11hip_rocprim7__merge17predicate_wrapperIddNSC_4lessIdEEEEEE10hipError_tPvRmT0_T1_T2_T3_T4_T5_mmT6_P12ihipStream_tbEUlT_E0_NS1_11comp_targetILNS1_3genE0ELNS1_11target_archE4294967295ELNS1_3gpuE0ELNS1_3repE0EEENS1_30default_config_static_selectorELNS0_4arch9wavefront6targetE0EEEvS10_.has_dyn_sized_stack, 0
	.set _ZN7rocprim17ROCPRIM_400000_NS6detail17trampoline_kernelINS0_14default_configENS1_21merge_config_selectorINS0_5tupleIJddEEENS0_10empty_typeEEEZNS1_10merge_implIS3_NS0_12zip_iteratorINS5_IJN6thrust23THRUST_200600_302600_NS6detail15normal_iteratorINSC_10device_ptrIKdEEEESI_EEEEESK_NSA_INS5_IJNSE_INSF_IdEEEESM_EEEEEPS7_SP_SP_NSC_11hip_rocprim7__merge17predicate_wrapperIddNSC_4lessIdEEEEEE10hipError_tPvRmT0_T1_T2_T3_T4_T5_mmT6_P12ihipStream_tbEUlT_E0_NS1_11comp_targetILNS1_3genE0ELNS1_11target_archE4294967295ELNS1_3gpuE0ELNS1_3repE0EEENS1_30default_config_static_selectorELNS0_4arch9wavefront6targetE0EEEvS10_.has_recursion, 0
	.set _ZN7rocprim17ROCPRIM_400000_NS6detail17trampoline_kernelINS0_14default_configENS1_21merge_config_selectorINS0_5tupleIJddEEENS0_10empty_typeEEEZNS1_10merge_implIS3_NS0_12zip_iteratorINS5_IJN6thrust23THRUST_200600_302600_NS6detail15normal_iteratorINSC_10device_ptrIKdEEEESI_EEEEESK_NSA_INS5_IJNSE_INSF_IdEEEESM_EEEEEPS7_SP_SP_NSC_11hip_rocprim7__merge17predicate_wrapperIddNSC_4lessIdEEEEEE10hipError_tPvRmT0_T1_T2_T3_T4_T5_mmT6_P12ihipStream_tbEUlT_E0_NS1_11comp_targetILNS1_3genE0ELNS1_11target_archE4294967295ELNS1_3gpuE0ELNS1_3repE0EEENS1_30default_config_static_selectorELNS0_4arch9wavefront6targetE0EEEvS10_.has_indirect_call, 0
	.section	.AMDGPU.csdata,"",@progbits
; Kernel info:
; codeLenInByte = 1420
; TotalNumSgprs: 27
; NumVgprs: 24
; ScratchSize: 0
; MemoryBound: 0
; FloatMode: 240
; IeeeMode: 1
; LDSByteSize: 16896 bytes/workgroup (compile time only)
; SGPRBlocks: 0
; VGPRBlocks: 1
; NumSGPRsForWavesPerEU: 27
; NumVGPRsForWavesPerEU: 24
; NamedBarCnt: 0
; Occupancy: 16
; WaveLimiterHint : 1
; COMPUTE_PGM_RSRC2:SCRATCH_EN: 0
; COMPUTE_PGM_RSRC2:USER_SGPR: 2
; COMPUTE_PGM_RSRC2:TRAP_HANDLER: 0
; COMPUTE_PGM_RSRC2:TGID_X_EN: 1
; COMPUTE_PGM_RSRC2:TGID_Y_EN: 0
; COMPUTE_PGM_RSRC2:TGID_Z_EN: 0
; COMPUTE_PGM_RSRC2:TIDIG_COMP_CNT: 0
	.section	.text._ZN7rocprim17ROCPRIM_400000_NS6detail17trampoline_kernelINS0_14default_configENS1_21merge_config_selectorINS0_5tupleIJddEEENS0_10empty_typeEEEZNS1_10merge_implIS3_NS0_12zip_iteratorINS5_IJN6thrust23THRUST_200600_302600_NS6detail15normal_iteratorINSC_10device_ptrIKdEEEESI_EEEEESK_NSA_INS5_IJNSE_INSF_IdEEEESM_EEEEEPS7_SP_SP_NSC_11hip_rocprim7__merge17predicate_wrapperIddNSC_4lessIdEEEEEE10hipError_tPvRmT0_T1_T2_T3_T4_T5_mmT6_P12ihipStream_tbEUlT_E0_NS1_11comp_targetILNS1_3genE5ELNS1_11target_archE942ELNS1_3gpuE9ELNS1_3repE0EEENS1_30default_config_static_selectorELNS0_4arch9wavefront6targetE0EEEvS10_,"axG",@progbits,_ZN7rocprim17ROCPRIM_400000_NS6detail17trampoline_kernelINS0_14default_configENS1_21merge_config_selectorINS0_5tupleIJddEEENS0_10empty_typeEEEZNS1_10merge_implIS3_NS0_12zip_iteratorINS5_IJN6thrust23THRUST_200600_302600_NS6detail15normal_iteratorINSC_10device_ptrIKdEEEESI_EEEEESK_NSA_INS5_IJNSE_INSF_IdEEEESM_EEEEEPS7_SP_SP_NSC_11hip_rocprim7__merge17predicate_wrapperIddNSC_4lessIdEEEEEE10hipError_tPvRmT0_T1_T2_T3_T4_T5_mmT6_P12ihipStream_tbEUlT_E0_NS1_11comp_targetILNS1_3genE5ELNS1_11target_archE942ELNS1_3gpuE9ELNS1_3repE0EEENS1_30default_config_static_selectorELNS0_4arch9wavefront6targetE0EEEvS10_,comdat
	.protected	_ZN7rocprim17ROCPRIM_400000_NS6detail17trampoline_kernelINS0_14default_configENS1_21merge_config_selectorINS0_5tupleIJddEEENS0_10empty_typeEEEZNS1_10merge_implIS3_NS0_12zip_iteratorINS5_IJN6thrust23THRUST_200600_302600_NS6detail15normal_iteratorINSC_10device_ptrIKdEEEESI_EEEEESK_NSA_INS5_IJNSE_INSF_IdEEEESM_EEEEEPS7_SP_SP_NSC_11hip_rocprim7__merge17predicate_wrapperIddNSC_4lessIdEEEEEE10hipError_tPvRmT0_T1_T2_T3_T4_T5_mmT6_P12ihipStream_tbEUlT_E0_NS1_11comp_targetILNS1_3genE5ELNS1_11target_archE942ELNS1_3gpuE9ELNS1_3repE0EEENS1_30default_config_static_selectorELNS0_4arch9wavefront6targetE0EEEvS10_ ; -- Begin function _ZN7rocprim17ROCPRIM_400000_NS6detail17trampoline_kernelINS0_14default_configENS1_21merge_config_selectorINS0_5tupleIJddEEENS0_10empty_typeEEEZNS1_10merge_implIS3_NS0_12zip_iteratorINS5_IJN6thrust23THRUST_200600_302600_NS6detail15normal_iteratorINSC_10device_ptrIKdEEEESI_EEEEESK_NSA_INS5_IJNSE_INSF_IdEEEESM_EEEEEPS7_SP_SP_NSC_11hip_rocprim7__merge17predicate_wrapperIddNSC_4lessIdEEEEEE10hipError_tPvRmT0_T1_T2_T3_T4_T5_mmT6_P12ihipStream_tbEUlT_E0_NS1_11comp_targetILNS1_3genE5ELNS1_11target_archE942ELNS1_3gpuE9ELNS1_3repE0EEENS1_30default_config_static_selectorELNS0_4arch9wavefront6targetE0EEEvS10_
	.globl	_ZN7rocprim17ROCPRIM_400000_NS6detail17trampoline_kernelINS0_14default_configENS1_21merge_config_selectorINS0_5tupleIJddEEENS0_10empty_typeEEEZNS1_10merge_implIS3_NS0_12zip_iteratorINS5_IJN6thrust23THRUST_200600_302600_NS6detail15normal_iteratorINSC_10device_ptrIKdEEEESI_EEEEESK_NSA_INS5_IJNSE_INSF_IdEEEESM_EEEEEPS7_SP_SP_NSC_11hip_rocprim7__merge17predicate_wrapperIddNSC_4lessIdEEEEEE10hipError_tPvRmT0_T1_T2_T3_T4_T5_mmT6_P12ihipStream_tbEUlT_E0_NS1_11comp_targetILNS1_3genE5ELNS1_11target_archE942ELNS1_3gpuE9ELNS1_3repE0EEENS1_30default_config_static_selectorELNS0_4arch9wavefront6targetE0EEEvS10_
	.p2align	8
	.type	_ZN7rocprim17ROCPRIM_400000_NS6detail17trampoline_kernelINS0_14default_configENS1_21merge_config_selectorINS0_5tupleIJddEEENS0_10empty_typeEEEZNS1_10merge_implIS3_NS0_12zip_iteratorINS5_IJN6thrust23THRUST_200600_302600_NS6detail15normal_iteratorINSC_10device_ptrIKdEEEESI_EEEEESK_NSA_INS5_IJNSE_INSF_IdEEEESM_EEEEEPS7_SP_SP_NSC_11hip_rocprim7__merge17predicate_wrapperIddNSC_4lessIdEEEEEE10hipError_tPvRmT0_T1_T2_T3_T4_T5_mmT6_P12ihipStream_tbEUlT_E0_NS1_11comp_targetILNS1_3genE5ELNS1_11target_archE942ELNS1_3gpuE9ELNS1_3repE0EEENS1_30default_config_static_selectorELNS0_4arch9wavefront6targetE0EEEvS10_,@function
_ZN7rocprim17ROCPRIM_400000_NS6detail17trampoline_kernelINS0_14default_configENS1_21merge_config_selectorINS0_5tupleIJddEEENS0_10empty_typeEEEZNS1_10merge_implIS3_NS0_12zip_iteratorINS5_IJN6thrust23THRUST_200600_302600_NS6detail15normal_iteratorINSC_10device_ptrIKdEEEESI_EEEEESK_NSA_INS5_IJNSE_INSF_IdEEEESM_EEEEEPS7_SP_SP_NSC_11hip_rocprim7__merge17predicate_wrapperIddNSC_4lessIdEEEEEE10hipError_tPvRmT0_T1_T2_T3_T4_T5_mmT6_P12ihipStream_tbEUlT_E0_NS1_11comp_targetILNS1_3genE5ELNS1_11target_archE942ELNS1_3gpuE9ELNS1_3repE0EEENS1_30default_config_static_selectorELNS0_4arch9wavefront6targetE0EEEvS10_: ; @_ZN7rocprim17ROCPRIM_400000_NS6detail17trampoline_kernelINS0_14default_configENS1_21merge_config_selectorINS0_5tupleIJddEEENS0_10empty_typeEEEZNS1_10merge_implIS3_NS0_12zip_iteratorINS5_IJN6thrust23THRUST_200600_302600_NS6detail15normal_iteratorINSC_10device_ptrIKdEEEESI_EEEEESK_NSA_INS5_IJNSE_INSF_IdEEEESM_EEEEEPS7_SP_SP_NSC_11hip_rocprim7__merge17predicate_wrapperIddNSC_4lessIdEEEEEE10hipError_tPvRmT0_T1_T2_T3_T4_T5_mmT6_P12ihipStream_tbEUlT_E0_NS1_11comp_targetILNS1_3genE5ELNS1_11target_archE942ELNS1_3gpuE9ELNS1_3repE0EEENS1_30default_config_static_selectorELNS0_4arch9wavefront6targetE0EEEvS10_
; %bb.0:
	.section	.rodata,"a",@progbits
	.p2align	6, 0x0
	.amdhsa_kernel _ZN7rocprim17ROCPRIM_400000_NS6detail17trampoline_kernelINS0_14default_configENS1_21merge_config_selectorINS0_5tupleIJddEEENS0_10empty_typeEEEZNS1_10merge_implIS3_NS0_12zip_iteratorINS5_IJN6thrust23THRUST_200600_302600_NS6detail15normal_iteratorINSC_10device_ptrIKdEEEESI_EEEEESK_NSA_INS5_IJNSE_INSF_IdEEEESM_EEEEEPS7_SP_SP_NSC_11hip_rocprim7__merge17predicate_wrapperIddNSC_4lessIdEEEEEE10hipError_tPvRmT0_T1_T2_T3_T4_T5_mmT6_P12ihipStream_tbEUlT_E0_NS1_11comp_targetILNS1_3genE5ELNS1_11target_archE942ELNS1_3gpuE9ELNS1_3repE0EEENS1_30default_config_static_selectorELNS0_4arch9wavefront6targetE0EEEvS10_
		.amdhsa_group_segment_fixed_size 0
		.amdhsa_private_segment_fixed_size 0
		.amdhsa_kernarg_size 112
		.amdhsa_user_sgpr_count 2
		.amdhsa_user_sgpr_dispatch_ptr 0
		.amdhsa_user_sgpr_queue_ptr 0
		.amdhsa_user_sgpr_kernarg_segment_ptr 1
		.amdhsa_user_sgpr_dispatch_id 0
		.amdhsa_user_sgpr_kernarg_preload_length 0
		.amdhsa_user_sgpr_kernarg_preload_offset 0
		.amdhsa_user_sgpr_private_segment_size 0
		.amdhsa_wavefront_size32 1
		.amdhsa_uses_dynamic_stack 0
		.amdhsa_enable_private_segment 0
		.amdhsa_system_sgpr_workgroup_id_x 1
		.amdhsa_system_sgpr_workgroup_id_y 0
		.amdhsa_system_sgpr_workgroup_id_z 0
		.amdhsa_system_sgpr_workgroup_info 0
		.amdhsa_system_vgpr_workitem_id 0
		.amdhsa_next_free_vgpr 1
		.amdhsa_next_free_sgpr 1
		.amdhsa_named_barrier_count 0
		.amdhsa_reserve_vcc 0
		.amdhsa_float_round_mode_32 0
		.amdhsa_float_round_mode_16_64 0
		.amdhsa_float_denorm_mode_32 3
		.amdhsa_float_denorm_mode_16_64 3
		.amdhsa_fp16_overflow 0
		.amdhsa_memory_ordered 1
		.amdhsa_forward_progress 1
		.amdhsa_inst_pref_size 0
		.amdhsa_round_robin_scheduling 0
		.amdhsa_exception_fp_ieee_invalid_op 0
		.amdhsa_exception_fp_denorm_src 0
		.amdhsa_exception_fp_ieee_div_zero 0
		.amdhsa_exception_fp_ieee_overflow 0
		.amdhsa_exception_fp_ieee_underflow 0
		.amdhsa_exception_fp_ieee_inexact 0
		.amdhsa_exception_int_div_zero 0
	.end_amdhsa_kernel
	.section	.text._ZN7rocprim17ROCPRIM_400000_NS6detail17trampoline_kernelINS0_14default_configENS1_21merge_config_selectorINS0_5tupleIJddEEENS0_10empty_typeEEEZNS1_10merge_implIS3_NS0_12zip_iteratorINS5_IJN6thrust23THRUST_200600_302600_NS6detail15normal_iteratorINSC_10device_ptrIKdEEEESI_EEEEESK_NSA_INS5_IJNSE_INSF_IdEEEESM_EEEEEPS7_SP_SP_NSC_11hip_rocprim7__merge17predicate_wrapperIddNSC_4lessIdEEEEEE10hipError_tPvRmT0_T1_T2_T3_T4_T5_mmT6_P12ihipStream_tbEUlT_E0_NS1_11comp_targetILNS1_3genE5ELNS1_11target_archE942ELNS1_3gpuE9ELNS1_3repE0EEENS1_30default_config_static_selectorELNS0_4arch9wavefront6targetE0EEEvS10_,"axG",@progbits,_ZN7rocprim17ROCPRIM_400000_NS6detail17trampoline_kernelINS0_14default_configENS1_21merge_config_selectorINS0_5tupleIJddEEENS0_10empty_typeEEEZNS1_10merge_implIS3_NS0_12zip_iteratorINS5_IJN6thrust23THRUST_200600_302600_NS6detail15normal_iteratorINSC_10device_ptrIKdEEEESI_EEEEESK_NSA_INS5_IJNSE_INSF_IdEEEESM_EEEEEPS7_SP_SP_NSC_11hip_rocprim7__merge17predicate_wrapperIddNSC_4lessIdEEEEEE10hipError_tPvRmT0_T1_T2_T3_T4_T5_mmT6_P12ihipStream_tbEUlT_E0_NS1_11comp_targetILNS1_3genE5ELNS1_11target_archE942ELNS1_3gpuE9ELNS1_3repE0EEENS1_30default_config_static_selectorELNS0_4arch9wavefront6targetE0EEEvS10_,comdat
.Lfunc_end11:
	.size	_ZN7rocprim17ROCPRIM_400000_NS6detail17trampoline_kernelINS0_14default_configENS1_21merge_config_selectorINS0_5tupleIJddEEENS0_10empty_typeEEEZNS1_10merge_implIS3_NS0_12zip_iteratorINS5_IJN6thrust23THRUST_200600_302600_NS6detail15normal_iteratorINSC_10device_ptrIKdEEEESI_EEEEESK_NSA_INS5_IJNSE_INSF_IdEEEESM_EEEEEPS7_SP_SP_NSC_11hip_rocprim7__merge17predicate_wrapperIddNSC_4lessIdEEEEEE10hipError_tPvRmT0_T1_T2_T3_T4_T5_mmT6_P12ihipStream_tbEUlT_E0_NS1_11comp_targetILNS1_3genE5ELNS1_11target_archE942ELNS1_3gpuE9ELNS1_3repE0EEENS1_30default_config_static_selectorELNS0_4arch9wavefront6targetE0EEEvS10_, .Lfunc_end11-_ZN7rocprim17ROCPRIM_400000_NS6detail17trampoline_kernelINS0_14default_configENS1_21merge_config_selectorINS0_5tupleIJddEEENS0_10empty_typeEEEZNS1_10merge_implIS3_NS0_12zip_iteratorINS5_IJN6thrust23THRUST_200600_302600_NS6detail15normal_iteratorINSC_10device_ptrIKdEEEESI_EEEEESK_NSA_INS5_IJNSE_INSF_IdEEEESM_EEEEEPS7_SP_SP_NSC_11hip_rocprim7__merge17predicate_wrapperIddNSC_4lessIdEEEEEE10hipError_tPvRmT0_T1_T2_T3_T4_T5_mmT6_P12ihipStream_tbEUlT_E0_NS1_11comp_targetILNS1_3genE5ELNS1_11target_archE942ELNS1_3gpuE9ELNS1_3repE0EEENS1_30default_config_static_selectorELNS0_4arch9wavefront6targetE0EEEvS10_
                                        ; -- End function
	.set _ZN7rocprim17ROCPRIM_400000_NS6detail17trampoline_kernelINS0_14default_configENS1_21merge_config_selectorINS0_5tupleIJddEEENS0_10empty_typeEEEZNS1_10merge_implIS3_NS0_12zip_iteratorINS5_IJN6thrust23THRUST_200600_302600_NS6detail15normal_iteratorINSC_10device_ptrIKdEEEESI_EEEEESK_NSA_INS5_IJNSE_INSF_IdEEEESM_EEEEEPS7_SP_SP_NSC_11hip_rocprim7__merge17predicate_wrapperIddNSC_4lessIdEEEEEE10hipError_tPvRmT0_T1_T2_T3_T4_T5_mmT6_P12ihipStream_tbEUlT_E0_NS1_11comp_targetILNS1_3genE5ELNS1_11target_archE942ELNS1_3gpuE9ELNS1_3repE0EEENS1_30default_config_static_selectorELNS0_4arch9wavefront6targetE0EEEvS10_.num_vgpr, 0
	.set _ZN7rocprim17ROCPRIM_400000_NS6detail17trampoline_kernelINS0_14default_configENS1_21merge_config_selectorINS0_5tupleIJddEEENS0_10empty_typeEEEZNS1_10merge_implIS3_NS0_12zip_iteratorINS5_IJN6thrust23THRUST_200600_302600_NS6detail15normal_iteratorINSC_10device_ptrIKdEEEESI_EEEEESK_NSA_INS5_IJNSE_INSF_IdEEEESM_EEEEEPS7_SP_SP_NSC_11hip_rocprim7__merge17predicate_wrapperIddNSC_4lessIdEEEEEE10hipError_tPvRmT0_T1_T2_T3_T4_T5_mmT6_P12ihipStream_tbEUlT_E0_NS1_11comp_targetILNS1_3genE5ELNS1_11target_archE942ELNS1_3gpuE9ELNS1_3repE0EEENS1_30default_config_static_selectorELNS0_4arch9wavefront6targetE0EEEvS10_.num_agpr, 0
	.set _ZN7rocprim17ROCPRIM_400000_NS6detail17trampoline_kernelINS0_14default_configENS1_21merge_config_selectorINS0_5tupleIJddEEENS0_10empty_typeEEEZNS1_10merge_implIS3_NS0_12zip_iteratorINS5_IJN6thrust23THRUST_200600_302600_NS6detail15normal_iteratorINSC_10device_ptrIKdEEEESI_EEEEESK_NSA_INS5_IJNSE_INSF_IdEEEESM_EEEEEPS7_SP_SP_NSC_11hip_rocprim7__merge17predicate_wrapperIddNSC_4lessIdEEEEEE10hipError_tPvRmT0_T1_T2_T3_T4_T5_mmT6_P12ihipStream_tbEUlT_E0_NS1_11comp_targetILNS1_3genE5ELNS1_11target_archE942ELNS1_3gpuE9ELNS1_3repE0EEENS1_30default_config_static_selectorELNS0_4arch9wavefront6targetE0EEEvS10_.numbered_sgpr, 0
	.set _ZN7rocprim17ROCPRIM_400000_NS6detail17trampoline_kernelINS0_14default_configENS1_21merge_config_selectorINS0_5tupleIJddEEENS0_10empty_typeEEEZNS1_10merge_implIS3_NS0_12zip_iteratorINS5_IJN6thrust23THRUST_200600_302600_NS6detail15normal_iteratorINSC_10device_ptrIKdEEEESI_EEEEESK_NSA_INS5_IJNSE_INSF_IdEEEESM_EEEEEPS7_SP_SP_NSC_11hip_rocprim7__merge17predicate_wrapperIddNSC_4lessIdEEEEEE10hipError_tPvRmT0_T1_T2_T3_T4_T5_mmT6_P12ihipStream_tbEUlT_E0_NS1_11comp_targetILNS1_3genE5ELNS1_11target_archE942ELNS1_3gpuE9ELNS1_3repE0EEENS1_30default_config_static_selectorELNS0_4arch9wavefront6targetE0EEEvS10_.num_named_barrier, 0
	.set _ZN7rocprim17ROCPRIM_400000_NS6detail17trampoline_kernelINS0_14default_configENS1_21merge_config_selectorINS0_5tupleIJddEEENS0_10empty_typeEEEZNS1_10merge_implIS3_NS0_12zip_iteratorINS5_IJN6thrust23THRUST_200600_302600_NS6detail15normal_iteratorINSC_10device_ptrIKdEEEESI_EEEEESK_NSA_INS5_IJNSE_INSF_IdEEEESM_EEEEEPS7_SP_SP_NSC_11hip_rocprim7__merge17predicate_wrapperIddNSC_4lessIdEEEEEE10hipError_tPvRmT0_T1_T2_T3_T4_T5_mmT6_P12ihipStream_tbEUlT_E0_NS1_11comp_targetILNS1_3genE5ELNS1_11target_archE942ELNS1_3gpuE9ELNS1_3repE0EEENS1_30default_config_static_selectorELNS0_4arch9wavefront6targetE0EEEvS10_.private_seg_size, 0
	.set _ZN7rocprim17ROCPRIM_400000_NS6detail17trampoline_kernelINS0_14default_configENS1_21merge_config_selectorINS0_5tupleIJddEEENS0_10empty_typeEEEZNS1_10merge_implIS3_NS0_12zip_iteratorINS5_IJN6thrust23THRUST_200600_302600_NS6detail15normal_iteratorINSC_10device_ptrIKdEEEESI_EEEEESK_NSA_INS5_IJNSE_INSF_IdEEEESM_EEEEEPS7_SP_SP_NSC_11hip_rocprim7__merge17predicate_wrapperIddNSC_4lessIdEEEEEE10hipError_tPvRmT0_T1_T2_T3_T4_T5_mmT6_P12ihipStream_tbEUlT_E0_NS1_11comp_targetILNS1_3genE5ELNS1_11target_archE942ELNS1_3gpuE9ELNS1_3repE0EEENS1_30default_config_static_selectorELNS0_4arch9wavefront6targetE0EEEvS10_.uses_vcc, 0
	.set _ZN7rocprim17ROCPRIM_400000_NS6detail17trampoline_kernelINS0_14default_configENS1_21merge_config_selectorINS0_5tupleIJddEEENS0_10empty_typeEEEZNS1_10merge_implIS3_NS0_12zip_iteratorINS5_IJN6thrust23THRUST_200600_302600_NS6detail15normal_iteratorINSC_10device_ptrIKdEEEESI_EEEEESK_NSA_INS5_IJNSE_INSF_IdEEEESM_EEEEEPS7_SP_SP_NSC_11hip_rocprim7__merge17predicate_wrapperIddNSC_4lessIdEEEEEE10hipError_tPvRmT0_T1_T2_T3_T4_T5_mmT6_P12ihipStream_tbEUlT_E0_NS1_11comp_targetILNS1_3genE5ELNS1_11target_archE942ELNS1_3gpuE9ELNS1_3repE0EEENS1_30default_config_static_selectorELNS0_4arch9wavefront6targetE0EEEvS10_.uses_flat_scratch, 0
	.set _ZN7rocprim17ROCPRIM_400000_NS6detail17trampoline_kernelINS0_14default_configENS1_21merge_config_selectorINS0_5tupleIJddEEENS0_10empty_typeEEEZNS1_10merge_implIS3_NS0_12zip_iteratorINS5_IJN6thrust23THRUST_200600_302600_NS6detail15normal_iteratorINSC_10device_ptrIKdEEEESI_EEEEESK_NSA_INS5_IJNSE_INSF_IdEEEESM_EEEEEPS7_SP_SP_NSC_11hip_rocprim7__merge17predicate_wrapperIddNSC_4lessIdEEEEEE10hipError_tPvRmT0_T1_T2_T3_T4_T5_mmT6_P12ihipStream_tbEUlT_E0_NS1_11comp_targetILNS1_3genE5ELNS1_11target_archE942ELNS1_3gpuE9ELNS1_3repE0EEENS1_30default_config_static_selectorELNS0_4arch9wavefront6targetE0EEEvS10_.has_dyn_sized_stack, 0
	.set _ZN7rocprim17ROCPRIM_400000_NS6detail17trampoline_kernelINS0_14default_configENS1_21merge_config_selectorINS0_5tupleIJddEEENS0_10empty_typeEEEZNS1_10merge_implIS3_NS0_12zip_iteratorINS5_IJN6thrust23THRUST_200600_302600_NS6detail15normal_iteratorINSC_10device_ptrIKdEEEESI_EEEEESK_NSA_INS5_IJNSE_INSF_IdEEEESM_EEEEEPS7_SP_SP_NSC_11hip_rocprim7__merge17predicate_wrapperIddNSC_4lessIdEEEEEE10hipError_tPvRmT0_T1_T2_T3_T4_T5_mmT6_P12ihipStream_tbEUlT_E0_NS1_11comp_targetILNS1_3genE5ELNS1_11target_archE942ELNS1_3gpuE9ELNS1_3repE0EEENS1_30default_config_static_selectorELNS0_4arch9wavefront6targetE0EEEvS10_.has_recursion, 0
	.set _ZN7rocprim17ROCPRIM_400000_NS6detail17trampoline_kernelINS0_14default_configENS1_21merge_config_selectorINS0_5tupleIJddEEENS0_10empty_typeEEEZNS1_10merge_implIS3_NS0_12zip_iteratorINS5_IJN6thrust23THRUST_200600_302600_NS6detail15normal_iteratorINSC_10device_ptrIKdEEEESI_EEEEESK_NSA_INS5_IJNSE_INSF_IdEEEESM_EEEEEPS7_SP_SP_NSC_11hip_rocprim7__merge17predicate_wrapperIddNSC_4lessIdEEEEEE10hipError_tPvRmT0_T1_T2_T3_T4_T5_mmT6_P12ihipStream_tbEUlT_E0_NS1_11comp_targetILNS1_3genE5ELNS1_11target_archE942ELNS1_3gpuE9ELNS1_3repE0EEENS1_30default_config_static_selectorELNS0_4arch9wavefront6targetE0EEEvS10_.has_indirect_call, 0
	.section	.AMDGPU.csdata,"",@progbits
; Kernel info:
; codeLenInByte = 0
; TotalNumSgprs: 0
; NumVgprs: 0
; ScratchSize: 0
; MemoryBound: 0
; FloatMode: 240
; IeeeMode: 1
; LDSByteSize: 0 bytes/workgroup (compile time only)
; SGPRBlocks: 0
; VGPRBlocks: 0
; NumSGPRsForWavesPerEU: 1
; NumVGPRsForWavesPerEU: 1
; NamedBarCnt: 0
; Occupancy: 16
; WaveLimiterHint : 0
; COMPUTE_PGM_RSRC2:SCRATCH_EN: 0
; COMPUTE_PGM_RSRC2:USER_SGPR: 2
; COMPUTE_PGM_RSRC2:TRAP_HANDLER: 0
; COMPUTE_PGM_RSRC2:TGID_X_EN: 1
; COMPUTE_PGM_RSRC2:TGID_Y_EN: 0
; COMPUTE_PGM_RSRC2:TGID_Z_EN: 0
; COMPUTE_PGM_RSRC2:TIDIG_COMP_CNT: 0
	.section	.text._ZN7rocprim17ROCPRIM_400000_NS6detail17trampoline_kernelINS0_14default_configENS1_21merge_config_selectorINS0_5tupleIJddEEENS0_10empty_typeEEEZNS1_10merge_implIS3_NS0_12zip_iteratorINS5_IJN6thrust23THRUST_200600_302600_NS6detail15normal_iteratorINSC_10device_ptrIKdEEEESI_EEEEESK_NSA_INS5_IJNSE_INSF_IdEEEESM_EEEEEPS7_SP_SP_NSC_11hip_rocprim7__merge17predicate_wrapperIddNSC_4lessIdEEEEEE10hipError_tPvRmT0_T1_T2_T3_T4_T5_mmT6_P12ihipStream_tbEUlT_E0_NS1_11comp_targetILNS1_3genE4ELNS1_11target_archE910ELNS1_3gpuE8ELNS1_3repE0EEENS1_30default_config_static_selectorELNS0_4arch9wavefront6targetE0EEEvS10_,"axG",@progbits,_ZN7rocprim17ROCPRIM_400000_NS6detail17trampoline_kernelINS0_14default_configENS1_21merge_config_selectorINS0_5tupleIJddEEENS0_10empty_typeEEEZNS1_10merge_implIS3_NS0_12zip_iteratorINS5_IJN6thrust23THRUST_200600_302600_NS6detail15normal_iteratorINSC_10device_ptrIKdEEEESI_EEEEESK_NSA_INS5_IJNSE_INSF_IdEEEESM_EEEEEPS7_SP_SP_NSC_11hip_rocprim7__merge17predicate_wrapperIddNSC_4lessIdEEEEEE10hipError_tPvRmT0_T1_T2_T3_T4_T5_mmT6_P12ihipStream_tbEUlT_E0_NS1_11comp_targetILNS1_3genE4ELNS1_11target_archE910ELNS1_3gpuE8ELNS1_3repE0EEENS1_30default_config_static_selectorELNS0_4arch9wavefront6targetE0EEEvS10_,comdat
	.protected	_ZN7rocprim17ROCPRIM_400000_NS6detail17trampoline_kernelINS0_14default_configENS1_21merge_config_selectorINS0_5tupleIJddEEENS0_10empty_typeEEEZNS1_10merge_implIS3_NS0_12zip_iteratorINS5_IJN6thrust23THRUST_200600_302600_NS6detail15normal_iteratorINSC_10device_ptrIKdEEEESI_EEEEESK_NSA_INS5_IJNSE_INSF_IdEEEESM_EEEEEPS7_SP_SP_NSC_11hip_rocprim7__merge17predicate_wrapperIddNSC_4lessIdEEEEEE10hipError_tPvRmT0_T1_T2_T3_T4_T5_mmT6_P12ihipStream_tbEUlT_E0_NS1_11comp_targetILNS1_3genE4ELNS1_11target_archE910ELNS1_3gpuE8ELNS1_3repE0EEENS1_30default_config_static_selectorELNS0_4arch9wavefront6targetE0EEEvS10_ ; -- Begin function _ZN7rocprim17ROCPRIM_400000_NS6detail17trampoline_kernelINS0_14default_configENS1_21merge_config_selectorINS0_5tupleIJddEEENS0_10empty_typeEEEZNS1_10merge_implIS3_NS0_12zip_iteratorINS5_IJN6thrust23THRUST_200600_302600_NS6detail15normal_iteratorINSC_10device_ptrIKdEEEESI_EEEEESK_NSA_INS5_IJNSE_INSF_IdEEEESM_EEEEEPS7_SP_SP_NSC_11hip_rocprim7__merge17predicate_wrapperIddNSC_4lessIdEEEEEE10hipError_tPvRmT0_T1_T2_T3_T4_T5_mmT6_P12ihipStream_tbEUlT_E0_NS1_11comp_targetILNS1_3genE4ELNS1_11target_archE910ELNS1_3gpuE8ELNS1_3repE0EEENS1_30default_config_static_selectorELNS0_4arch9wavefront6targetE0EEEvS10_
	.globl	_ZN7rocprim17ROCPRIM_400000_NS6detail17trampoline_kernelINS0_14default_configENS1_21merge_config_selectorINS0_5tupleIJddEEENS0_10empty_typeEEEZNS1_10merge_implIS3_NS0_12zip_iteratorINS5_IJN6thrust23THRUST_200600_302600_NS6detail15normal_iteratorINSC_10device_ptrIKdEEEESI_EEEEESK_NSA_INS5_IJNSE_INSF_IdEEEESM_EEEEEPS7_SP_SP_NSC_11hip_rocprim7__merge17predicate_wrapperIddNSC_4lessIdEEEEEE10hipError_tPvRmT0_T1_T2_T3_T4_T5_mmT6_P12ihipStream_tbEUlT_E0_NS1_11comp_targetILNS1_3genE4ELNS1_11target_archE910ELNS1_3gpuE8ELNS1_3repE0EEENS1_30default_config_static_selectorELNS0_4arch9wavefront6targetE0EEEvS10_
	.p2align	8
	.type	_ZN7rocprim17ROCPRIM_400000_NS6detail17trampoline_kernelINS0_14default_configENS1_21merge_config_selectorINS0_5tupleIJddEEENS0_10empty_typeEEEZNS1_10merge_implIS3_NS0_12zip_iteratorINS5_IJN6thrust23THRUST_200600_302600_NS6detail15normal_iteratorINSC_10device_ptrIKdEEEESI_EEEEESK_NSA_INS5_IJNSE_INSF_IdEEEESM_EEEEEPS7_SP_SP_NSC_11hip_rocprim7__merge17predicate_wrapperIddNSC_4lessIdEEEEEE10hipError_tPvRmT0_T1_T2_T3_T4_T5_mmT6_P12ihipStream_tbEUlT_E0_NS1_11comp_targetILNS1_3genE4ELNS1_11target_archE910ELNS1_3gpuE8ELNS1_3repE0EEENS1_30default_config_static_selectorELNS0_4arch9wavefront6targetE0EEEvS10_,@function
_ZN7rocprim17ROCPRIM_400000_NS6detail17trampoline_kernelINS0_14default_configENS1_21merge_config_selectorINS0_5tupleIJddEEENS0_10empty_typeEEEZNS1_10merge_implIS3_NS0_12zip_iteratorINS5_IJN6thrust23THRUST_200600_302600_NS6detail15normal_iteratorINSC_10device_ptrIKdEEEESI_EEEEESK_NSA_INS5_IJNSE_INSF_IdEEEESM_EEEEEPS7_SP_SP_NSC_11hip_rocprim7__merge17predicate_wrapperIddNSC_4lessIdEEEEEE10hipError_tPvRmT0_T1_T2_T3_T4_T5_mmT6_P12ihipStream_tbEUlT_E0_NS1_11comp_targetILNS1_3genE4ELNS1_11target_archE910ELNS1_3gpuE8ELNS1_3repE0EEENS1_30default_config_static_selectorELNS0_4arch9wavefront6targetE0EEEvS10_: ; @_ZN7rocprim17ROCPRIM_400000_NS6detail17trampoline_kernelINS0_14default_configENS1_21merge_config_selectorINS0_5tupleIJddEEENS0_10empty_typeEEEZNS1_10merge_implIS3_NS0_12zip_iteratorINS5_IJN6thrust23THRUST_200600_302600_NS6detail15normal_iteratorINSC_10device_ptrIKdEEEESI_EEEEESK_NSA_INS5_IJNSE_INSF_IdEEEESM_EEEEEPS7_SP_SP_NSC_11hip_rocprim7__merge17predicate_wrapperIddNSC_4lessIdEEEEEE10hipError_tPvRmT0_T1_T2_T3_T4_T5_mmT6_P12ihipStream_tbEUlT_E0_NS1_11comp_targetILNS1_3genE4ELNS1_11target_archE910ELNS1_3gpuE8ELNS1_3repE0EEENS1_30default_config_static_selectorELNS0_4arch9wavefront6targetE0EEEvS10_
; %bb.0:
	.section	.rodata,"a",@progbits
	.p2align	6, 0x0
	.amdhsa_kernel _ZN7rocprim17ROCPRIM_400000_NS6detail17trampoline_kernelINS0_14default_configENS1_21merge_config_selectorINS0_5tupleIJddEEENS0_10empty_typeEEEZNS1_10merge_implIS3_NS0_12zip_iteratorINS5_IJN6thrust23THRUST_200600_302600_NS6detail15normal_iteratorINSC_10device_ptrIKdEEEESI_EEEEESK_NSA_INS5_IJNSE_INSF_IdEEEESM_EEEEEPS7_SP_SP_NSC_11hip_rocprim7__merge17predicate_wrapperIddNSC_4lessIdEEEEEE10hipError_tPvRmT0_T1_T2_T3_T4_T5_mmT6_P12ihipStream_tbEUlT_E0_NS1_11comp_targetILNS1_3genE4ELNS1_11target_archE910ELNS1_3gpuE8ELNS1_3repE0EEENS1_30default_config_static_selectorELNS0_4arch9wavefront6targetE0EEEvS10_
		.amdhsa_group_segment_fixed_size 0
		.amdhsa_private_segment_fixed_size 0
		.amdhsa_kernarg_size 112
		.amdhsa_user_sgpr_count 2
		.amdhsa_user_sgpr_dispatch_ptr 0
		.amdhsa_user_sgpr_queue_ptr 0
		.amdhsa_user_sgpr_kernarg_segment_ptr 1
		.amdhsa_user_sgpr_dispatch_id 0
		.amdhsa_user_sgpr_kernarg_preload_length 0
		.amdhsa_user_sgpr_kernarg_preload_offset 0
		.amdhsa_user_sgpr_private_segment_size 0
		.amdhsa_wavefront_size32 1
		.amdhsa_uses_dynamic_stack 0
		.amdhsa_enable_private_segment 0
		.amdhsa_system_sgpr_workgroup_id_x 1
		.amdhsa_system_sgpr_workgroup_id_y 0
		.amdhsa_system_sgpr_workgroup_id_z 0
		.amdhsa_system_sgpr_workgroup_info 0
		.amdhsa_system_vgpr_workitem_id 0
		.amdhsa_next_free_vgpr 1
		.amdhsa_next_free_sgpr 1
		.amdhsa_named_barrier_count 0
		.amdhsa_reserve_vcc 0
		.amdhsa_float_round_mode_32 0
		.amdhsa_float_round_mode_16_64 0
		.amdhsa_float_denorm_mode_32 3
		.amdhsa_float_denorm_mode_16_64 3
		.amdhsa_fp16_overflow 0
		.amdhsa_memory_ordered 1
		.amdhsa_forward_progress 1
		.amdhsa_inst_pref_size 0
		.amdhsa_round_robin_scheduling 0
		.amdhsa_exception_fp_ieee_invalid_op 0
		.amdhsa_exception_fp_denorm_src 0
		.amdhsa_exception_fp_ieee_div_zero 0
		.amdhsa_exception_fp_ieee_overflow 0
		.amdhsa_exception_fp_ieee_underflow 0
		.amdhsa_exception_fp_ieee_inexact 0
		.amdhsa_exception_int_div_zero 0
	.end_amdhsa_kernel
	.section	.text._ZN7rocprim17ROCPRIM_400000_NS6detail17trampoline_kernelINS0_14default_configENS1_21merge_config_selectorINS0_5tupleIJddEEENS0_10empty_typeEEEZNS1_10merge_implIS3_NS0_12zip_iteratorINS5_IJN6thrust23THRUST_200600_302600_NS6detail15normal_iteratorINSC_10device_ptrIKdEEEESI_EEEEESK_NSA_INS5_IJNSE_INSF_IdEEEESM_EEEEEPS7_SP_SP_NSC_11hip_rocprim7__merge17predicate_wrapperIddNSC_4lessIdEEEEEE10hipError_tPvRmT0_T1_T2_T3_T4_T5_mmT6_P12ihipStream_tbEUlT_E0_NS1_11comp_targetILNS1_3genE4ELNS1_11target_archE910ELNS1_3gpuE8ELNS1_3repE0EEENS1_30default_config_static_selectorELNS0_4arch9wavefront6targetE0EEEvS10_,"axG",@progbits,_ZN7rocprim17ROCPRIM_400000_NS6detail17trampoline_kernelINS0_14default_configENS1_21merge_config_selectorINS0_5tupleIJddEEENS0_10empty_typeEEEZNS1_10merge_implIS3_NS0_12zip_iteratorINS5_IJN6thrust23THRUST_200600_302600_NS6detail15normal_iteratorINSC_10device_ptrIKdEEEESI_EEEEESK_NSA_INS5_IJNSE_INSF_IdEEEESM_EEEEEPS7_SP_SP_NSC_11hip_rocprim7__merge17predicate_wrapperIddNSC_4lessIdEEEEEE10hipError_tPvRmT0_T1_T2_T3_T4_T5_mmT6_P12ihipStream_tbEUlT_E0_NS1_11comp_targetILNS1_3genE4ELNS1_11target_archE910ELNS1_3gpuE8ELNS1_3repE0EEENS1_30default_config_static_selectorELNS0_4arch9wavefront6targetE0EEEvS10_,comdat
.Lfunc_end12:
	.size	_ZN7rocprim17ROCPRIM_400000_NS6detail17trampoline_kernelINS0_14default_configENS1_21merge_config_selectorINS0_5tupleIJddEEENS0_10empty_typeEEEZNS1_10merge_implIS3_NS0_12zip_iteratorINS5_IJN6thrust23THRUST_200600_302600_NS6detail15normal_iteratorINSC_10device_ptrIKdEEEESI_EEEEESK_NSA_INS5_IJNSE_INSF_IdEEEESM_EEEEEPS7_SP_SP_NSC_11hip_rocprim7__merge17predicate_wrapperIddNSC_4lessIdEEEEEE10hipError_tPvRmT0_T1_T2_T3_T4_T5_mmT6_P12ihipStream_tbEUlT_E0_NS1_11comp_targetILNS1_3genE4ELNS1_11target_archE910ELNS1_3gpuE8ELNS1_3repE0EEENS1_30default_config_static_selectorELNS0_4arch9wavefront6targetE0EEEvS10_, .Lfunc_end12-_ZN7rocprim17ROCPRIM_400000_NS6detail17trampoline_kernelINS0_14default_configENS1_21merge_config_selectorINS0_5tupleIJddEEENS0_10empty_typeEEEZNS1_10merge_implIS3_NS0_12zip_iteratorINS5_IJN6thrust23THRUST_200600_302600_NS6detail15normal_iteratorINSC_10device_ptrIKdEEEESI_EEEEESK_NSA_INS5_IJNSE_INSF_IdEEEESM_EEEEEPS7_SP_SP_NSC_11hip_rocprim7__merge17predicate_wrapperIddNSC_4lessIdEEEEEE10hipError_tPvRmT0_T1_T2_T3_T4_T5_mmT6_P12ihipStream_tbEUlT_E0_NS1_11comp_targetILNS1_3genE4ELNS1_11target_archE910ELNS1_3gpuE8ELNS1_3repE0EEENS1_30default_config_static_selectorELNS0_4arch9wavefront6targetE0EEEvS10_
                                        ; -- End function
	.set _ZN7rocprim17ROCPRIM_400000_NS6detail17trampoline_kernelINS0_14default_configENS1_21merge_config_selectorINS0_5tupleIJddEEENS0_10empty_typeEEEZNS1_10merge_implIS3_NS0_12zip_iteratorINS5_IJN6thrust23THRUST_200600_302600_NS6detail15normal_iteratorINSC_10device_ptrIKdEEEESI_EEEEESK_NSA_INS5_IJNSE_INSF_IdEEEESM_EEEEEPS7_SP_SP_NSC_11hip_rocprim7__merge17predicate_wrapperIddNSC_4lessIdEEEEEE10hipError_tPvRmT0_T1_T2_T3_T4_T5_mmT6_P12ihipStream_tbEUlT_E0_NS1_11comp_targetILNS1_3genE4ELNS1_11target_archE910ELNS1_3gpuE8ELNS1_3repE0EEENS1_30default_config_static_selectorELNS0_4arch9wavefront6targetE0EEEvS10_.num_vgpr, 0
	.set _ZN7rocprim17ROCPRIM_400000_NS6detail17trampoline_kernelINS0_14default_configENS1_21merge_config_selectorINS0_5tupleIJddEEENS0_10empty_typeEEEZNS1_10merge_implIS3_NS0_12zip_iteratorINS5_IJN6thrust23THRUST_200600_302600_NS6detail15normal_iteratorINSC_10device_ptrIKdEEEESI_EEEEESK_NSA_INS5_IJNSE_INSF_IdEEEESM_EEEEEPS7_SP_SP_NSC_11hip_rocprim7__merge17predicate_wrapperIddNSC_4lessIdEEEEEE10hipError_tPvRmT0_T1_T2_T3_T4_T5_mmT6_P12ihipStream_tbEUlT_E0_NS1_11comp_targetILNS1_3genE4ELNS1_11target_archE910ELNS1_3gpuE8ELNS1_3repE0EEENS1_30default_config_static_selectorELNS0_4arch9wavefront6targetE0EEEvS10_.num_agpr, 0
	.set _ZN7rocprim17ROCPRIM_400000_NS6detail17trampoline_kernelINS0_14default_configENS1_21merge_config_selectorINS0_5tupleIJddEEENS0_10empty_typeEEEZNS1_10merge_implIS3_NS0_12zip_iteratorINS5_IJN6thrust23THRUST_200600_302600_NS6detail15normal_iteratorINSC_10device_ptrIKdEEEESI_EEEEESK_NSA_INS5_IJNSE_INSF_IdEEEESM_EEEEEPS7_SP_SP_NSC_11hip_rocprim7__merge17predicate_wrapperIddNSC_4lessIdEEEEEE10hipError_tPvRmT0_T1_T2_T3_T4_T5_mmT6_P12ihipStream_tbEUlT_E0_NS1_11comp_targetILNS1_3genE4ELNS1_11target_archE910ELNS1_3gpuE8ELNS1_3repE0EEENS1_30default_config_static_selectorELNS0_4arch9wavefront6targetE0EEEvS10_.numbered_sgpr, 0
	.set _ZN7rocprim17ROCPRIM_400000_NS6detail17trampoline_kernelINS0_14default_configENS1_21merge_config_selectorINS0_5tupleIJddEEENS0_10empty_typeEEEZNS1_10merge_implIS3_NS0_12zip_iteratorINS5_IJN6thrust23THRUST_200600_302600_NS6detail15normal_iteratorINSC_10device_ptrIKdEEEESI_EEEEESK_NSA_INS5_IJNSE_INSF_IdEEEESM_EEEEEPS7_SP_SP_NSC_11hip_rocprim7__merge17predicate_wrapperIddNSC_4lessIdEEEEEE10hipError_tPvRmT0_T1_T2_T3_T4_T5_mmT6_P12ihipStream_tbEUlT_E0_NS1_11comp_targetILNS1_3genE4ELNS1_11target_archE910ELNS1_3gpuE8ELNS1_3repE0EEENS1_30default_config_static_selectorELNS0_4arch9wavefront6targetE0EEEvS10_.num_named_barrier, 0
	.set _ZN7rocprim17ROCPRIM_400000_NS6detail17trampoline_kernelINS0_14default_configENS1_21merge_config_selectorINS0_5tupleIJddEEENS0_10empty_typeEEEZNS1_10merge_implIS3_NS0_12zip_iteratorINS5_IJN6thrust23THRUST_200600_302600_NS6detail15normal_iteratorINSC_10device_ptrIKdEEEESI_EEEEESK_NSA_INS5_IJNSE_INSF_IdEEEESM_EEEEEPS7_SP_SP_NSC_11hip_rocprim7__merge17predicate_wrapperIddNSC_4lessIdEEEEEE10hipError_tPvRmT0_T1_T2_T3_T4_T5_mmT6_P12ihipStream_tbEUlT_E0_NS1_11comp_targetILNS1_3genE4ELNS1_11target_archE910ELNS1_3gpuE8ELNS1_3repE0EEENS1_30default_config_static_selectorELNS0_4arch9wavefront6targetE0EEEvS10_.private_seg_size, 0
	.set _ZN7rocprim17ROCPRIM_400000_NS6detail17trampoline_kernelINS0_14default_configENS1_21merge_config_selectorINS0_5tupleIJddEEENS0_10empty_typeEEEZNS1_10merge_implIS3_NS0_12zip_iteratorINS5_IJN6thrust23THRUST_200600_302600_NS6detail15normal_iteratorINSC_10device_ptrIKdEEEESI_EEEEESK_NSA_INS5_IJNSE_INSF_IdEEEESM_EEEEEPS7_SP_SP_NSC_11hip_rocprim7__merge17predicate_wrapperIddNSC_4lessIdEEEEEE10hipError_tPvRmT0_T1_T2_T3_T4_T5_mmT6_P12ihipStream_tbEUlT_E0_NS1_11comp_targetILNS1_3genE4ELNS1_11target_archE910ELNS1_3gpuE8ELNS1_3repE0EEENS1_30default_config_static_selectorELNS0_4arch9wavefront6targetE0EEEvS10_.uses_vcc, 0
	.set _ZN7rocprim17ROCPRIM_400000_NS6detail17trampoline_kernelINS0_14default_configENS1_21merge_config_selectorINS0_5tupleIJddEEENS0_10empty_typeEEEZNS1_10merge_implIS3_NS0_12zip_iteratorINS5_IJN6thrust23THRUST_200600_302600_NS6detail15normal_iteratorINSC_10device_ptrIKdEEEESI_EEEEESK_NSA_INS5_IJNSE_INSF_IdEEEESM_EEEEEPS7_SP_SP_NSC_11hip_rocprim7__merge17predicate_wrapperIddNSC_4lessIdEEEEEE10hipError_tPvRmT0_T1_T2_T3_T4_T5_mmT6_P12ihipStream_tbEUlT_E0_NS1_11comp_targetILNS1_3genE4ELNS1_11target_archE910ELNS1_3gpuE8ELNS1_3repE0EEENS1_30default_config_static_selectorELNS0_4arch9wavefront6targetE0EEEvS10_.uses_flat_scratch, 0
	.set _ZN7rocprim17ROCPRIM_400000_NS6detail17trampoline_kernelINS0_14default_configENS1_21merge_config_selectorINS0_5tupleIJddEEENS0_10empty_typeEEEZNS1_10merge_implIS3_NS0_12zip_iteratorINS5_IJN6thrust23THRUST_200600_302600_NS6detail15normal_iteratorINSC_10device_ptrIKdEEEESI_EEEEESK_NSA_INS5_IJNSE_INSF_IdEEEESM_EEEEEPS7_SP_SP_NSC_11hip_rocprim7__merge17predicate_wrapperIddNSC_4lessIdEEEEEE10hipError_tPvRmT0_T1_T2_T3_T4_T5_mmT6_P12ihipStream_tbEUlT_E0_NS1_11comp_targetILNS1_3genE4ELNS1_11target_archE910ELNS1_3gpuE8ELNS1_3repE0EEENS1_30default_config_static_selectorELNS0_4arch9wavefront6targetE0EEEvS10_.has_dyn_sized_stack, 0
	.set _ZN7rocprim17ROCPRIM_400000_NS6detail17trampoline_kernelINS0_14default_configENS1_21merge_config_selectorINS0_5tupleIJddEEENS0_10empty_typeEEEZNS1_10merge_implIS3_NS0_12zip_iteratorINS5_IJN6thrust23THRUST_200600_302600_NS6detail15normal_iteratorINSC_10device_ptrIKdEEEESI_EEEEESK_NSA_INS5_IJNSE_INSF_IdEEEESM_EEEEEPS7_SP_SP_NSC_11hip_rocprim7__merge17predicate_wrapperIddNSC_4lessIdEEEEEE10hipError_tPvRmT0_T1_T2_T3_T4_T5_mmT6_P12ihipStream_tbEUlT_E0_NS1_11comp_targetILNS1_3genE4ELNS1_11target_archE910ELNS1_3gpuE8ELNS1_3repE0EEENS1_30default_config_static_selectorELNS0_4arch9wavefront6targetE0EEEvS10_.has_recursion, 0
	.set _ZN7rocprim17ROCPRIM_400000_NS6detail17trampoline_kernelINS0_14default_configENS1_21merge_config_selectorINS0_5tupleIJddEEENS0_10empty_typeEEEZNS1_10merge_implIS3_NS0_12zip_iteratorINS5_IJN6thrust23THRUST_200600_302600_NS6detail15normal_iteratorINSC_10device_ptrIKdEEEESI_EEEEESK_NSA_INS5_IJNSE_INSF_IdEEEESM_EEEEEPS7_SP_SP_NSC_11hip_rocprim7__merge17predicate_wrapperIddNSC_4lessIdEEEEEE10hipError_tPvRmT0_T1_T2_T3_T4_T5_mmT6_P12ihipStream_tbEUlT_E0_NS1_11comp_targetILNS1_3genE4ELNS1_11target_archE910ELNS1_3gpuE8ELNS1_3repE0EEENS1_30default_config_static_selectorELNS0_4arch9wavefront6targetE0EEEvS10_.has_indirect_call, 0
	.section	.AMDGPU.csdata,"",@progbits
; Kernel info:
; codeLenInByte = 0
; TotalNumSgprs: 0
; NumVgprs: 0
; ScratchSize: 0
; MemoryBound: 0
; FloatMode: 240
; IeeeMode: 1
; LDSByteSize: 0 bytes/workgroup (compile time only)
; SGPRBlocks: 0
; VGPRBlocks: 0
; NumSGPRsForWavesPerEU: 1
; NumVGPRsForWavesPerEU: 1
; NamedBarCnt: 0
; Occupancy: 16
; WaveLimiterHint : 0
; COMPUTE_PGM_RSRC2:SCRATCH_EN: 0
; COMPUTE_PGM_RSRC2:USER_SGPR: 2
; COMPUTE_PGM_RSRC2:TRAP_HANDLER: 0
; COMPUTE_PGM_RSRC2:TGID_X_EN: 1
; COMPUTE_PGM_RSRC2:TGID_Y_EN: 0
; COMPUTE_PGM_RSRC2:TGID_Z_EN: 0
; COMPUTE_PGM_RSRC2:TIDIG_COMP_CNT: 0
	.section	.text._ZN7rocprim17ROCPRIM_400000_NS6detail17trampoline_kernelINS0_14default_configENS1_21merge_config_selectorINS0_5tupleIJddEEENS0_10empty_typeEEEZNS1_10merge_implIS3_NS0_12zip_iteratorINS5_IJN6thrust23THRUST_200600_302600_NS6detail15normal_iteratorINSC_10device_ptrIKdEEEESI_EEEEESK_NSA_INS5_IJNSE_INSF_IdEEEESM_EEEEEPS7_SP_SP_NSC_11hip_rocprim7__merge17predicate_wrapperIddNSC_4lessIdEEEEEE10hipError_tPvRmT0_T1_T2_T3_T4_T5_mmT6_P12ihipStream_tbEUlT_E0_NS1_11comp_targetILNS1_3genE3ELNS1_11target_archE908ELNS1_3gpuE7ELNS1_3repE0EEENS1_30default_config_static_selectorELNS0_4arch9wavefront6targetE0EEEvS10_,"axG",@progbits,_ZN7rocprim17ROCPRIM_400000_NS6detail17trampoline_kernelINS0_14default_configENS1_21merge_config_selectorINS0_5tupleIJddEEENS0_10empty_typeEEEZNS1_10merge_implIS3_NS0_12zip_iteratorINS5_IJN6thrust23THRUST_200600_302600_NS6detail15normal_iteratorINSC_10device_ptrIKdEEEESI_EEEEESK_NSA_INS5_IJNSE_INSF_IdEEEESM_EEEEEPS7_SP_SP_NSC_11hip_rocprim7__merge17predicate_wrapperIddNSC_4lessIdEEEEEE10hipError_tPvRmT0_T1_T2_T3_T4_T5_mmT6_P12ihipStream_tbEUlT_E0_NS1_11comp_targetILNS1_3genE3ELNS1_11target_archE908ELNS1_3gpuE7ELNS1_3repE0EEENS1_30default_config_static_selectorELNS0_4arch9wavefront6targetE0EEEvS10_,comdat
	.protected	_ZN7rocprim17ROCPRIM_400000_NS6detail17trampoline_kernelINS0_14default_configENS1_21merge_config_selectorINS0_5tupleIJddEEENS0_10empty_typeEEEZNS1_10merge_implIS3_NS0_12zip_iteratorINS5_IJN6thrust23THRUST_200600_302600_NS6detail15normal_iteratorINSC_10device_ptrIKdEEEESI_EEEEESK_NSA_INS5_IJNSE_INSF_IdEEEESM_EEEEEPS7_SP_SP_NSC_11hip_rocprim7__merge17predicate_wrapperIddNSC_4lessIdEEEEEE10hipError_tPvRmT0_T1_T2_T3_T4_T5_mmT6_P12ihipStream_tbEUlT_E0_NS1_11comp_targetILNS1_3genE3ELNS1_11target_archE908ELNS1_3gpuE7ELNS1_3repE0EEENS1_30default_config_static_selectorELNS0_4arch9wavefront6targetE0EEEvS10_ ; -- Begin function _ZN7rocprim17ROCPRIM_400000_NS6detail17trampoline_kernelINS0_14default_configENS1_21merge_config_selectorINS0_5tupleIJddEEENS0_10empty_typeEEEZNS1_10merge_implIS3_NS0_12zip_iteratorINS5_IJN6thrust23THRUST_200600_302600_NS6detail15normal_iteratorINSC_10device_ptrIKdEEEESI_EEEEESK_NSA_INS5_IJNSE_INSF_IdEEEESM_EEEEEPS7_SP_SP_NSC_11hip_rocprim7__merge17predicate_wrapperIddNSC_4lessIdEEEEEE10hipError_tPvRmT0_T1_T2_T3_T4_T5_mmT6_P12ihipStream_tbEUlT_E0_NS1_11comp_targetILNS1_3genE3ELNS1_11target_archE908ELNS1_3gpuE7ELNS1_3repE0EEENS1_30default_config_static_selectorELNS0_4arch9wavefront6targetE0EEEvS10_
	.globl	_ZN7rocprim17ROCPRIM_400000_NS6detail17trampoline_kernelINS0_14default_configENS1_21merge_config_selectorINS0_5tupleIJddEEENS0_10empty_typeEEEZNS1_10merge_implIS3_NS0_12zip_iteratorINS5_IJN6thrust23THRUST_200600_302600_NS6detail15normal_iteratorINSC_10device_ptrIKdEEEESI_EEEEESK_NSA_INS5_IJNSE_INSF_IdEEEESM_EEEEEPS7_SP_SP_NSC_11hip_rocprim7__merge17predicate_wrapperIddNSC_4lessIdEEEEEE10hipError_tPvRmT0_T1_T2_T3_T4_T5_mmT6_P12ihipStream_tbEUlT_E0_NS1_11comp_targetILNS1_3genE3ELNS1_11target_archE908ELNS1_3gpuE7ELNS1_3repE0EEENS1_30default_config_static_selectorELNS0_4arch9wavefront6targetE0EEEvS10_
	.p2align	8
	.type	_ZN7rocprim17ROCPRIM_400000_NS6detail17trampoline_kernelINS0_14default_configENS1_21merge_config_selectorINS0_5tupleIJddEEENS0_10empty_typeEEEZNS1_10merge_implIS3_NS0_12zip_iteratorINS5_IJN6thrust23THRUST_200600_302600_NS6detail15normal_iteratorINSC_10device_ptrIKdEEEESI_EEEEESK_NSA_INS5_IJNSE_INSF_IdEEEESM_EEEEEPS7_SP_SP_NSC_11hip_rocprim7__merge17predicate_wrapperIddNSC_4lessIdEEEEEE10hipError_tPvRmT0_T1_T2_T3_T4_T5_mmT6_P12ihipStream_tbEUlT_E0_NS1_11comp_targetILNS1_3genE3ELNS1_11target_archE908ELNS1_3gpuE7ELNS1_3repE0EEENS1_30default_config_static_selectorELNS0_4arch9wavefront6targetE0EEEvS10_,@function
_ZN7rocprim17ROCPRIM_400000_NS6detail17trampoline_kernelINS0_14default_configENS1_21merge_config_selectorINS0_5tupleIJddEEENS0_10empty_typeEEEZNS1_10merge_implIS3_NS0_12zip_iteratorINS5_IJN6thrust23THRUST_200600_302600_NS6detail15normal_iteratorINSC_10device_ptrIKdEEEESI_EEEEESK_NSA_INS5_IJNSE_INSF_IdEEEESM_EEEEEPS7_SP_SP_NSC_11hip_rocprim7__merge17predicate_wrapperIddNSC_4lessIdEEEEEE10hipError_tPvRmT0_T1_T2_T3_T4_T5_mmT6_P12ihipStream_tbEUlT_E0_NS1_11comp_targetILNS1_3genE3ELNS1_11target_archE908ELNS1_3gpuE7ELNS1_3repE0EEENS1_30default_config_static_selectorELNS0_4arch9wavefront6targetE0EEEvS10_: ; @_ZN7rocprim17ROCPRIM_400000_NS6detail17trampoline_kernelINS0_14default_configENS1_21merge_config_selectorINS0_5tupleIJddEEENS0_10empty_typeEEEZNS1_10merge_implIS3_NS0_12zip_iteratorINS5_IJN6thrust23THRUST_200600_302600_NS6detail15normal_iteratorINSC_10device_ptrIKdEEEESI_EEEEESK_NSA_INS5_IJNSE_INSF_IdEEEESM_EEEEEPS7_SP_SP_NSC_11hip_rocprim7__merge17predicate_wrapperIddNSC_4lessIdEEEEEE10hipError_tPvRmT0_T1_T2_T3_T4_T5_mmT6_P12ihipStream_tbEUlT_E0_NS1_11comp_targetILNS1_3genE3ELNS1_11target_archE908ELNS1_3gpuE7ELNS1_3repE0EEENS1_30default_config_static_selectorELNS0_4arch9wavefront6targetE0EEEvS10_
; %bb.0:
	.section	.rodata,"a",@progbits
	.p2align	6, 0x0
	.amdhsa_kernel _ZN7rocprim17ROCPRIM_400000_NS6detail17trampoline_kernelINS0_14default_configENS1_21merge_config_selectorINS0_5tupleIJddEEENS0_10empty_typeEEEZNS1_10merge_implIS3_NS0_12zip_iteratorINS5_IJN6thrust23THRUST_200600_302600_NS6detail15normal_iteratorINSC_10device_ptrIKdEEEESI_EEEEESK_NSA_INS5_IJNSE_INSF_IdEEEESM_EEEEEPS7_SP_SP_NSC_11hip_rocprim7__merge17predicate_wrapperIddNSC_4lessIdEEEEEE10hipError_tPvRmT0_T1_T2_T3_T4_T5_mmT6_P12ihipStream_tbEUlT_E0_NS1_11comp_targetILNS1_3genE3ELNS1_11target_archE908ELNS1_3gpuE7ELNS1_3repE0EEENS1_30default_config_static_selectorELNS0_4arch9wavefront6targetE0EEEvS10_
		.amdhsa_group_segment_fixed_size 0
		.amdhsa_private_segment_fixed_size 0
		.amdhsa_kernarg_size 112
		.amdhsa_user_sgpr_count 2
		.amdhsa_user_sgpr_dispatch_ptr 0
		.amdhsa_user_sgpr_queue_ptr 0
		.amdhsa_user_sgpr_kernarg_segment_ptr 1
		.amdhsa_user_sgpr_dispatch_id 0
		.amdhsa_user_sgpr_kernarg_preload_length 0
		.amdhsa_user_sgpr_kernarg_preload_offset 0
		.amdhsa_user_sgpr_private_segment_size 0
		.amdhsa_wavefront_size32 1
		.amdhsa_uses_dynamic_stack 0
		.amdhsa_enable_private_segment 0
		.amdhsa_system_sgpr_workgroup_id_x 1
		.amdhsa_system_sgpr_workgroup_id_y 0
		.amdhsa_system_sgpr_workgroup_id_z 0
		.amdhsa_system_sgpr_workgroup_info 0
		.amdhsa_system_vgpr_workitem_id 0
		.amdhsa_next_free_vgpr 1
		.amdhsa_next_free_sgpr 1
		.amdhsa_named_barrier_count 0
		.amdhsa_reserve_vcc 0
		.amdhsa_float_round_mode_32 0
		.amdhsa_float_round_mode_16_64 0
		.amdhsa_float_denorm_mode_32 3
		.amdhsa_float_denorm_mode_16_64 3
		.amdhsa_fp16_overflow 0
		.amdhsa_memory_ordered 1
		.amdhsa_forward_progress 1
		.amdhsa_inst_pref_size 0
		.amdhsa_round_robin_scheduling 0
		.amdhsa_exception_fp_ieee_invalid_op 0
		.amdhsa_exception_fp_denorm_src 0
		.amdhsa_exception_fp_ieee_div_zero 0
		.amdhsa_exception_fp_ieee_overflow 0
		.amdhsa_exception_fp_ieee_underflow 0
		.amdhsa_exception_fp_ieee_inexact 0
		.amdhsa_exception_int_div_zero 0
	.end_amdhsa_kernel
	.section	.text._ZN7rocprim17ROCPRIM_400000_NS6detail17trampoline_kernelINS0_14default_configENS1_21merge_config_selectorINS0_5tupleIJddEEENS0_10empty_typeEEEZNS1_10merge_implIS3_NS0_12zip_iteratorINS5_IJN6thrust23THRUST_200600_302600_NS6detail15normal_iteratorINSC_10device_ptrIKdEEEESI_EEEEESK_NSA_INS5_IJNSE_INSF_IdEEEESM_EEEEEPS7_SP_SP_NSC_11hip_rocprim7__merge17predicate_wrapperIddNSC_4lessIdEEEEEE10hipError_tPvRmT0_T1_T2_T3_T4_T5_mmT6_P12ihipStream_tbEUlT_E0_NS1_11comp_targetILNS1_3genE3ELNS1_11target_archE908ELNS1_3gpuE7ELNS1_3repE0EEENS1_30default_config_static_selectorELNS0_4arch9wavefront6targetE0EEEvS10_,"axG",@progbits,_ZN7rocprim17ROCPRIM_400000_NS6detail17trampoline_kernelINS0_14default_configENS1_21merge_config_selectorINS0_5tupleIJddEEENS0_10empty_typeEEEZNS1_10merge_implIS3_NS0_12zip_iteratorINS5_IJN6thrust23THRUST_200600_302600_NS6detail15normal_iteratorINSC_10device_ptrIKdEEEESI_EEEEESK_NSA_INS5_IJNSE_INSF_IdEEEESM_EEEEEPS7_SP_SP_NSC_11hip_rocprim7__merge17predicate_wrapperIddNSC_4lessIdEEEEEE10hipError_tPvRmT0_T1_T2_T3_T4_T5_mmT6_P12ihipStream_tbEUlT_E0_NS1_11comp_targetILNS1_3genE3ELNS1_11target_archE908ELNS1_3gpuE7ELNS1_3repE0EEENS1_30default_config_static_selectorELNS0_4arch9wavefront6targetE0EEEvS10_,comdat
.Lfunc_end13:
	.size	_ZN7rocprim17ROCPRIM_400000_NS6detail17trampoline_kernelINS0_14default_configENS1_21merge_config_selectorINS0_5tupleIJddEEENS0_10empty_typeEEEZNS1_10merge_implIS3_NS0_12zip_iteratorINS5_IJN6thrust23THRUST_200600_302600_NS6detail15normal_iteratorINSC_10device_ptrIKdEEEESI_EEEEESK_NSA_INS5_IJNSE_INSF_IdEEEESM_EEEEEPS7_SP_SP_NSC_11hip_rocprim7__merge17predicate_wrapperIddNSC_4lessIdEEEEEE10hipError_tPvRmT0_T1_T2_T3_T4_T5_mmT6_P12ihipStream_tbEUlT_E0_NS1_11comp_targetILNS1_3genE3ELNS1_11target_archE908ELNS1_3gpuE7ELNS1_3repE0EEENS1_30default_config_static_selectorELNS0_4arch9wavefront6targetE0EEEvS10_, .Lfunc_end13-_ZN7rocprim17ROCPRIM_400000_NS6detail17trampoline_kernelINS0_14default_configENS1_21merge_config_selectorINS0_5tupleIJddEEENS0_10empty_typeEEEZNS1_10merge_implIS3_NS0_12zip_iteratorINS5_IJN6thrust23THRUST_200600_302600_NS6detail15normal_iteratorINSC_10device_ptrIKdEEEESI_EEEEESK_NSA_INS5_IJNSE_INSF_IdEEEESM_EEEEEPS7_SP_SP_NSC_11hip_rocprim7__merge17predicate_wrapperIddNSC_4lessIdEEEEEE10hipError_tPvRmT0_T1_T2_T3_T4_T5_mmT6_P12ihipStream_tbEUlT_E0_NS1_11comp_targetILNS1_3genE3ELNS1_11target_archE908ELNS1_3gpuE7ELNS1_3repE0EEENS1_30default_config_static_selectorELNS0_4arch9wavefront6targetE0EEEvS10_
                                        ; -- End function
	.set _ZN7rocprim17ROCPRIM_400000_NS6detail17trampoline_kernelINS0_14default_configENS1_21merge_config_selectorINS0_5tupleIJddEEENS0_10empty_typeEEEZNS1_10merge_implIS3_NS0_12zip_iteratorINS5_IJN6thrust23THRUST_200600_302600_NS6detail15normal_iteratorINSC_10device_ptrIKdEEEESI_EEEEESK_NSA_INS5_IJNSE_INSF_IdEEEESM_EEEEEPS7_SP_SP_NSC_11hip_rocprim7__merge17predicate_wrapperIddNSC_4lessIdEEEEEE10hipError_tPvRmT0_T1_T2_T3_T4_T5_mmT6_P12ihipStream_tbEUlT_E0_NS1_11comp_targetILNS1_3genE3ELNS1_11target_archE908ELNS1_3gpuE7ELNS1_3repE0EEENS1_30default_config_static_selectorELNS0_4arch9wavefront6targetE0EEEvS10_.num_vgpr, 0
	.set _ZN7rocprim17ROCPRIM_400000_NS6detail17trampoline_kernelINS0_14default_configENS1_21merge_config_selectorINS0_5tupleIJddEEENS0_10empty_typeEEEZNS1_10merge_implIS3_NS0_12zip_iteratorINS5_IJN6thrust23THRUST_200600_302600_NS6detail15normal_iteratorINSC_10device_ptrIKdEEEESI_EEEEESK_NSA_INS5_IJNSE_INSF_IdEEEESM_EEEEEPS7_SP_SP_NSC_11hip_rocprim7__merge17predicate_wrapperIddNSC_4lessIdEEEEEE10hipError_tPvRmT0_T1_T2_T3_T4_T5_mmT6_P12ihipStream_tbEUlT_E0_NS1_11comp_targetILNS1_3genE3ELNS1_11target_archE908ELNS1_3gpuE7ELNS1_3repE0EEENS1_30default_config_static_selectorELNS0_4arch9wavefront6targetE0EEEvS10_.num_agpr, 0
	.set _ZN7rocprim17ROCPRIM_400000_NS6detail17trampoline_kernelINS0_14default_configENS1_21merge_config_selectorINS0_5tupleIJddEEENS0_10empty_typeEEEZNS1_10merge_implIS3_NS0_12zip_iteratorINS5_IJN6thrust23THRUST_200600_302600_NS6detail15normal_iteratorINSC_10device_ptrIKdEEEESI_EEEEESK_NSA_INS5_IJNSE_INSF_IdEEEESM_EEEEEPS7_SP_SP_NSC_11hip_rocprim7__merge17predicate_wrapperIddNSC_4lessIdEEEEEE10hipError_tPvRmT0_T1_T2_T3_T4_T5_mmT6_P12ihipStream_tbEUlT_E0_NS1_11comp_targetILNS1_3genE3ELNS1_11target_archE908ELNS1_3gpuE7ELNS1_3repE0EEENS1_30default_config_static_selectorELNS0_4arch9wavefront6targetE0EEEvS10_.numbered_sgpr, 0
	.set _ZN7rocprim17ROCPRIM_400000_NS6detail17trampoline_kernelINS0_14default_configENS1_21merge_config_selectorINS0_5tupleIJddEEENS0_10empty_typeEEEZNS1_10merge_implIS3_NS0_12zip_iteratorINS5_IJN6thrust23THRUST_200600_302600_NS6detail15normal_iteratorINSC_10device_ptrIKdEEEESI_EEEEESK_NSA_INS5_IJNSE_INSF_IdEEEESM_EEEEEPS7_SP_SP_NSC_11hip_rocprim7__merge17predicate_wrapperIddNSC_4lessIdEEEEEE10hipError_tPvRmT0_T1_T2_T3_T4_T5_mmT6_P12ihipStream_tbEUlT_E0_NS1_11comp_targetILNS1_3genE3ELNS1_11target_archE908ELNS1_3gpuE7ELNS1_3repE0EEENS1_30default_config_static_selectorELNS0_4arch9wavefront6targetE0EEEvS10_.num_named_barrier, 0
	.set _ZN7rocprim17ROCPRIM_400000_NS6detail17trampoline_kernelINS0_14default_configENS1_21merge_config_selectorINS0_5tupleIJddEEENS0_10empty_typeEEEZNS1_10merge_implIS3_NS0_12zip_iteratorINS5_IJN6thrust23THRUST_200600_302600_NS6detail15normal_iteratorINSC_10device_ptrIKdEEEESI_EEEEESK_NSA_INS5_IJNSE_INSF_IdEEEESM_EEEEEPS7_SP_SP_NSC_11hip_rocprim7__merge17predicate_wrapperIddNSC_4lessIdEEEEEE10hipError_tPvRmT0_T1_T2_T3_T4_T5_mmT6_P12ihipStream_tbEUlT_E0_NS1_11comp_targetILNS1_3genE3ELNS1_11target_archE908ELNS1_3gpuE7ELNS1_3repE0EEENS1_30default_config_static_selectorELNS0_4arch9wavefront6targetE0EEEvS10_.private_seg_size, 0
	.set _ZN7rocprim17ROCPRIM_400000_NS6detail17trampoline_kernelINS0_14default_configENS1_21merge_config_selectorINS0_5tupleIJddEEENS0_10empty_typeEEEZNS1_10merge_implIS3_NS0_12zip_iteratorINS5_IJN6thrust23THRUST_200600_302600_NS6detail15normal_iteratorINSC_10device_ptrIKdEEEESI_EEEEESK_NSA_INS5_IJNSE_INSF_IdEEEESM_EEEEEPS7_SP_SP_NSC_11hip_rocprim7__merge17predicate_wrapperIddNSC_4lessIdEEEEEE10hipError_tPvRmT0_T1_T2_T3_T4_T5_mmT6_P12ihipStream_tbEUlT_E0_NS1_11comp_targetILNS1_3genE3ELNS1_11target_archE908ELNS1_3gpuE7ELNS1_3repE0EEENS1_30default_config_static_selectorELNS0_4arch9wavefront6targetE0EEEvS10_.uses_vcc, 0
	.set _ZN7rocprim17ROCPRIM_400000_NS6detail17trampoline_kernelINS0_14default_configENS1_21merge_config_selectorINS0_5tupleIJddEEENS0_10empty_typeEEEZNS1_10merge_implIS3_NS0_12zip_iteratorINS5_IJN6thrust23THRUST_200600_302600_NS6detail15normal_iteratorINSC_10device_ptrIKdEEEESI_EEEEESK_NSA_INS5_IJNSE_INSF_IdEEEESM_EEEEEPS7_SP_SP_NSC_11hip_rocprim7__merge17predicate_wrapperIddNSC_4lessIdEEEEEE10hipError_tPvRmT0_T1_T2_T3_T4_T5_mmT6_P12ihipStream_tbEUlT_E0_NS1_11comp_targetILNS1_3genE3ELNS1_11target_archE908ELNS1_3gpuE7ELNS1_3repE0EEENS1_30default_config_static_selectorELNS0_4arch9wavefront6targetE0EEEvS10_.uses_flat_scratch, 0
	.set _ZN7rocprim17ROCPRIM_400000_NS6detail17trampoline_kernelINS0_14default_configENS1_21merge_config_selectorINS0_5tupleIJddEEENS0_10empty_typeEEEZNS1_10merge_implIS3_NS0_12zip_iteratorINS5_IJN6thrust23THRUST_200600_302600_NS6detail15normal_iteratorINSC_10device_ptrIKdEEEESI_EEEEESK_NSA_INS5_IJNSE_INSF_IdEEEESM_EEEEEPS7_SP_SP_NSC_11hip_rocprim7__merge17predicate_wrapperIddNSC_4lessIdEEEEEE10hipError_tPvRmT0_T1_T2_T3_T4_T5_mmT6_P12ihipStream_tbEUlT_E0_NS1_11comp_targetILNS1_3genE3ELNS1_11target_archE908ELNS1_3gpuE7ELNS1_3repE0EEENS1_30default_config_static_selectorELNS0_4arch9wavefront6targetE0EEEvS10_.has_dyn_sized_stack, 0
	.set _ZN7rocprim17ROCPRIM_400000_NS6detail17trampoline_kernelINS0_14default_configENS1_21merge_config_selectorINS0_5tupleIJddEEENS0_10empty_typeEEEZNS1_10merge_implIS3_NS0_12zip_iteratorINS5_IJN6thrust23THRUST_200600_302600_NS6detail15normal_iteratorINSC_10device_ptrIKdEEEESI_EEEEESK_NSA_INS5_IJNSE_INSF_IdEEEESM_EEEEEPS7_SP_SP_NSC_11hip_rocprim7__merge17predicate_wrapperIddNSC_4lessIdEEEEEE10hipError_tPvRmT0_T1_T2_T3_T4_T5_mmT6_P12ihipStream_tbEUlT_E0_NS1_11comp_targetILNS1_3genE3ELNS1_11target_archE908ELNS1_3gpuE7ELNS1_3repE0EEENS1_30default_config_static_selectorELNS0_4arch9wavefront6targetE0EEEvS10_.has_recursion, 0
	.set _ZN7rocprim17ROCPRIM_400000_NS6detail17trampoline_kernelINS0_14default_configENS1_21merge_config_selectorINS0_5tupleIJddEEENS0_10empty_typeEEEZNS1_10merge_implIS3_NS0_12zip_iteratorINS5_IJN6thrust23THRUST_200600_302600_NS6detail15normal_iteratorINSC_10device_ptrIKdEEEESI_EEEEESK_NSA_INS5_IJNSE_INSF_IdEEEESM_EEEEEPS7_SP_SP_NSC_11hip_rocprim7__merge17predicate_wrapperIddNSC_4lessIdEEEEEE10hipError_tPvRmT0_T1_T2_T3_T4_T5_mmT6_P12ihipStream_tbEUlT_E0_NS1_11comp_targetILNS1_3genE3ELNS1_11target_archE908ELNS1_3gpuE7ELNS1_3repE0EEENS1_30default_config_static_selectorELNS0_4arch9wavefront6targetE0EEEvS10_.has_indirect_call, 0
	.section	.AMDGPU.csdata,"",@progbits
; Kernel info:
; codeLenInByte = 0
; TotalNumSgprs: 0
; NumVgprs: 0
; ScratchSize: 0
; MemoryBound: 0
; FloatMode: 240
; IeeeMode: 1
; LDSByteSize: 0 bytes/workgroup (compile time only)
; SGPRBlocks: 0
; VGPRBlocks: 0
; NumSGPRsForWavesPerEU: 1
; NumVGPRsForWavesPerEU: 1
; NamedBarCnt: 0
; Occupancy: 16
; WaveLimiterHint : 0
; COMPUTE_PGM_RSRC2:SCRATCH_EN: 0
; COMPUTE_PGM_RSRC2:USER_SGPR: 2
; COMPUTE_PGM_RSRC2:TRAP_HANDLER: 0
; COMPUTE_PGM_RSRC2:TGID_X_EN: 1
; COMPUTE_PGM_RSRC2:TGID_Y_EN: 0
; COMPUTE_PGM_RSRC2:TGID_Z_EN: 0
; COMPUTE_PGM_RSRC2:TIDIG_COMP_CNT: 0
	.section	.text._ZN7rocprim17ROCPRIM_400000_NS6detail17trampoline_kernelINS0_14default_configENS1_21merge_config_selectorINS0_5tupleIJddEEENS0_10empty_typeEEEZNS1_10merge_implIS3_NS0_12zip_iteratorINS5_IJN6thrust23THRUST_200600_302600_NS6detail15normal_iteratorINSC_10device_ptrIKdEEEESI_EEEEESK_NSA_INS5_IJNSE_INSF_IdEEEESM_EEEEEPS7_SP_SP_NSC_11hip_rocprim7__merge17predicate_wrapperIddNSC_4lessIdEEEEEE10hipError_tPvRmT0_T1_T2_T3_T4_T5_mmT6_P12ihipStream_tbEUlT_E0_NS1_11comp_targetILNS1_3genE2ELNS1_11target_archE906ELNS1_3gpuE6ELNS1_3repE0EEENS1_30default_config_static_selectorELNS0_4arch9wavefront6targetE0EEEvS10_,"axG",@progbits,_ZN7rocprim17ROCPRIM_400000_NS6detail17trampoline_kernelINS0_14default_configENS1_21merge_config_selectorINS0_5tupleIJddEEENS0_10empty_typeEEEZNS1_10merge_implIS3_NS0_12zip_iteratorINS5_IJN6thrust23THRUST_200600_302600_NS6detail15normal_iteratorINSC_10device_ptrIKdEEEESI_EEEEESK_NSA_INS5_IJNSE_INSF_IdEEEESM_EEEEEPS7_SP_SP_NSC_11hip_rocprim7__merge17predicate_wrapperIddNSC_4lessIdEEEEEE10hipError_tPvRmT0_T1_T2_T3_T4_T5_mmT6_P12ihipStream_tbEUlT_E0_NS1_11comp_targetILNS1_3genE2ELNS1_11target_archE906ELNS1_3gpuE6ELNS1_3repE0EEENS1_30default_config_static_selectorELNS0_4arch9wavefront6targetE0EEEvS10_,comdat
	.protected	_ZN7rocprim17ROCPRIM_400000_NS6detail17trampoline_kernelINS0_14default_configENS1_21merge_config_selectorINS0_5tupleIJddEEENS0_10empty_typeEEEZNS1_10merge_implIS3_NS0_12zip_iteratorINS5_IJN6thrust23THRUST_200600_302600_NS6detail15normal_iteratorINSC_10device_ptrIKdEEEESI_EEEEESK_NSA_INS5_IJNSE_INSF_IdEEEESM_EEEEEPS7_SP_SP_NSC_11hip_rocprim7__merge17predicate_wrapperIddNSC_4lessIdEEEEEE10hipError_tPvRmT0_T1_T2_T3_T4_T5_mmT6_P12ihipStream_tbEUlT_E0_NS1_11comp_targetILNS1_3genE2ELNS1_11target_archE906ELNS1_3gpuE6ELNS1_3repE0EEENS1_30default_config_static_selectorELNS0_4arch9wavefront6targetE0EEEvS10_ ; -- Begin function _ZN7rocprim17ROCPRIM_400000_NS6detail17trampoline_kernelINS0_14default_configENS1_21merge_config_selectorINS0_5tupleIJddEEENS0_10empty_typeEEEZNS1_10merge_implIS3_NS0_12zip_iteratorINS5_IJN6thrust23THRUST_200600_302600_NS6detail15normal_iteratorINSC_10device_ptrIKdEEEESI_EEEEESK_NSA_INS5_IJNSE_INSF_IdEEEESM_EEEEEPS7_SP_SP_NSC_11hip_rocprim7__merge17predicate_wrapperIddNSC_4lessIdEEEEEE10hipError_tPvRmT0_T1_T2_T3_T4_T5_mmT6_P12ihipStream_tbEUlT_E0_NS1_11comp_targetILNS1_3genE2ELNS1_11target_archE906ELNS1_3gpuE6ELNS1_3repE0EEENS1_30default_config_static_selectorELNS0_4arch9wavefront6targetE0EEEvS10_
	.globl	_ZN7rocprim17ROCPRIM_400000_NS6detail17trampoline_kernelINS0_14default_configENS1_21merge_config_selectorINS0_5tupleIJddEEENS0_10empty_typeEEEZNS1_10merge_implIS3_NS0_12zip_iteratorINS5_IJN6thrust23THRUST_200600_302600_NS6detail15normal_iteratorINSC_10device_ptrIKdEEEESI_EEEEESK_NSA_INS5_IJNSE_INSF_IdEEEESM_EEEEEPS7_SP_SP_NSC_11hip_rocprim7__merge17predicate_wrapperIddNSC_4lessIdEEEEEE10hipError_tPvRmT0_T1_T2_T3_T4_T5_mmT6_P12ihipStream_tbEUlT_E0_NS1_11comp_targetILNS1_3genE2ELNS1_11target_archE906ELNS1_3gpuE6ELNS1_3repE0EEENS1_30default_config_static_selectorELNS0_4arch9wavefront6targetE0EEEvS10_
	.p2align	8
	.type	_ZN7rocprim17ROCPRIM_400000_NS6detail17trampoline_kernelINS0_14default_configENS1_21merge_config_selectorINS0_5tupleIJddEEENS0_10empty_typeEEEZNS1_10merge_implIS3_NS0_12zip_iteratorINS5_IJN6thrust23THRUST_200600_302600_NS6detail15normal_iteratorINSC_10device_ptrIKdEEEESI_EEEEESK_NSA_INS5_IJNSE_INSF_IdEEEESM_EEEEEPS7_SP_SP_NSC_11hip_rocprim7__merge17predicate_wrapperIddNSC_4lessIdEEEEEE10hipError_tPvRmT0_T1_T2_T3_T4_T5_mmT6_P12ihipStream_tbEUlT_E0_NS1_11comp_targetILNS1_3genE2ELNS1_11target_archE906ELNS1_3gpuE6ELNS1_3repE0EEENS1_30default_config_static_selectorELNS0_4arch9wavefront6targetE0EEEvS10_,@function
_ZN7rocprim17ROCPRIM_400000_NS6detail17trampoline_kernelINS0_14default_configENS1_21merge_config_selectorINS0_5tupleIJddEEENS0_10empty_typeEEEZNS1_10merge_implIS3_NS0_12zip_iteratorINS5_IJN6thrust23THRUST_200600_302600_NS6detail15normal_iteratorINSC_10device_ptrIKdEEEESI_EEEEESK_NSA_INS5_IJNSE_INSF_IdEEEESM_EEEEEPS7_SP_SP_NSC_11hip_rocprim7__merge17predicate_wrapperIddNSC_4lessIdEEEEEE10hipError_tPvRmT0_T1_T2_T3_T4_T5_mmT6_P12ihipStream_tbEUlT_E0_NS1_11comp_targetILNS1_3genE2ELNS1_11target_archE906ELNS1_3gpuE6ELNS1_3repE0EEENS1_30default_config_static_selectorELNS0_4arch9wavefront6targetE0EEEvS10_: ; @_ZN7rocprim17ROCPRIM_400000_NS6detail17trampoline_kernelINS0_14default_configENS1_21merge_config_selectorINS0_5tupleIJddEEENS0_10empty_typeEEEZNS1_10merge_implIS3_NS0_12zip_iteratorINS5_IJN6thrust23THRUST_200600_302600_NS6detail15normal_iteratorINSC_10device_ptrIKdEEEESI_EEEEESK_NSA_INS5_IJNSE_INSF_IdEEEESM_EEEEEPS7_SP_SP_NSC_11hip_rocprim7__merge17predicate_wrapperIddNSC_4lessIdEEEEEE10hipError_tPvRmT0_T1_T2_T3_T4_T5_mmT6_P12ihipStream_tbEUlT_E0_NS1_11comp_targetILNS1_3genE2ELNS1_11target_archE906ELNS1_3gpuE6ELNS1_3repE0EEENS1_30default_config_static_selectorELNS0_4arch9wavefront6targetE0EEEvS10_
; %bb.0:
	.section	.rodata,"a",@progbits
	.p2align	6, 0x0
	.amdhsa_kernel _ZN7rocprim17ROCPRIM_400000_NS6detail17trampoline_kernelINS0_14default_configENS1_21merge_config_selectorINS0_5tupleIJddEEENS0_10empty_typeEEEZNS1_10merge_implIS3_NS0_12zip_iteratorINS5_IJN6thrust23THRUST_200600_302600_NS6detail15normal_iteratorINSC_10device_ptrIKdEEEESI_EEEEESK_NSA_INS5_IJNSE_INSF_IdEEEESM_EEEEEPS7_SP_SP_NSC_11hip_rocprim7__merge17predicate_wrapperIddNSC_4lessIdEEEEEE10hipError_tPvRmT0_T1_T2_T3_T4_T5_mmT6_P12ihipStream_tbEUlT_E0_NS1_11comp_targetILNS1_3genE2ELNS1_11target_archE906ELNS1_3gpuE6ELNS1_3repE0EEENS1_30default_config_static_selectorELNS0_4arch9wavefront6targetE0EEEvS10_
		.amdhsa_group_segment_fixed_size 0
		.amdhsa_private_segment_fixed_size 0
		.amdhsa_kernarg_size 112
		.amdhsa_user_sgpr_count 2
		.amdhsa_user_sgpr_dispatch_ptr 0
		.amdhsa_user_sgpr_queue_ptr 0
		.amdhsa_user_sgpr_kernarg_segment_ptr 1
		.amdhsa_user_sgpr_dispatch_id 0
		.amdhsa_user_sgpr_kernarg_preload_length 0
		.amdhsa_user_sgpr_kernarg_preload_offset 0
		.amdhsa_user_sgpr_private_segment_size 0
		.amdhsa_wavefront_size32 1
		.amdhsa_uses_dynamic_stack 0
		.amdhsa_enable_private_segment 0
		.amdhsa_system_sgpr_workgroup_id_x 1
		.amdhsa_system_sgpr_workgroup_id_y 0
		.amdhsa_system_sgpr_workgroup_id_z 0
		.amdhsa_system_sgpr_workgroup_info 0
		.amdhsa_system_vgpr_workitem_id 0
		.amdhsa_next_free_vgpr 1
		.amdhsa_next_free_sgpr 1
		.amdhsa_named_barrier_count 0
		.amdhsa_reserve_vcc 0
		.amdhsa_float_round_mode_32 0
		.amdhsa_float_round_mode_16_64 0
		.amdhsa_float_denorm_mode_32 3
		.amdhsa_float_denorm_mode_16_64 3
		.amdhsa_fp16_overflow 0
		.amdhsa_memory_ordered 1
		.amdhsa_forward_progress 1
		.amdhsa_inst_pref_size 0
		.amdhsa_round_robin_scheduling 0
		.amdhsa_exception_fp_ieee_invalid_op 0
		.amdhsa_exception_fp_denorm_src 0
		.amdhsa_exception_fp_ieee_div_zero 0
		.amdhsa_exception_fp_ieee_overflow 0
		.amdhsa_exception_fp_ieee_underflow 0
		.amdhsa_exception_fp_ieee_inexact 0
		.amdhsa_exception_int_div_zero 0
	.end_amdhsa_kernel
	.section	.text._ZN7rocprim17ROCPRIM_400000_NS6detail17trampoline_kernelINS0_14default_configENS1_21merge_config_selectorINS0_5tupleIJddEEENS0_10empty_typeEEEZNS1_10merge_implIS3_NS0_12zip_iteratorINS5_IJN6thrust23THRUST_200600_302600_NS6detail15normal_iteratorINSC_10device_ptrIKdEEEESI_EEEEESK_NSA_INS5_IJNSE_INSF_IdEEEESM_EEEEEPS7_SP_SP_NSC_11hip_rocprim7__merge17predicate_wrapperIddNSC_4lessIdEEEEEE10hipError_tPvRmT0_T1_T2_T3_T4_T5_mmT6_P12ihipStream_tbEUlT_E0_NS1_11comp_targetILNS1_3genE2ELNS1_11target_archE906ELNS1_3gpuE6ELNS1_3repE0EEENS1_30default_config_static_selectorELNS0_4arch9wavefront6targetE0EEEvS10_,"axG",@progbits,_ZN7rocprim17ROCPRIM_400000_NS6detail17trampoline_kernelINS0_14default_configENS1_21merge_config_selectorINS0_5tupleIJddEEENS0_10empty_typeEEEZNS1_10merge_implIS3_NS0_12zip_iteratorINS5_IJN6thrust23THRUST_200600_302600_NS6detail15normal_iteratorINSC_10device_ptrIKdEEEESI_EEEEESK_NSA_INS5_IJNSE_INSF_IdEEEESM_EEEEEPS7_SP_SP_NSC_11hip_rocprim7__merge17predicate_wrapperIddNSC_4lessIdEEEEEE10hipError_tPvRmT0_T1_T2_T3_T4_T5_mmT6_P12ihipStream_tbEUlT_E0_NS1_11comp_targetILNS1_3genE2ELNS1_11target_archE906ELNS1_3gpuE6ELNS1_3repE0EEENS1_30default_config_static_selectorELNS0_4arch9wavefront6targetE0EEEvS10_,comdat
.Lfunc_end14:
	.size	_ZN7rocprim17ROCPRIM_400000_NS6detail17trampoline_kernelINS0_14default_configENS1_21merge_config_selectorINS0_5tupleIJddEEENS0_10empty_typeEEEZNS1_10merge_implIS3_NS0_12zip_iteratorINS5_IJN6thrust23THRUST_200600_302600_NS6detail15normal_iteratorINSC_10device_ptrIKdEEEESI_EEEEESK_NSA_INS5_IJNSE_INSF_IdEEEESM_EEEEEPS7_SP_SP_NSC_11hip_rocprim7__merge17predicate_wrapperIddNSC_4lessIdEEEEEE10hipError_tPvRmT0_T1_T2_T3_T4_T5_mmT6_P12ihipStream_tbEUlT_E0_NS1_11comp_targetILNS1_3genE2ELNS1_11target_archE906ELNS1_3gpuE6ELNS1_3repE0EEENS1_30default_config_static_selectorELNS0_4arch9wavefront6targetE0EEEvS10_, .Lfunc_end14-_ZN7rocprim17ROCPRIM_400000_NS6detail17trampoline_kernelINS0_14default_configENS1_21merge_config_selectorINS0_5tupleIJddEEENS0_10empty_typeEEEZNS1_10merge_implIS3_NS0_12zip_iteratorINS5_IJN6thrust23THRUST_200600_302600_NS6detail15normal_iteratorINSC_10device_ptrIKdEEEESI_EEEEESK_NSA_INS5_IJNSE_INSF_IdEEEESM_EEEEEPS7_SP_SP_NSC_11hip_rocprim7__merge17predicate_wrapperIddNSC_4lessIdEEEEEE10hipError_tPvRmT0_T1_T2_T3_T4_T5_mmT6_P12ihipStream_tbEUlT_E0_NS1_11comp_targetILNS1_3genE2ELNS1_11target_archE906ELNS1_3gpuE6ELNS1_3repE0EEENS1_30default_config_static_selectorELNS0_4arch9wavefront6targetE0EEEvS10_
                                        ; -- End function
	.set _ZN7rocprim17ROCPRIM_400000_NS6detail17trampoline_kernelINS0_14default_configENS1_21merge_config_selectorINS0_5tupleIJddEEENS0_10empty_typeEEEZNS1_10merge_implIS3_NS0_12zip_iteratorINS5_IJN6thrust23THRUST_200600_302600_NS6detail15normal_iteratorINSC_10device_ptrIKdEEEESI_EEEEESK_NSA_INS5_IJNSE_INSF_IdEEEESM_EEEEEPS7_SP_SP_NSC_11hip_rocprim7__merge17predicate_wrapperIddNSC_4lessIdEEEEEE10hipError_tPvRmT0_T1_T2_T3_T4_T5_mmT6_P12ihipStream_tbEUlT_E0_NS1_11comp_targetILNS1_3genE2ELNS1_11target_archE906ELNS1_3gpuE6ELNS1_3repE0EEENS1_30default_config_static_selectorELNS0_4arch9wavefront6targetE0EEEvS10_.num_vgpr, 0
	.set _ZN7rocprim17ROCPRIM_400000_NS6detail17trampoline_kernelINS0_14default_configENS1_21merge_config_selectorINS0_5tupleIJddEEENS0_10empty_typeEEEZNS1_10merge_implIS3_NS0_12zip_iteratorINS5_IJN6thrust23THRUST_200600_302600_NS6detail15normal_iteratorINSC_10device_ptrIKdEEEESI_EEEEESK_NSA_INS5_IJNSE_INSF_IdEEEESM_EEEEEPS7_SP_SP_NSC_11hip_rocprim7__merge17predicate_wrapperIddNSC_4lessIdEEEEEE10hipError_tPvRmT0_T1_T2_T3_T4_T5_mmT6_P12ihipStream_tbEUlT_E0_NS1_11comp_targetILNS1_3genE2ELNS1_11target_archE906ELNS1_3gpuE6ELNS1_3repE0EEENS1_30default_config_static_selectorELNS0_4arch9wavefront6targetE0EEEvS10_.num_agpr, 0
	.set _ZN7rocprim17ROCPRIM_400000_NS6detail17trampoline_kernelINS0_14default_configENS1_21merge_config_selectorINS0_5tupleIJddEEENS0_10empty_typeEEEZNS1_10merge_implIS3_NS0_12zip_iteratorINS5_IJN6thrust23THRUST_200600_302600_NS6detail15normal_iteratorINSC_10device_ptrIKdEEEESI_EEEEESK_NSA_INS5_IJNSE_INSF_IdEEEESM_EEEEEPS7_SP_SP_NSC_11hip_rocprim7__merge17predicate_wrapperIddNSC_4lessIdEEEEEE10hipError_tPvRmT0_T1_T2_T3_T4_T5_mmT6_P12ihipStream_tbEUlT_E0_NS1_11comp_targetILNS1_3genE2ELNS1_11target_archE906ELNS1_3gpuE6ELNS1_3repE0EEENS1_30default_config_static_selectorELNS0_4arch9wavefront6targetE0EEEvS10_.numbered_sgpr, 0
	.set _ZN7rocprim17ROCPRIM_400000_NS6detail17trampoline_kernelINS0_14default_configENS1_21merge_config_selectorINS0_5tupleIJddEEENS0_10empty_typeEEEZNS1_10merge_implIS3_NS0_12zip_iteratorINS5_IJN6thrust23THRUST_200600_302600_NS6detail15normal_iteratorINSC_10device_ptrIKdEEEESI_EEEEESK_NSA_INS5_IJNSE_INSF_IdEEEESM_EEEEEPS7_SP_SP_NSC_11hip_rocprim7__merge17predicate_wrapperIddNSC_4lessIdEEEEEE10hipError_tPvRmT0_T1_T2_T3_T4_T5_mmT6_P12ihipStream_tbEUlT_E0_NS1_11comp_targetILNS1_3genE2ELNS1_11target_archE906ELNS1_3gpuE6ELNS1_3repE0EEENS1_30default_config_static_selectorELNS0_4arch9wavefront6targetE0EEEvS10_.num_named_barrier, 0
	.set _ZN7rocprim17ROCPRIM_400000_NS6detail17trampoline_kernelINS0_14default_configENS1_21merge_config_selectorINS0_5tupleIJddEEENS0_10empty_typeEEEZNS1_10merge_implIS3_NS0_12zip_iteratorINS5_IJN6thrust23THRUST_200600_302600_NS6detail15normal_iteratorINSC_10device_ptrIKdEEEESI_EEEEESK_NSA_INS5_IJNSE_INSF_IdEEEESM_EEEEEPS7_SP_SP_NSC_11hip_rocprim7__merge17predicate_wrapperIddNSC_4lessIdEEEEEE10hipError_tPvRmT0_T1_T2_T3_T4_T5_mmT6_P12ihipStream_tbEUlT_E0_NS1_11comp_targetILNS1_3genE2ELNS1_11target_archE906ELNS1_3gpuE6ELNS1_3repE0EEENS1_30default_config_static_selectorELNS0_4arch9wavefront6targetE0EEEvS10_.private_seg_size, 0
	.set _ZN7rocprim17ROCPRIM_400000_NS6detail17trampoline_kernelINS0_14default_configENS1_21merge_config_selectorINS0_5tupleIJddEEENS0_10empty_typeEEEZNS1_10merge_implIS3_NS0_12zip_iteratorINS5_IJN6thrust23THRUST_200600_302600_NS6detail15normal_iteratorINSC_10device_ptrIKdEEEESI_EEEEESK_NSA_INS5_IJNSE_INSF_IdEEEESM_EEEEEPS7_SP_SP_NSC_11hip_rocprim7__merge17predicate_wrapperIddNSC_4lessIdEEEEEE10hipError_tPvRmT0_T1_T2_T3_T4_T5_mmT6_P12ihipStream_tbEUlT_E0_NS1_11comp_targetILNS1_3genE2ELNS1_11target_archE906ELNS1_3gpuE6ELNS1_3repE0EEENS1_30default_config_static_selectorELNS0_4arch9wavefront6targetE0EEEvS10_.uses_vcc, 0
	.set _ZN7rocprim17ROCPRIM_400000_NS6detail17trampoline_kernelINS0_14default_configENS1_21merge_config_selectorINS0_5tupleIJddEEENS0_10empty_typeEEEZNS1_10merge_implIS3_NS0_12zip_iteratorINS5_IJN6thrust23THRUST_200600_302600_NS6detail15normal_iteratorINSC_10device_ptrIKdEEEESI_EEEEESK_NSA_INS5_IJNSE_INSF_IdEEEESM_EEEEEPS7_SP_SP_NSC_11hip_rocprim7__merge17predicate_wrapperIddNSC_4lessIdEEEEEE10hipError_tPvRmT0_T1_T2_T3_T4_T5_mmT6_P12ihipStream_tbEUlT_E0_NS1_11comp_targetILNS1_3genE2ELNS1_11target_archE906ELNS1_3gpuE6ELNS1_3repE0EEENS1_30default_config_static_selectorELNS0_4arch9wavefront6targetE0EEEvS10_.uses_flat_scratch, 0
	.set _ZN7rocprim17ROCPRIM_400000_NS6detail17trampoline_kernelINS0_14default_configENS1_21merge_config_selectorINS0_5tupleIJddEEENS0_10empty_typeEEEZNS1_10merge_implIS3_NS0_12zip_iteratorINS5_IJN6thrust23THRUST_200600_302600_NS6detail15normal_iteratorINSC_10device_ptrIKdEEEESI_EEEEESK_NSA_INS5_IJNSE_INSF_IdEEEESM_EEEEEPS7_SP_SP_NSC_11hip_rocprim7__merge17predicate_wrapperIddNSC_4lessIdEEEEEE10hipError_tPvRmT0_T1_T2_T3_T4_T5_mmT6_P12ihipStream_tbEUlT_E0_NS1_11comp_targetILNS1_3genE2ELNS1_11target_archE906ELNS1_3gpuE6ELNS1_3repE0EEENS1_30default_config_static_selectorELNS0_4arch9wavefront6targetE0EEEvS10_.has_dyn_sized_stack, 0
	.set _ZN7rocprim17ROCPRIM_400000_NS6detail17trampoline_kernelINS0_14default_configENS1_21merge_config_selectorINS0_5tupleIJddEEENS0_10empty_typeEEEZNS1_10merge_implIS3_NS0_12zip_iteratorINS5_IJN6thrust23THRUST_200600_302600_NS6detail15normal_iteratorINSC_10device_ptrIKdEEEESI_EEEEESK_NSA_INS5_IJNSE_INSF_IdEEEESM_EEEEEPS7_SP_SP_NSC_11hip_rocprim7__merge17predicate_wrapperIddNSC_4lessIdEEEEEE10hipError_tPvRmT0_T1_T2_T3_T4_T5_mmT6_P12ihipStream_tbEUlT_E0_NS1_11comp_targetILNS1_3genE2ELNS1_11target_archE906ELNS1_3gpuE6ELNS1_3repE0EEENS1_30default_config_static_selectorELNS0_4arch9wavefront6targetE0EEEvS10_.has_recursion, 0
	.set _ZN7rocprim17ROCPRIM_400000_NS6detail17trampoline_kernelINS0_14default_configENS1_21merge_config_selectorINS0_5tupleIJddEEENS0_10empty_typeEEEZNS1_10merge_implIS3_NS0_12zip_iteratorINS5_IJN6thrust23THRUST_200600_302600_NS6detail15normal_iteratorINSC_10device_ptrIKdEEEESI_EEEEESK_NSA_INS5_IJNSE_INSF_IdEEEESM_EEEEEPS7_SP_SP_NSC_11hip_rocprim7__merge17predicate_wrapperIddNSC_4lessIdEEEEEE10hipError_tPvRmT0_T1_T2_T3_T4_T5_mmT6_P12ihipStream_tbEUlT_E0_NS1_11comp_targetILNS1_3genE2ELNS1_11target_archE906ELNS1_3gpuE6ELNS1_3repE0EEENS1_30default_config_static_selectorELNS0_4arch9wavefront6targetE0EEEvS10_.has_indirect_call, 0
	.section	.AMDGPU.csdata,"",@progbits
; Kernel info:
; codeLenInByte = 0
; TotalNumSgprs: 0
; NumVgprs: 0
; ScratchSize: 0
; MemoryBound: 0
; FloatMode: 240
; IeeeMode: 1
; LDSByteSize: 0 bytes/workgroup (compile time only)
; SGPRBlocks: 0
; VGPRBlocks: 0
; NumSGPRsForWavesPerEU: 1
; NumVGPRsForWavesPerEU: 1
; NamedBarCnt: 0
; Occupancy: 16
; WaveLimiterHint : 0
; COMPUTE_PGM_RSRC2:SCRATCH_EN: 0
; COMPUTE_PGM_RSRC2:USER_SGPR: 2
; COMPUTE_PGM_RSRC2:TRAP_HANDLER: 0
; COMPUTE_PGM_RSRC2:TGID_X_EN: 1
; COMPUTE_PGM_RSRC2:TGID_Y_EN: 0
; COMPUTE_PGM_RSRC2:TGID_Z_EN: 0
; COMPUTE_PGM_RSRC2:TIDIG_COMP_CNT: 0
	.section	.text._ZN7rocprim17ROCPRIM_400000_NS6detail17trampoline_kernelINS0_14default_configENS1_21merge_config_selectorINS0_5tupleIJddEEENS0_10empty_typeEEEZNS1_10merge_implIS3_NS0_12zip_iteratorINS5_IJN6thrust23THRUST_200600_302600_NS6detail15normal_iteratorINSC_10device_ptrIKdEEEESI_EEEEESK_NSA_INS5_IJNSE_INSF_IdEEEESM_EEEEEPS7_SP_SP_NSC_11hip_rocprim7__merge17predicate_wrapperIddNSC_4lessIdEEEEEE10hipError_tPvRmT0_T1_T2_T3_T4_T5_mmT6_P12ihipStream_tbEUlT_E0_NS1_11comp_targetILNS1_3genE10ELNS1_11target_archE1201ELNS1_3gpuE5ELNS1_3repE0EEENS1_30default_config_static_selectorELNS0_4arch9wavefront6targetE0EEEvS10_,"axG",@progbits,_ZN7rocprim17ROCPRIM_400000_NS6detail17trampoline_kernelINS0_14default_configENS1_21merge_config_selectorINS0_5tupleIJddEEENS0_10empty_typeEEEZNS1_10merge_implIS3_NS0_12zip_iteratorINS5_IJN6thrust23THRUST_200600_302600_NS6detail15normal_iteratorINSC_10device_ptrIKdEEEESI_EEEEESK_NSA_INS5_IJNSE_INSF_IdEEEESM_EEEEEPS7_SP_SP_NSC_11hip_rocprim7__merge17predicate_wrapperIddNSC_4lessIdEEEEEE10hipError_tPvRmT0_T1_T2_T3_T4_T5_mmT6_P12ihipStream_tbEUlT_E0_NS1_11comp_targetILNS1_3genE10ELNS1_11target_archE1201ELNS1_3gpuE5ELNS1_3repE0EEENS1_30default_config_static_selectorELNS0_4arch9wavefront6targetE0EEEvS10_,comdat
	.protected	_ZN7rocprim17ROCPRIM_400000_NS6detail17trampoline_kernelINS0_14default_configENS1_21merge_config_selectorINS0_5tupleIJddEEENS0_10empty_typeEEEZNS1_10merge_implIS3_NS0_12zip_iteratorINS5_IJN6thrust23THRUST_200600_302600_NS6detail15normal_iteratorINSC_10device_ptrIKdEEEESI_EEEEESK_NSA_INS5_IJNSE_INSF_IdEEEESM_EEEEEPS7_SP_SP_NSC_11hip_rocprim7__merge17predicate_wrapperIddNSC_4lessIdEEEEEE10hipError_tPvRmT0_T1_T2_T3_T4_T5_mmT6_P12ihipStream_tbEUlT_E0_NS1_11comp_targetILNS1_3genE10ELNS1_11target_archE1201ELNS1_3gpuE5ELNS1_3repE0EEENS1_30default_config_static_selectorELNS0_4arch9wavefront6targetE0EEEvS10_ ; -- Begin function _ZN7rocprim17ROCPRIM_400000_NS6detail17trampoline_kernelINS0_14default_configENS1_21merge_config_selectorINS0_5tupleIJddEEENS0_10empty_typeEEEZNS1_10merge_implIS3_NS0_12zip_iteratorINS5_IJN6thrust23THRUST_200600_302600_NS6detail15normal_iteratorINSC_10device_ptrIKdEEEESI_EEEEESK_NSA_INS5_IJNSE_INSF_IdEEEESM_EEEEEPS7_SP_SP_NSC_11hip_rocprim7__merge17predicate_wrapperIddNSC_4lessIdEEEEEE10hipError_tPvRmT0_T1_T2_T3_T4_T5_mmT6_P12ihipStream_tbEUlT_E0_NS1_11comp_targetILNS1_3genE10ELNS1_11target_archE1201ELNS1_3gpuE5ELNS1_3repE0EEENS1_30default_config_static_selectorELNS0_4arch9wavefront6targetE0EEEvS10_
	.globl	_ZN7rocprim17ROCPRIM_400000_NS6detail17trampoline_kernelINS0_14default_configENS1_21merge_config_selectorINS0_5tupleIJddEEENS0_10empty_typeEEEZNS1_10merge_implIS3_NS0_12zip_iteratorINS5_IJN6thrust23THRUST_200600_302600_NS6detail15normal_iteratorINSC_10device_ptrIKdEEEESI_EEEEESK_NSA_INS5_IJNSE_INSF_IdEEEESM_EEEEEPS7_SP_SP_NSC_11hip_rocprim7__merge17predicate_wrapperIddNSC_4lessIdEEEEEE10hipError_tPvRmT0_T1_T2_T3_T4_T5_mmT6_P12ihipStream_tbEUlT_E0_NS1_11comp_targetILNS1_3genE10ELNS1_11target_archE1201ELNS1_3gpuE5ELNS1_3repE0EEENS1_30default_config_static_selectorELNS0_4arch9wavefront6targetE0EEEvS10_
	.p2align	8
	.type	_ZN7rocprim17ROCPRIM_400000_NS6detail17trampoline_kernelINS0_14default_configENS1_21merge_config_selectorINS0_5tupleIJddEEENS0_10empty_typeEEEZNS1_10merge_implIS3_NS0_12zip_iteratorINS5_IJN6thrust23THRUST_200600_302600_NS6detail15normal_iteratorINSC_10device_ptrIKdEEEESI_EEEEESK_NSA_INS5_IJNSE_INSF_IdEEEESM_EEEEEPS7_SP_SP_NSC_11hip_rocprim7__merge17predicate_wrapperIddNSC_4lessIdEEEEEE10hipError_tPvRmT0_T1_T2_T3_T4_T5_mmT6_P12ihipStream_tbEUlT_E0_NS1_11comp_targetILNS1_3genE10ELNS1_11target_archE1201ELNS1_3gpuE5ELNS1_3repE0EEENS1_30default_config_static_selectorELNS0_4arch9wavefront6targetE0EEEvS10_,@function
_ZN7rocprim17ROCPRIM_400000_NS6detail17trampoline_kernelINS0_14default_configENS1_21merge_config_selectorINS0_5tupleIJddEEENS0_10empty_typeEEEZNS1_10merge_implIS3_NS0_12zip_iteratorINS5_IJN6thrust23THRUST_200600_302600_NS6detail15normal_iteratorINSC_10device_ptrIKdEEEESI_EEEEESK_NSA_INS5_IJNSE_INSF_IdEEEESM_EEEEEPS7_SP_SP_NSC_11hip_rocprim7__merge17predicate_wrapperIddNSC_4lessIdEEEEEE10hipError_tPvRmT0_T1_T2_T3_T4_T5_mmT6_P12ihipStream_tbEUlT_E0_NS1_11comp_targetILNS1_3genE10ELNS1_11target_archE1201ELNS1_3gpuE5ELNS1_3repE0EEENS1_30default_config_static_selectorELNS0_4arch9wavefront6targetE0EEEvS10_: ; @_ZN7rocprim17ROCPRIM_400000_NS6detail17trampoline_kernelINS0_14default_configENS1_21merge_config_selectorINS0_5tupleIJddEEENS0_10empty_typeEEEZNS1_10merge_implIS3_NS0_12zip_iteratorINS5_IJN6thrust23THRUST_200600_302600_NS6detail15normal_iteratorINSC_10device_ptrIKdEEEESI_EEEEESK_NSA_INS5_IJNSE_INSF_IdEEEESM_EEEEEPS7_SP_SP_NSC_11hip_rocprim7__merge17predicate_wrapperIddNSC_4lessIdEEEEEE10hipError_tPvRmT0_T1_T2_T3_T4_T5_mmT6_P12ihipStream_tbEUlT_E0_NS1_11comp_targetILNS1_3genE10ELNS1_11target_archE1201ELNS1_3gpuE5ELNS1_3repE0EEENS1_30default_config_static_selectorELNS0_4arch9wavefront6targetE0EEEvS10_
; %bb.0:
	.section	.rodata,"a",@progbits
	.p2align	6, 0x0
	.amdhsa_kernel _ZN7rocprim17ROCPRIM_400000_NS6detail17trampoline_kernelINS0_14default_configENS1_21merge_config_selectorINS0_5tupleIJddEEENS0_10empty_typeEEEZNS1_10merge_implIS3_NS0_12zip_iteratorINS5_IJN6thrust23THRUST_200600_302600_NS6detail15normal_iteratorINSC_10device_ptrIKdEEEESI_EEEEESK_NSA_INS5_IJNSE_INSF_IdEEEESM_EEEEEPS7_SP_SP_NSC_11hip_rocprim7__merge17predicate_wrapperIddNSC_4lessIdEEEEEE10hipError_tPvRmT0_T1_T2_T3_T4_T5_mmT6_P12ihipStream_tbEUlT_E0_NS1_11comp_targetILNS1_3genE10ELNS1_11target_archE1201ELNS1_3gpuE5ELNS1_3repE0EEENS1_30default_config_static_selectorELNS0_4arch9wavefront6targetE0EEEvS10_
		.amdhsa_group_segment_fixed_size 0
		.amdhsa_private_segment_fixed_size 0
		.amdhsa_kernarg_size 112
		.amdhsa_user_sgpr_count 2
		.amdhsa_user_sgpr_dispatch_ptr 0
		.amdhsa_user_sgpr_queue_ptr 0
		.amdhsa_user_sgpr_kernarg_segment_ptr 1
		.amdhsa_user_sgpr_dispatch_id 0
		.amdhsa_user_sgpr_kernarg_preload_length 0
		.amdhsa_user_sgpr_kernarg_preload_offset 0
		.amdhsa_user_sgpr_private_segment_size 0
		.amdhsa_wavefront_size32 1
		.amdhsa_uses_dynamic_stack 0
		.amdhsa_enable_private_segment 0
		.amdhsa_system_sgpr_workgroup_id_x 1
		.amdhsa_system_sgpr_workgroup_id_y 0
		.amdhsa_system_sgpr_workgroup_id_z 0
		.amdhsa_system_sgpr_workgroup_info 0
		.amdhsa_system_vgpr_workitem_id 0
		.amdhsa_next_free_vgpr 1
		.amdhsa_next_free_sgpr 1
		.amdhsa_named_barrier_count 0
		.amdhsa_reserve_vcc 0
		.amdhsa_float_round_mode_32 0
		.amdhsa_float_round_mode_16_64 0
		.amdhsa_float_denorm_mode_32 3
		.amdhsa_float_denorm_mode_16_64 3
		.amdhsa_fp16_overflow 0
		.amdhsa_memory_ordered 1
		.amdhsa_forward_progress 1
		.amdhsa_inst_pref_size 0
		.amdhsa_round_robin_scheduling 0
		.amdhsa_exception_fp_ieee_invalid_op 0
		.amdhsa_exception_fp_denorm_src 0
		.amdhsa_exception_fp_ieee_div_zero 0
		.amdhsa_exception_fp_ieee_overflow 0
		.amdhsa_exception_fp_ieee_underflow 0
		.amdhsa_exception_fp_ieee_inexact 0
		.amdhsa_exception_int_div_zero 0
	.end_amdhsa_kernel
	.section	.text._ZN7rocprim17ROCPRIM_400000_NS6detail17trampoline_kernelINS0_14default_configENS1_21merge_config_selectorINS0_5tupleIJddEEENS0_10empty_typeEEEZNS1_10merge_implIS3_NS0_12zip_iteratorINS5_IJN6thrust23THRUST_200600_302600_NS6detail15normal_iteratorINSC_10device_ptrIKdEEEESI_EEEEESK_NSA_INS5_IJNSE_INSF_IdEEEESM_EEEEEPS7_SP_SP_NSC_11hip_rocprim7__merge17predicate_wrapperIddNSC_4lessIdEEEEEE10hipError_tPvRmT0_T1_T2_T3_T4_T5_mmT6_P12ihipStream_tbEUlT_E0_NS1_11comp_targetILNS1_3genE10ELNS1_11target_archE1201ELNS1_3gpuE5ELNS1_3repE0EEENS1_30default_config_static_selectorELNS0_4arch9wavefront6targetE0EEEvS10_,"axG",@progbits,_ZN7rocprim17ROCPRIM_400000_NS6detail17trampoline_kernelINS0_14default_configENS1_21merge_config_selectorINS0_5tupleIJddEEENS0_10empty_typeEEEZNS1_10merge_implIS3_NS0_12zip_iteratorINS5_IJN6thrust23THRUST_200600_302600_NS6detail15normal_iteratorINSC_10device_ptrIKdEEEESI_EEEEESK_NSA_INS5_IJNSE_INSF_IdEEEESM_EEEEEPS7_SP_SP_NSC_11hip_rocprim7__merge17predicate_wrapperIddNSC_4lessIdEEEEEE10hipError_tPvRmT0_T1_T2_T3_T4_T5_mmT6_P12ihipStream_tbEUlT_E0_NS1_11comp_targetILNS1_3genE10ELNS1_11target_archE1201ELNS1_3gpuE5ELNS1_3repE0EEENS1_30default_config_static_selectorELNS0_4arch9wavefront6targetE0EEEvS10_,comdat
.Lfunc_end15:
	.size	_ZN7rocprim17ROCPRIM_400000_NS6detail17trampoline_kernelINS0_14default_configENS1_21merge_config_selectorINS0_5tupleIJddEEENS0_10empty_typeEEEZNS1_10merge_implIS3_NS0_12zip_iteratorINS5_IJN6thrust23THRUST_200600_302600_NS6detail15normal_iteratorINSC_10device_ptrIKdEEEESI_EEEEESK_NSA_INS5_IJNSE_INSF_IdEEEESM_EEEEEPS7_SP_SP_NSC_11hip_rocprim7__merge17predicate_wrapperIddNSC_4lessIdEEEEEE10hipError_tPvRmT0_T1_T2_T3_T4_T5_mmT6_P12ihipStream_tbEUlT_E0_NS1_11comp_targetILNS1_3genE10ELNS1_11target_archE1201ELNS1_3gpuE5ELNS1_3repE0EEENS1_30default_config_static_selectorELNS0_4arch9wavefront6targetE0EEEvS10_, .Lfunc_end15-_ZN7rocprim17ROCPRIM_400000_NS6detail17trampoline_kernelINS0_14default_configENS1_21merge_config_selectorINS0_5tupleIJddEEENS0_10empty_typeEEEZNS1_10merge_implIS3_NS0_12zip_iteratorINS5_IJN6thrust23THRUST_200600_302600_NS6detail15normal_iteratorINSC_10device_ptrIKdEEEESI_EEEEESK_NSA_INS5_IJNSE_INSF_IdEEEESM_EEEEEPS7_SP_SP_NSC_11hip_rocprim7__merge17predicate_wrapperIddNSC_4lessIdEEEEEE10hipError_tPvRmT0_T1_T2_T3_T4_T5_mmT6_P12ihipStream_tbEUlT_E0_NS1_11comp_targetILNS1_3genE10ELNS1_11target_archE1201ELNS1_3gpuE5ELNS1_3repE0EEENS1_30default_config_static_selectorELNS0_4arch9wavefront6targetE0EEEvS10_
                                        ; -- End function
	.set _ZN7rocprim17ROCPRIM_400000_NS6detail17trampoline_kernelINS0_14default_configENS1_21merge_config_selectorINS0_5tupleIJddEEENS0_10empty_typeEEEZNS1_10merge_implIS3_NS0_12zip_iteratorINS5_IJN6thrust23THRUST_200600_302600_NS6detail15normal_iteratorINSC_10device_ptrIKdEEEESI_EEEEESK_NSA_INS5_IJNSE_INSF_IdEEEESM_EEEEEPS7_SP_SP_NSC_11hip_rocprim7__merge17predicate_wrapperIddNSC_4lessIdEEEEEE10hipError_tPvRmT0_T1_T2_T3_T4_T5_mmT6_P12ihipStream_tbEUlT_E0_NS1_11comp_targetILNS1_3genE10ELNS1_11target_archE1201ELNS1_3gpuE5ELNS1_3repE0EEENS1_30default_config_static_selectorELNS0_4arch9wavefront6targetE0EEEvS10_.num_vgpr, 0
	.set _ZN7rocprim17ROCPRIM_400000_NS6detail17trampoline_kernelINS0_14default_configENS1_21merge_config_selectorINS0_5tupleIJddEEENS0_10empty_typeEEEZNS1_10merge_implIS3_NS0_12zip_iteratorINS5_IJN6thrust23THRUST_200600_302600_NS6detail15normal_iteratorINSC_10device_ptrIKdEEEESI_EEEEESK_NSA_INS5_IJNSE_INSF_IdEEEESM_EEEEEPS7_SP_SP_NSC_11hip_rocprim7__merge17predicate_wrapperIddNSC_4lessIdEEEEEE10hipError_tPvRmT0_T1_T2_T3_T4_T5_mmT6_P12ihipStream_tbEUlT_E0_NS1_11comp_targetILNS1_3genE10ELNS1_11target_archE1201ELNS1_3gpuE5ELNS1_3repE0EEENS1_30default_config_static_selectorELNS0_4arch9wavefront6targetE0EEEvS10_.num_agpr, 0
	.set _ZN7rocprim17ROCPRIM_400000_NS6detail17trampoline_kernelINS0_14default_configENS1_21merge_config_selectorINS0_5tupleIJddEEENS0_10empty_typeEEEZNS1_10merge_implIS3_NS0_12zip_iteratorINS5_IJN6thrust23THRUST_200600_302600_NS6detail15normal_iteratorINSC_10device_ptrIKdEEEESI_EEEEESK_NSA_INS5_IJNSE_INSF_IdEEEESM_EEEEEPS7_SP_SP_NSC_11hip_rocprim7__merge17predicate_wrapperIddNSC_4lessIdEEEEEE10hipError_tPvRmT0_T1_T2_T3_T4_T5_mmT6_P12ihipStream_tbEUlT_E0_NS1_11comp_targetILNS1_3genE10ELNS1_11target_archE1201ELNS1_3gpuE5ELNS1_3repE0EEENS1_30default_config_static_selectorELNS0_4arch9wavefront6targetE0EEEvS10_.numbered_sgpr, 0
	.set _ZN7rocprim17ROCPRIM_400000_NS6detail17trampoline_kernelINS0_14default_configENS1_21merge_config_selectorINS0_5tupleIJddEEENS0_10empty_typeEEEZNS1_10merge_implIS3_NS0_12zip_iteratorINS5_IJN6thrust23THRUST_200600_302600_NS6detail15normal_iteratorINSC_10device_ptrIKdEEEESI_EEEEESK_NSA_INS5_IJNSE_INSF_IdEEEESM_EEEEEPS7_SP_SP_NSC_11hip_rocprim7__merge17predicate_wrapperIddNSC_4lessIdEEEEEE10hipError_tPvRmT0_T1_T2_T3_T4_T5_mmT6_P12ihipStream_tbEUlT_E0_NS1_11comp_targetILNS1_3genE10ELNS1_11target_archE1201ELNS1_3gpuE5ELNS1_3repE0EEENS1_30default_config_static_selectorELNS0_4arch9wavefront6targetE0EEEvS10_.num_named_barrier, 0
	.set _ZN7rocprim17ROCPRIM_400000_NS6detail17trampoline_kernelINS0_14default_configENS1_21merge_config_selectorINS0_5tupleIJddEEENS0_10empty_typeEEEZNS1_10merge_implIS3_NS0_12zip_iteratorINS5_IJN6thrust23THRUST_200600_302600_NS6detail15normal_iteratorINSC_10device_ptrIKdEEEESI_EEEEESK_NSA_INS5_IJNSE_INSF_IdEEEESM_EEEEEPS7_SP_SP_NSC_11hip_rocprim7__merge17predicate_wrapperIddNSC_4lessIdEEEEEE10hipError_tPvRmT0_T1_T2_T3_T4_T5_mmT6_P12ihipStream_tbEUlT_E0_NS1_11comp_targetILNS1_3genE10ELNS1_11target_archE1201ELNS1_3gpuE5ELNS1_3repE0EEENS1_30default_config_static_selectorELNS0_4arch9wavefront6targetE0EEEvS10_.private_seg_size, 0
	.set _ZN7rocprim17ROCPRIM_400000_NS6detail17trampoline_kernelINS0_14default_configENS1_21merge_config_selectorINS0_5tupleIJddEEENS0_10empty_typeEEEZNS1_10merge_implIS3_NS0_12zip_iteratorINS5_IJN6thrust23THRUST_200600_302600_NS6detail15normal_iteratorINSC_10device_ptrIKdEEEESI_EEEEESK_NSA_INS5_IJNSE_INSF_IdEEEESM_EEEEEPS7_SP_SP_NSC_11hip_rocprim7__merge17predicate_wrapperIddNSC_4lessIdEEEEEE10hipError_tPvRmT0_T1_T2_T3_T4_T5_mmT6_P12ihipStream_tbEUlT_E0_NS1_11comp_targetILNS1_3genE10ELNS1_11target_archE1201ELNS1_3gpuE5ELNS1_3repE0EEENS1_30default_config_static_selectorELNS0_4arch9wavefront6targetE0EEEvS10_.uses_vcc, 0
	.set _ZN7rocprim17ROCPRIM_400000_NS6detail17trampoline_kernelINS0_14default_configENS1_21merge_config_selectorINS0_5tupleIJddEEENS0_10empty_typeEEEZNS1_10merge_implIS3_NS0_12zip_iteratorINS5_IJN6thrust23THRUST_200600_302600_NS6detail15normal_iteratorINSC_10device_ptrIKdEEEESI_EEEEESK_NSA_INS5_IJNSE_INSF_IdEEEESM_EEEEEPS7_SP_SP_NSC_11hip_rocprim7__merge17predicate_wrapperIddNSC_4lessIdEEEEEE10hipError_tPvRmT0_T1_T2_T3_T4_T5_mmT6_P12ihipStream_tbEUlT_E0_NS1_11comp_targetILNS1_3genE10ELNS1_11target_archE1201ELNS1_3gpuE5ELNS1_3repE0EEENS1_30default_config_static_selectorELNS0_4arch9wavefront6targetE0EEEvS10_.uses_flat_scratch, 0
	.set _ZN7rocprim17ROCPRIM_400000_NS6detail17trampoline_kernelINS0_14default_configENS1_21merge_config_selectorINS0_5tupleIJddEEENS0_10empty_typeEEEZNS1_10merge_implIS3_NS0_12zip_iteratorINS5_IJN6thrust23THRUST_200600_302600_NS6detail15normal_iteratorINSC_10device_ptrIKdEEEESI_EEEEESK_NSA_INS5_IJNSE_INSF_IdEEEESM_EEEEEPS7_SP_SP_NSC_11hip_rocprim7__merge17predicate_wrapperIddNSC_4lessIdEEEEEE10hipError_tPvRmT0_T1_T2_T3_T4_T5_mmT6_P12ihipStream_tbEUlT_E0_NS1_11comp_targetILNS1_3genE10ELNS1_11target_archE1201ELNS1_3gpuE5ELNS1_3repE0EEENS1_30default_config_static_selectorELNS0_4arch9wavefront6targetE0EEEvS10_.has_dyn_sized_stack, 0
	.set _ZN7rocprim17ROCPRIM_400000_NS6detail17trampoline_kernelINS0_14default_configENS1_21merge_config_selectorINS0_5tupleIJddEEENS0_10empty_typeEEEZNS1_10merge_implIS3_NS0_12zip_iteratorINS5_IJN6thrust23THRUST_200600_302600_NS6detail15normal_iteratorINSC_10device_ptrIKdEEEESI_EEEEESK_NSA_INS5_IJNSE_INSF_IdEEEESM_EEEEEPS7_SP_SP_NSC_11hip_rocprim7__merge17predicate_wrapperIddNSC_4lessIdEEEEEE10hipError_tPvRmT0_T1_T2_T3_T4_T5_mmT6_P12ihipStream_tbEUlT_E0_NS1_11comp_targetILNS1_3genE10ELNS1_11target_archE1201ELNS1_3gpuE5ELNS1_3repE0EEENS1_30default_config_static_selectorELNS0_4arch9wavefront6targetE0EEEvS10_.has_recursion, 0
	.set _ZN7rocprim17ROCPRIM_400000_NS6detail17trampoline_kernelINS0_14default_configENS1_21merge_config_selectorINS0_5tupleIJddEEENS0_10empty_typeEEEZNS1_10merge_implIS3_NS0_12zip_iteratorINS5_IJN6thrust23THRUST_200600_302600_NS6detail15normal_iteratorINSC_10device_ptrIKdEEEESI_EEEEESK_NSA_INS5_IJNSE_INSF_IdEEEESM_EEEEEPS7_SP_SP_NSC_11hip_rocprim7__merge17predicate_wrapperIddNSC_4lessIdEEEEEE10hipError_tPvRmT0_T1_T2_T3_T4_T5_mmT6_P12ihipStream_tbEUlT_E0_NS1_11comp_targetILNS1_3genE10ELNS1_11target_archE1201ELNS1_3gpuE5ELNS1_3repE0EEENS1_30default_config_static_selectorELNS0_4arch9wavefront6targetE0EEEvS10_.has_indirect_call, 0
	.section	.AMDGPU.csdata,"",@progbits
; Kernel info:
; codeLenInByte = 0
; TotalNumSgprs: 0
; NumVgprs: 0
; ScratchSize: 0
; MemoryBound: 0
; FloatMode: 240
; IeeeMode: 1
; LDSByteSize: 0 bytes/workgroup (compile time only)
; SGPRBlocks: 0
; VGPRBlocks: 0
; NumSGPRsForWavesPerEU: 1
; NumVGPRsForWavesPerEU: 1
; NamedBarCnt: 0
; Occupancy: 16
; WaveLimiterHint : 0
; COMPUTE_PGM_RSRC2:SCRATCH_EN: 0
; COMPUTE_PGM_RSRC2:USER_SGPR: 2
; COMPUTE_PGM_RSRC2:TRAP_HANDLER: 0
; COMPUTE_PGM_RSRC2:TGID_X_EN: 1
; COMPUTE_PGM_RSRC2:TGID_Y_EN: 0
; COMPUTE_PGM_RSRC2:TGID_Z_EN: 0
; COMPUTE_PGM_RSRC2:TIDIG_COMP_CNT: 0
	.section	.text._ZN7rocprim17ROCPRIM_400000_NS6detail17trampoline_kernelINS0_14default_configENS1_21merge_config_selectorINS0_5tupleIJddEEENS0_10empty_typeEEEZNS1_10merge_implIS3_NS0_12zip_iteratorINS5_IJN6thrust23THRUST_200600_302600_NS6detail15normal_iteratorINSC_10device_ptrIKdEEEESI_EEEEESK_NSA_INS5_IJNSE_INSF_IdEEEESM_EEEEEPS7_SP_SP_NSC_11hip_rocprim7__merge17predicate_wrapperIddNSC_4lessIdEEEEEE10hipError_tPvRmT0_T1_T2_T3_T4_T5_mmT6_P12ihipStream_tbEUlT_E0_NS1_11comp_targetILNS1_3genE10ELNS1_11target_archE1200ELNS1_3gpuE4ELNS1_3repE0EEENS1_30default_config_static_selectorELNS0_4arch9wavefront6targetE0EEEvS10_,"axG",@progbits,_ZN7rocprim17ROCPRIM_400000_NS6detail17trampoline_kernelINS0_14default_configENS1_21merge_config_selectorINS0_5tupleIJddEEENS0_10empty_typeEEEZNS1_10merge_implIS3_NS0_12zip_iteratorINS5_IJN6thrust23THRUST_200600_302600_NS6detail15normal_iteratorINSC_10device_ptrIKdEEEESI_EEEEESK_NSA_INS5_IJNSE_INSF_IdEEEESM_EEEEEPS7_SP_SP_NSC_11hip_rocprim7__merge17predicate_wrapperIddNSC_4lessIdEEEEEE10hipError_tPvRmT0_T1_T2_T3_T4_T5_mmT6_P12ihipStream_tbEUlT_E0_NS1_11comp_targetILNS1_3genE10ELNS1_11target_archE1200ELNS1_3gpuE4ELNS1_3repE0EEENS1_30default_config_static_selectorELNS0_4arch9wavefront6targetE0EEEvS10_,comdat
	.protected	_ZN7rocprim17ROCPRIM_400000_NS6detail17trampoline_kernelINS0_14default_configENS1_21merge_config_selectorINS0_5tupleIJddEEENS0_10empty_typeEEEZNS1_10merge_implIS3_NS0_12zip_iteratorINS5_IJN6thrust23THRUST_200600_302600_NS6detail15normal_iteratorINSC_10device_ptrIKdEEEESI_EEEEESK_NSA_INS5_IJNSE_INSF_IdEEEESM_EEEEEPS7_SP_SP_NSC_11hip_rocprim7__merge17predicate_wrapperIddNSC_4lessIdEEEEEE10hipError_tPvRmT0_T1_T2_T3_T4_T5_mmT6_P12ihipStream_tbEUlT_E0_NS1_11comp_targetILNS1_3genE10ELNS1_11target_archE1200ELNS1_3gpuE4ELNS1_3repE0EEENS1_30default_config_static_selectorELNS0_4arch9wavefront6targetE0EEEvS10_ ; -- Begin function _ZN7rocprim17ROCPRIM_400000_NS6detail17trampoline_kernelINS0_14default_configENS1_21merge_config_selectorINS0_5tupleIJddEEENS0_10empty_typeEEEZNS1_10merge_implIS3_NS0_12zip_iteratorINS5_IJN6thrust23THRUST_200600_302600_NS6detail15normal_iteratorINSC_10device_ptrIKdEEEESI_EEEEESK_NSA_INS5_IJNSE_INSF_IdEEEESM_EEEEEPS7_SP_SP_NSC_11hip_rocprim7__merge17predicate_wrapperIddNSC_4lessIdEEEEEE10hipError_tPvRmT0_T1_T2_T3_T4_T5_mmT6_P12ihipStream_tbEUlT_E0_NS1_11comp_targetILNS1_3genE10ELNS1_11target_archE1200ELNS1_3gpuE4ELNS1_3repE0EEENS1_30default_config_static_selectorELNS0_4arch9wavefront6targetE0EEEvS10_
	.globl	_ZN7rocprim17ROCPRIM_400000_NS6detail17trampoline_kernelINS0_14default_configENS1_21merge_config_selectorINS0_5tupleIJddEEENS0_10empty_typeEEEZNS1_10merge_implIS3_NS0_12zip_iteratorINS5_IJN6thrust23THRUST_200600_302600_NS6detail15normal_iteratorINSC_10device_ptrIKdEEEESI_EEEEESK_NSA_INS5_IJNSE_INSF_IdEEEESM_EEEEEPS7_SP_SP_NSC_11hip_rocprim7__merge17predicate_wrapperIddNSC_4lessIdEEEEEE10hipError_tPvRmT0_T1_T2_T3_T4_T5_mmT6_P12ihipStream_tbEUlT_E0_NS1_11comp_targetILNS1_3genE10ELNS1_11target_archE1200ELNS1_3gpuE4ELNS1_3repE0EEENS1_30default_config_static_selectorELNS0_4arch9wavefront6targetE0EEEvS10_
	.p2align	8
	.type	_ZN7rocprim17ROCPRIM_400000_NS6detail17trampoline_kernelINS0_14default_configENS1_21merge_config_selectorINS0_5tupleIJddEEENS0_10empty_typeEEEZNS1_10merge_implIS3_NS0_12zip_iteratorINS5_IJN6thrust23THRUST_200600_302600_NS6detail15normal_iteratorINSC_10device_ptrIKdEEEESI_EEEEESK_NSA_INS5_IJNSE_INSF_IdEEEESM_EEEEEPS7_SP_SP_NSC_11hip_rocprim7__merge17predicate_wrapperIddNSC_4lessIdEEEEEE10hipError_tPvRmT0_T1_T2_T3_T4_T5_mmT6_P12ihipStream_tbEUlT_E0_NS1_11comp_targetILNS1_3genE10ELNS1_11target_archE1200ELNS1_3gpuE4ELNS1_3repE0EEENS1_30default_config_static_selectorELNS0_4arch9wavefront6targetE0EEEvS10_,@function
_ZN7rocprim17ROCPRIM_400000_NS6detail17trampoline_kernelINS0_14default_configENS1_21merge_config_selectorINS0_5tupleIJddEEENS0_10empty_typeEEEZNS1_10merge_implIS3_NS0_12zip_iteratorINS5_IJN6thrust23THRUST_200600_302600_NS6detail15normal_iteratorINSC_10device_ptrIKdEEEESI_EEEEESK_NSA_INS5_IJNSE_INSF_IdEEEESM_EEEEEPS7_SP_SP_NSC_11hip_rocprim7__merge17predicate_wrapperIddNSC_4lessIdEEEEEE10hipError_tPvRmT0_T1_T2_T3_T4_T5_mmT6_P12ihipStream_tbEUlT_E0_NS1_11comp_targetILNS1_3genE10ELNS1_11target_archE1200ELNS1_3gpuE4ELNS1_3repE0EEENS1_30default_config_static_selectorELNS0_4arch9wavefront6targetE0EEEvS10_: ; @_ZN7rocprim17ROCPRIM_400000_NS6detail17trampoline_kernelINS0_14default_configENS1_21merge_config_selectorINS0_5tupleIJddEEENS0_10empty_typeEEEZNS1_10merge_implIS3_NS0_12zip_iteratorINS5_IJN6thrust23THRUST_200600_302600_NS6detail15normal_iteratorINSC_10device_ptrIKdEEEESI_EEEEESK_NSA_INS5_IJNSE_INSF_IdEEEESM_EEEEEPS7_SP_SP_NSC_11hip_rocprim7__merge17predicate_wrapperIddNSC_4lessIdEEEEEE10hipError_tPvRmT0_T1_T2_T3_T4_T5_mmT6_P12ihipStream_tbEUlT_E0_NS1_11comp_targetILNS1_3genE10ELNS1_11target_archE1200ELNS1_3gpuE4ELNS1_3repE0EEENS1_30default_config_static_selectorELNS0_4arch9wavefront6targetE0EEEvS10_
; %bb.0:
	.section	.rodata,"a",@progbits
	.p2align	6, 0x0
	.amdhsa_kernel _ZN7rocprim17ROCPRIM_400000_NS6detail17trampoline_kernelINS0_14default_configENS1_21merge_config_selectorINS0_5tupleIJddEEENS0_10empty_typeEEEZNS1_10merge_implIS3_NS0_12zip_iteratorINS5_IJN6thrust23THRUST_200600_302600_NS6detail15normal_iteratorINSC_10device_ptrIKdEEEESI_EEEEESK_NSA_INS5_IJNSE_INSF_IdEEEESM_EEEEEPS7_SP_SP_NSC_11hip_rocprim7__merge17predicate_wrapperIddNSC_4lessIdEEEEEE10hipError_tPvRmT0_T1_T2_T3_T4_T5_mmT6_P12ihipStream_tbEUlT_E0_NS1_11comp_targetILNS1_3genE10ELNS1_11target_archE1200ELNS1_3gpuE4ELNS1_3repE0EEENS1_30default_config_static_selectorELNS0_4arch9wavefront6targetE0EEEvS10_
		.amdhsa_group_segment_fixed_size 0
		.amdhsa_private_segment_fixed_size 0
		.amdhsa_kernarg_size 112
		.amdhsa_user_sgpr_count 2
		.amdhsa_user_sgpr_dispatch_ptr 0
		.amdhsa_user_sgpr_queue_ptr 0
		.amdhsa_user_sgpr_kernarg_segment_ptr 1
		.amdhsa_user_sgpr_dispatch_id 0
		.amdhsa_user_sgpr_kernarg_preload_length 0
		.amdhsa_user_sgpr_kernarg_preload_offset 0
		.amdhsa_user_sgpr_private_segment_size 0
		.amdhsa_wavefront_size32 1
		.amdhsa_uses_dynamic_stack 0
		.amdhsa_enable_private_segment 0
		.amdhsa_system_sgpr_workgroup_id_x 1
		.amdhsa_system_sgpr_workgroup_id_y 0
		.amdhsa_system_sgpr_workgroup_id_z 0
		.amdhsa_system_sgpr_workgroup_info 0
		.amdhsa_system_vgpr_workitem_id 0
		.amdhsa_next_free_vgpr 1
		.amdhsa_next_free_sgpr 1
		.amdhsa_named_barrier_count 0
		.amdhsa_reserve_vcc 0
		.amdhsa_float_round_mode_32 0
		.amdhsa_float_round_mode_16_64 0
		.amdhsa_float_denorm_mode_32 3
		.amdhsa_float_denorm_mode_16_64 3
		.amdhsa_fp16_overflow 0
		.amdhsa_memory_ordered 1
		.amdhsa_forward_progress 1
		.amdhsa_inst_pref_size 0
		.amdhsa_round_robin_scheduling 0
		.amdhsa_exception_fp_ieee_invalid_op 0
		.amdhsa_exception_fp_denorm_src 0
		.amdhsa_exception_fp_ieee_div_zero 0
		.amdhsa_exception_fp_ieee_overflow 0
		.amdhsa_exception_fp_ieee_underflow 0
		.amdhsa_exception_fp_ieee_inexact 0
		.amdhsa_exception_int_div_zero 0
	.end_amdhsa_kernel
	.section	.text._ZN7rocprim17ROCPRIM_400000_NS6detail17trampoline_kernelINS0_14default_configENS1_21merge_config_selectorINS0_5tupleIJddEEENS0_10empty_typeEEEZNS1_10merge_implIS3_NS0_12zip_iteratorINS5_IJN6thrust23THRUST_200600_302600_NS6detail15normal_iteratorINSC_10device_ptrIKdEEEESI_EEEEESK_NSA_INS5_IJNSE_INSF_IdEEEESM_EEEEEPS7_SP_SP_NSC_11hip_rocprim7__merge17predicate_wrapperIddNSC_4lessIdEEEEEE10hipError_tPvRmT0_T1_T2_T3_T4_T5_mmT6_P12ihipStream_tbEUlT_E0_NS1_11comp_targetILNS1_3genE10ELNS1_11target_archE1200ELNS1_3gpuE4ELNS1_3repE0EEENS1_30default_config_static_selectorELNS0_4arch9wavefront6targetE0EEEvS10_,"axG",@progbits,_ZN7rocprim17ROCPRIM_400000_NS6detail17trampoline_kernelINS0_14default_configENS1_21merge_config_selectorINS0_5tupleIJddEEENS0_10empty_typeEEEZNS1_10merge_implIS3_NS0_12zip_iteratorINS5_IJN6thrust23THRUST_200600_302600_NS6detail15normal_iteratorINSC_10device_ptrIKdEEEESI_EEEEESK_NSA_INS5_IJNSE_INSF_IdEEEESM_EEEEEPS7_SP_SP_NSC_11hip_rocprim7__merge17predicate_wrapperIddNSC_4lessIdEEEEEE10hipError_tPvRmT0_T1_T2_T3_T4_T5_mmT6_P12ihipStream_tbEUlT_E0_NS1_11comp_targetILNS1_3genE10ELNS1_11target_archE1200ELNS1_3gpuE4ELNS1_3repE0EEENS1_30default_config_static_selectorELNS0_4arch9wavefront6targetE0EEEvS10_,comdat
.Lfunc_end16:
	.size	_ZN7rocprim17ROCPRIM_400000_NS6detail17trampoline_kernelINS0_14default_configENS1_21merge_config_selectorINS0_5tupleIJddEEENS0_10empty_typeEEEZNS1_10merge_implIS3_NS0_12zip_iteratorINS5_IJN6thrust23THRUST_200600_302600_NS6detail15normal_iteratorINSC_10device_ptrIKdEEEESI_EEEEESK_NSA_INS5_IJNSE_INSF_IdEEEESM_EEEEEPS7_SP_SP_NSC_11hip_rocprim7__merge17predicate_wrapperIddNSC_4lessIdEEEEEE10hipError_tPvRmT0_T1_T2_T3_T4_T5_mmT6_P12ihipStream_tbEUlT_E0_NS1_11comp_targetILNS1_3genE10ELNS1_11target_archE1200ELNS1_3gpuE4ELNS1_3repE0EEENS1_30default_config_static_selectorELNS0_4arch9wavefront6targetE0EEEvS10_, .Lfunc_end16-_ZN7rocprim17ROCPRIM_400000_NS6detail17trampoline_kernelINS0_14default_configENS1_21merge_config_selectorINS0_5tupleIJddEEENS0_10empty_typeEEEZNS1_10merge_implIS3_NS0_12zip_iteratorINS5_IJN6thrust23THRUST_200600_302600_NS6detail15normal_iteratorINSC_10device_ptrIKdEEEESI_EEEEESK_NSA_INS5_IJNSE_INSF_IdEEEESM_EEEEEPS7_SP_SP_NSC_11hip_rocprim7__merge17predicate_wrapperIddNSC_4lessIdEEEEEE10hipError_tPvRmT0_T1_T2_T3_T4_T5_mmT6_P12ihipStream_tbEUlT_E0_NS1_11comp_targetILNS1_3genE10ELNS1_11target_archE1200ELNS1_3gpuE4ELNS1_3repE0EEENS1_30default_config_static_selectorELNS0_4arch9wavefront6targetE0EEEvS10_
                                        ; -- End function
	.set _ZN7rocprim17ROCPRIM_400000_NS6detail17trampoline_kernelINS0_14default_configENS1_21merge_config_selectorINS0_5tupleIJddEEENS0_10empty_typeEEEZNS1_10merge_implIS3_NS0_12zip_iteratorINS5_IJN6thrust23THRUST_200600_302600_NS6detail15normal_iteratorINSC_10device_ptrIKdEEEESI_EEEEESK_NSA_INS5_IJNSE_INSF_IdEEEESM_EEEEEPS7_SP_SP_NSC_11hip_rocprim7__merge17predicate_wrapperIddNSC_4lessIdEEEEEE10hipError_tPvRmT0_T1_T2_T3_T4_T5_mmT6_P12ihipStream_tbEUlT_E0_NS1_11comp_targetILNS1_3genE10ELNS1_11target_archE1200ELNS1_3gpuE4ELNS1_3repE0EEENS1_30default_config_static_selectorELNS0_4arch9wavefront6targetE0EEEvS10_.num_vgpr, 0
	.set _ZN7rocprim17ROCPRIM_400000_NS6detail17trampoline_kernelINS0_14default_configENS1_21merge_config_selectorINS0_5tupleIJddEEENS0_10empty_typeEEEZNS1_10merge_implIS3_NS0_12zip_iteratorINS5_IJN6thrust23THRUST_200600_302600_NS6detail15normal_iteratorINSC_10device_ptrIKdEEEESI_EEEEESK_NSA_INS5_IJNSE_INSF_IdEEEESM_EEEEEPS7_SP_SP_NSC_11hip_rocprim7__merge17predicate_wrapperIddNSC_4lessIdEEEEEE10hipError_tPvRmT0_T1_T2_T3_T4_T5_mmT6_P12ihipStream_tbEUlT_E0_NS1_11comp_targetILNS1_3genE10ELNS1_11target_archE1200ELNS1_3gpuE4ELNS1_3repE0EEENS1_30default_config_static_selectorELNS0_4arch9wavefront6targetE0EEEvS10_.num_agpr, 0
	.set _ZN7rocprim17ROCPRIM_400000_NS6detail17trampoline_kernelINS0_14default_configENS1_21merge_config_selectorINS0_5tupleIJddEEENS0_10empty_typeEEEZNS1_10merge_implIS3_NS0_12zip_iteratorINS5_IJN6thrust23THRUST_200600_302600_NS6detail15normal_iteratorINSC_10device_ptrIKdEEEESI_EEEEESK_NSA_INS5_IJNSE_INSF_IdEEEESM_EEEEEPS7_SP_SP_NSC_11hip_rocprim7__merge17predicate_wrapperIddNSC_4lessIdEEEEEE10hipError_tPvRmT0_T1_T2_T3_T4_T5_mmT6_P12ihipStream_tbEUlT_E0_NS1_11comp_targetILNS1_3genE10ELNS1_11target_archE1200ELNS1_3gpuE4ELNS1_3repE0EEENS1_30default_config_static_selectorELNS0_4arch9wavefront6targetE0EEEvS10_.numbered_sgpr, 0
	.set _ZN7rocprim17ROCPRIM_400000_NS6detail17trampoline_kernelINS0_14default_configENS1_21merge_config_selectorINS0_5tupleIJddEEENS0_10empty_typeEEEZNS1_10merge_implIS3_NS0_12zip_iteratorINS5_IJN6thrust23THRUST_200600_302600_NS6detail15normal_iteratorINSC_10device_ptrIKdEEEESI_EEEEESK_NSA_INS5_IJNSE_INSF_IdEEEESM_EEEEEPS7_SP_SP_NSC_11hip_rocprim7__merge17predicate_wrapperIddNSC_4lessIdEEEEEE10hipError_tPvRmT0_T1_T2_T3_T4_T5_mmT6_P12ihipStream_tbEUlT_E0_NS1_11comp_targetILNS1_3genE10ELNS1_11target_archE1200ELNS1_3gpuE4ELNS1_3repE0EEENS1_30default_config_static_selectorELNS0_4arch9wavefront6targetE0EEEvS10_.num_named_barrier, 0
	.set _ZN7rocprim17ROCPRIM_400000_NS6detail17trampoline_kernelINS0_14default_configENS1_21merge_config_selectorINS0_5tupleIJddEEENS0_10empty_typeEEEZNS1_10merge_implIS3_NS0_12zip_iteratorINS5_IJN6thrust23THRUST_200600_302600_NS6detail15normal_iteratorINSC_10device_ptrIKdEEEESI_EEEEESK_NSA_INS5_IJNSE_INSF_IdEEEESM_EEEEEPS7_SP_SP_NSC_11hip_rocprim7__merge17predicate_wrapperIddNSC_4lessIdEEEEEE10hipError_tPvRmT0_T1_T2_T3_T4_T5_mmT6_P12ihipStream_tbEUlT_E0_NS1_11comp_targetILNS1_3genE10ELNS1_11target_archE1200ELNS1_3gpuE4ELNS1_3repE0EEENS1_30default_config_static_selectorELNS0_4arch9wavefront6targetE0EEEvS10_.private_seg_size, 0
	.set _ZN7rocprim17ROCPRIM_400000_NS6detail17trampoline_kernelINS0_14default_configENS1_21merge_config_selectorINS0_5tupleIJddEEENS0_10empty_typeEEEZNS1_10merge_implIS3_NS0_12zip_iteratorINS5_IJN6thrust23THRUST_200600_302600_NS6detail15normal_iteratorINSC_10device_ptrIKdEEEESI_EEEEESK_NSA_INS5_IJNSE_INSF_IdEEEESM_EEEEEPS7_SP_SP_NSC_11hip_rocprim7__merge17predicate_wrapperIddNSC_4lessIdEEEEEE10hipError_tPvRmT0_T1_T2_T3_T4_T5_mmT6_P12ihipStream_tbEUlT_E0_NS1_11comp_targetILNS1_3genE10ELNS1_11target_archE1200ELNS1_3gpuE4ELNS1_3repE0EEENS1_30default_config_static_selectorELNS0_4arch9wavefront6targetE0EEEvS10_.uses_vcc, 0
	.set _ZN7rocprim17ROCPRIM_400000_NS6detail17trampoline_kernelINS0_14default_configENS1_21merge_config_selectorINS0_5tupleIJddEEENS0_10empty_typeEEEZNS1_10merge_implIS3_NS0_12zip_iteratorINS5_IJN6thrust23THRUST_200600_302600_NS6detail15normal_iteratorINSC_10device_ptrIKdEEEESI_EEEEESK_NSA_INS5_IJNSE_INSF_IdEEEESM_EEEEEPS7_SP_SP_NSC_11hip_rocprim7__merge17predicate_wrapperIddNSC_4lessIdEEEEEE10hipError_tPvRmT0_T1_T2_T3_T4_T5_mmT6_P12ihipStream_tbEUlT_E0_NS1_11comp_targetILNS1_3genE10ELNS1_11target_archE1200ELNS1_3gpuE4ELNS1_3repE0EEENS1_30default_config_static_selectorELNS0_4arch9wavefront6targetE0EEEvS10_.uses_flat_scratch, 0
	.set _ZN7rocprim17ROCPRIM_400000_NS6detail17trampoline_kernelINS0_14default_configENS1_21merge_config_selectorINS0_5tupleIJddEEENS0_10empty_typeEEEZNS1_10merge_implIS3_NS0_12zip_iteratorINS5_IJN6thrust23THRUST_200600_302600_NS6detail15normal_iteratorINSC_10device_ptrIKdEEEESI_EEEEESK_NSA_INS5_IJNSE_INSF_IdEEEESM_EEEEEPS7_SP_SP_NSC_11hip_rocprim7__merge17predicate_wrapperIddNSC_4lessIdEEEEEE10hipError_tPvRmT0_T1_T2_T3_T4_T5_mmT6_P12ihipStream_tbEUlT_E0_NS1_11comp_targetILNS1_3genE10ELNS1_11target_archE1200ELNS1_3gpuE4ELNS1_3repE0EEENS1_30default_config_static_selectorELNS0_4arch9wavefront6targetE0EEEvS10_.has_dyn_sized_stack, 0
	.set _ZN7rocprim17ROCPRIM_400000_NS6detail17trampoline_kernelINS0_14default_configENS1_21merge_config_selectorINS0_5tupleIJddEEENS0_10empty_typeEEEZNS1_10merge_implIS3_NS0_12zip_iteratorINS5_IJN6thrust23THRUST_200600_302600_NS6detail15normal_iteratorINSC_10device_ptrIKdEEEESI_EEEEESK_NSA_INS5_IJNSE_INSF_IdEEEESM_EEEEEPS7_SP_SP_NSC_11hip_rocprim7__merge17predicate_wrapperIddNSC_4lessIdEEEEEE10hipError_tPvRmT0_T1_T2_T3_T4_T5_mmT6_P12ihipStream_tbEUlT_E0_NS1_11comp_targetILNS1_3genE10ELNS1_11target_archE1200ELNS1_3gpuE4ELNS1_3repE0EEENS1_30default_config_static_selectorELNS0_4arch9wavefront6targetE0EEEvS10_.has_recursion, 0
	.set _ZN7rocprim17ROCPRIM_400000_NS6detail17trampoline_kernelINS0_14default_configENS1_21merge_config_selectorINS0_5tupleIJddEEENS0_10empty_typeEEEZNS1_10merge_implIS3_NS0_12zip_iteratorINS5_IJN6thrust23THRUST_200600_302600_NS6detail15normal_iteratorINSC_10device_ptrIKdEEEESI_EEEEESK_NSA_INS5_IJNSE_INSF_IdEEEESM_EEEEEPS7_SP_SP_NSC_11hip_rocprim7__merge17predicate_wrapperIddNSC_4lessIdEEEEEE10hipError_tPvRmT0_T1_T2_T3_T4_T5_mmT6_P12ihipStream_tbEUlT_E0_NS1_11comp_targetILNS1_3genE10ELNS1_11target_archE1200ELNS1_3gpuE4ELNS1_3repE0EEENS1_30default_config_static_selectorELNS0_4arch9wavefront6targetE0EEEvS10_.has_indirect_call, 0
	.section	.AMDGPU.csdata,"",@progbits
; Kernel info:
; codeLenInByte = 0
; TotalNumSgprs: 0
; NumVgprs: 0
; ScratchSize: 0
; MemoryBound: 0
; FloatMode: 240
; IeeeMode: 1
; LDSByteSize: 0 bytes/workgroup (compile time only)
; SGPRBlocks: 0
; VGPRBlocks: 0
; NumSGPRsForWavesPerEU: 1
; NumVGPRsForWavesPerEU: 1
; NamedBarCnt: 0
; Occupancy: 16
; WaveLimiterHint : 0
; COMPUTE_PGM_RSRC2:SCRATCH_EN: 0
; COMPUTE_PGM_RSRC2:USER_SGPR: 2
; COMPUTE_PGM_RSRC2:TRAP_HANDLER: 0
; COMPUTE_PGM_RSRC2:TGID_X_EN: 1
; COMPUTE_PGM_RSRC2:TGID_Y_EN: 0
; COMPUTE_PGM_RSRC2:TGID_Z_EN: 0
; COMPUTE_PGM_RSRC2:TIDIG_COMP_CNT: 0
	.section	.text._ZN7rocprim17ROCPRIM_400000_NS6detail17trampoline_kernelINS0_14default_configENS1_21merge_config_selectorINS0_5tupleIJddEEENS0_10empty_typeEEEZNS1_10merge_implIS3_NS0_12zip_iteratorINS5_IJN6thrust23THRUST_200600_302600_NS6detail15normal_iteratorINSC_10device_ptrIKdEEEESI_EEEEESK_NSA_INS5_IJNSE_INSF_IdEEEESM_EEEEEPS7_SP_SP_NSC_11hip_rocprim7__merge17predicate_wrapperIddNSC_4lessIdEEEEEE10hipError_tPvRmT0_T1_T2_T3_T4_T5_mmT6_P12ihipStream_tbEUlT_E0_NS1_11comp_targetILNS1_3genE9ELNS1_11target_archE1100ELNS1_3gpuE3ELNS1_3repE0EEENS1_30default_config_static_selectorELNS0_4arch9wavefront6targetE0EEEvS10_,"axG",@progbits,_ZN7rocprim17ROCPRIM_400000_NS6detail17trampoline_kernelINS0_14default_configENS1_21merge_config_selectorINS0_5tupleIJddEEENS0_10empty_typeEEEZNS1_10merge_implIS3_NS0_12zip_iteratorINS5_IJN6thrust23THRUST_200600_302600_NS6detail15normal_iteratorINSC_10device_ptrIKdEEEESI_EEEEESK_NSA_INS5_IJNSE_INSF_IdEEEESM_EEEEEPS7_SP_SP_NSC_11hip_rocprim7__merge17predicate_wrapperIddNSC_4lessIdEEEEEE10hipError_tPvRmT0_T1_T2_T3_T4_T5_mmT6_P12ihipStream_tbEUlT_E0_NS1_11comp_targetILNS1_3genE9ELNS1_11target_archE1100ELNS1_3gpuE3ELNS1_3repE0EEENS1_30default_config_static_selectorELNS0_4arch9wavefront6targetE0EEEvS10_,comdat
	.protected	_ZN7rocprim17ROCPRIM_400000_NS6detail17trampoline_kernelINS0_14default_configENS1_21merge_config_selectorINS0_5tupleIJddEEENS0_10empty_typeEEEZNS1_10merge_implIS3_NS0_12zip_iteratorINS5_IJN6thrust23THRUST_200600_302600_NS6detail15normal_iteratorINSC_10device_ptrIKdEEEESI_EEEEESK_NSA_INS5_IJNSE_INSF_IdEEEESM_EEEEEPS7_SP_SP_NSC_11hip_rocprim7__merge17predicate_wrapperIddNSC_4lessIdEEEEEE10hipError_tPvRmT0_T1_T2_T3_T4_T5_mmT6_P12ihipStream_tbEUlT_E0_NS1_11comp_targetILNS1_3genE9ELNS1_11target_archE1100ELNS1_3gpuE3ELNS1_3repE0EEENS1_30default_config_static_selectorELNS0_4arch9wavefront6targetE0EEEvS10_ ; -- Begin function _ZN7rocprim17ROCPRIM_400000_NS6detail17trampoline_kernelINS0_14default_configENS1_21merge_config_selectorINS0_5tupleIJddEEENS0_10empty_typeEEEZNS1_10merge_implIS3_NS0_12zip_iteratorINS5_IJN6thrust23THRUST_200600_302600_NS6detail15normal_iteratorINSC_10device_ptrIKdEEEESI_EEEEESK_NSA_INS5_IJNSE_INSF_IdEEEESM_EEEEEPS7_SP_SP_NSC_11hip_rocprim7__merge17predicate_wrapperIddNSC_4lessIdEEEEEE10hipError_tPvRmT0_T1_T2_T3_T4_T5_mmT6_P12ihipStream_tbEUlT_E0_NS1_11comp_targetILNS1_3genE9ELNS1_11target_archE1100ELNS1_3gpuE3ELNS1_3repE0EEENS1_30default_config_static_selectorELNS0_4arch9wavefront6targetE0EEEvS10_
	.globl	_ZN7rocprim17ROCPRIM_400000_NS6detail17trampoline_kernelINS0_14default_configENS1_21merge_config_selectorINS0_5tupleIJddEEENS0_10empty_typeEEEZNS1_10merge_implIS3_NS0_12zip_iteratorINS5_IJN6thrust23THRUST_200600_302600_NS6detail15normal_iteratorINSC_10device_ptrIKdEEEESI_EEEEESK_NSA_INS5_IJNSE_INSF_IdEEEESM_EEEEEPS7_SP_SP_NSC_11hip_rocprim7__merge17predicate_wrapperIddNSC_4lessIdEEEEEE10hipError_tPvRmT0_T1_T2_T3_T4_T5_mmT6_P12ihipStream_tbEUlT_E0_NS1_11comp_targetILNS1_3genE9ELNS1_11target_archE1100ELNS1_3gpuE3ELNS1_3repE0EEENS1_30default_config_static_selectorELNS0_4arch9wavefront6targetE0EEEvS10_
	.p2align	8
	.type	_ZN7rocprim17ROCPRIM_400000_NS6detail17trampoline_kernelINS0_14default_configENS1_21merge_config_selectorINS0_5tupleIJddEEENS0_10empty_typeEEEZNS1_10merge_implIS3_NS0_12zip_iteratorINS5_IJN6thrust23THRUST_200600_302600_NS6detail15normal_iteratorINSC_10device_ptrIKdEEEESI_EEEEESK_NSA_INS5_IJNSE_INSF_IdEEEESM_EEEEEPS7_SP_SP_NSC_11hip_rocprim7__merge17predicate_wrapperIddNSC_4lessIdEEEEEE10hipError_tPvRmT0_T1_T2_T3_T4_T5_mmT6_P12ihipStream_tbEUlT_E0_NS1_11comp_targetILNS1_3genE9ELNS1_11target_archE1100ELNS1_3gpuE3ELNS1_3repE0EEENS1_30default_config_static_selectorELNS0_4arch9wavefront6targetE0EEEvS10_,@function
_ZN7rocprim17ROCPRIM_400000_NS6detail17trampoline_kernelINS0_14default_configENS1_21merge_config_selectorINS0_5tupleIJddEEENS0_10empty_typeEEEZNS1_10merge_implIS3_NS0_12zip_iteratorINS5_IJN6thrust23THRUST_200600_302600_NS6detail15normal_iteratorINSC_10device_ptrIKdEEEESI_EEEEESK_NSA_INS5_IJNSE_INSF_IdEEEESM_EEEEEPS7_SP_SP_NSC_11hip_rocprim7__merge17predicate_wrapperIddNSC_4lessIdEEEEEE10hipError_tPvRmT0_T1_T2_T3_T4_T5_mmT6_P12ihipStream_tbEUlT_E0_NS1_11comp_targetILNS1_3genE9ELNS1_11target_archE1100ELNS1_3gpuE3ELNS1_3repE0EEENS1_30default_config_static_selectorELNS0_4arch9wavefront6targetE0EEEvS10_: ; @_ZN7rocprim17ROCPRIM_400000_NS6detail17trampoline_kernelINS0_14default_configENS1_21merge_config_selectorINS0_5tupleIJddEEENS0_10empty_typeEEEZNS1_10merge_implIS3_NS0_12zip_iteratorINS5_IJN6thrust23THRUST_200600_302600_NS6detail15normal_iteratorINSC_10device_ptrIKdEEEESI_EEEEESK_NSA_INS5_IJNSE_INSF_IdEEEESM_EEEEEPS7_SP_SP_NSC_11hip_rocprim7__merge17predicate_wrapperIddNSC_4lessIdEEEEEE10hipError_tPvRmT0_T1_T2_T3_T4_T5_mmT6_P12ihipStream_tbEUlT_E0_NS1_11comp_targetILNS1_3genE9ELNS1_11target_archE1100ELNS1_3gpuE3ELNS1_3repE0EEENS1_30default_config_static_selectorELNS0_4arch9wavefront6targetE0EEEvS10_
; %bb.0:
	.section	.rodata,"a",@progbits
	.p2align	6, 0x0
	.amdhsa_kernel _ZN7rocprim17ROCPRIM_400000_NS6detail17trampoline_kernelINS0_14default_configENS1_21merge_config_selectorINS0_5tupleIJddEEENS0_10empty_typeEEEZNS1_10merge_implIS3_NS0_12zip_iteratorINS5_IJN6thrust23THRUST_200600_302600_NS6detail15normal_iteratorINSC_10device_ptrIKdEEEESI_EEEEESK_NSA_INS5_IJNSE_INSF_IdEEEESM_EEEEEPS7_SP_SP_NSC_11hip_rocprim7__merge17predicate_wrapperIddNSC_4lessIdEEEEEE10hipError_tPvRmT0_T1_T2_T3_T4_T5_mmT6_P12ihipStream_tbEUlT_E0_NS1_11comp_targetILNS1_3genE9ELNS1_11target_archE1100ELNS1_3gpuE3ELNS1_3repE0EEENS1_30default_config_static_selectorELNS0_4arch9wavefront6targetE0EEEvS10_
		.amdhsa_group_segment_fixed_size 0
		.amdhsa_private_segment_fixed_size 0
		.amdhsa_kernarg_size 112
		.amdhsa_user_sgpr_count 2
		.amdhsa_user_sgpr_dispatch_ptr 0
		.amdhsa_user_sgpr_queue_ptr 0
		.amdhsa_user_sgpr_kernarg_segment_ptr 1
		.amdhsa_user_sgpr_dispatch_id 0
		.amdhsa_user_sgpr_kernarg_preload_length 0
		.amdhsa_user_sgpr_kernarg_preload_offset 0
		.amdhsa_user_sgpr_private_segment_size 0
		.amdhsa_wavefront_size32 1
		.amdhsa_uses_dynamic_stack 0
		.amdhsa_enable_private_segment 0
		.amdhsa_system_sgpr_workgroup_id_x 1
		.amdhsa_system_sgpr_workgroup_id_y 0
		.amdhsa_system_sgpr_workgroup_id_z 0
		.amdhsa_system_sgpr_workgroup_info 0
		.amdhsa_system_vgpr_workitem_id 0
		.amdhsa_next_free_vgpr 1
		.amdhsa_next_free_sgpr 1
		.amdhsa_named_barrier_count 0
		.amdhsa_reserve_vcc 0
		.amdhsa_float_round_mode_32 0
		.amdhsa_float_round_mode_16_64 0
		.amdhsa_float_denorm_mode_32 3
		.amdhsa_float_denorm_mode_16_64 3
		.amdhsa_fp16_overflow 0
		.amdhsa_memory_ordered 1
		.amdhsa_forward_progress 1
		.amdhsa_inst_pref_size 0
		.amdhsa_round_robin_scheduling 0
		.amdhsa_exception_fp_ieee_invalid_op 0
		.amdhsa_exception_fp_denorm_src 0
		.amdhsa_exception_fp_ieee_div_zero 0
		.amdhsa_exception_fp_ieee_overflow 0
		.amdhsa_exception_fp_ieee_underflow 0
		.amdhsa_exception_fp_ieee_inexact 0
		.amdhsa_exception_int_div_zero 0
	.end_amdhsa_kernel
	.section	.text._ZN7rocprim17ROCPRIM_400000_NS6detail17trampoline_kernelINS0_14default_configENS1_21merge_config_selectorINS0_5tupleIJddEEENS0_10empty_typeEEEZNS1_10merge_implIS3_NS0_12zip_iteratorINS5_IJN6thrust23THRUST_200600_302600_NS6detail15normal_iteratorINSC_10device_ptrIKdEEEESI_EEEEESK_NSA_INS5_IJNSE_INSF_IdEEEESM_EEEEEPS7_SP_SP_NSC_11hip_rocprim7__merge17predicate_wrapperIddNSC_4lessIdEEEEEE10hipError_tPvRmT0_T1_T2_T3_T4_T5_mmT6_P12ihipStream_tbEUlT_E0_NS1_11comp_targetILNS1_3genE9ELNS1_11target_archE1100ELNS1_3gpuE3ELNS1_3repE0EEENS1_30default_config_static_selectorELNS0_4arch9wavefront6targetE0EEEvS10_,"axG",@progbits,_ZN7rocprim17ROCPRIM_400000_NS6detail17trampoline_kernelINS0_14default_configENS1_21merge_config_selectorINS0_5tupleIJddEEENS0_10empty_typeEEEZNS1_10merge_implIS3_NS0_12zip_iteratorINS5_IJN6thrust23THRUST_200600_302600_NS6detail15normal_iteratorINSC_10device_ptrIKdEEEESI_EEEEESK_NSA_INS5_IJNSE_INSF_IdEEEESM_EEEEEPS7_SP_SP_NSC_11hip_rocprim7__merge17predicate_wrapperIddNSC_4lessIdEEEEEE10hipError_tPvRmT0_T1_T2_T3_T4_T5_mmT6_P12ihipStream_tbEUlT_E0_NS1_11comp_targetILNS1_3genE9ELNS1_11target_archE1100ELNS1_3gpuE3ELNS1_3repE0EEENS1_30default_config_static_selectorELNS0_4arch9wavefront6targetE0EEEvS10_,comdat
.Lfunc_end17:
	.size	_ZN7rocprim17ROCPRIM_400000_NS6detail17trampoline_kernelINS0_14default_configENS1_21merge_config_selectorINS0_5tupleIJddEEENS0_10empty_typeEEEZNS1_10merge_implIS3_NS0_12zip_iteratorINS5_IJN6thrust23THRUST_200600_302600_NS6detail15normal_iteratorINSC_10device_ptrIKdEEEESI_EEEEESK_NSA_INS5_IJNSE_INSF_IdEEEESM_EEEEEPS7_SP_SP_NSC_11hip_rocprim7__merge17predicate_wrapperIddNSC_4lessIdEEEEEE10hipError_tPvRmT0_T1_T2_T3_T4_T5_mmT6_P12ihipStream_tbEUlT_E0_NS1_11comp_targetILNS1_3genE9ELNS1_11target_archE1100ELNS1_3gpuE3ELNS1_3repE0EEENS1_30default_config_static_selectorELNS0_4arch9wavefront6targetE0EEEvS10_, .Lfunc_end17-_ZN7rocprim17ROCPRIM_400000_NS6detail17trampoline_kernelINS0_14default_configENS1_21merge_config_selectorINS0_5tupleIJddEEENS0_10empty_typeEEEZNS1_10merge_implIS3_NS0_12zip_iteratorINS5_IJN6thrust23THRUST_200600_302600_NS6detail15normal_iteratorINSC_10device_ptrIKdEEEESI_EEEEESK_NSA_INS5_IJNSE_INSF_IdEEEESM_EEEEEPS7_SP_SP_NSC_11hip_rocprim7__merge17predicate_wrapperIddNSC_4lessIdEEEEEE10hipError_tPvRmT0_T1_T2_T3_T4_T5_mmT6_P12ihipStream_tbEUlT_E0_NS1_11comp_targetILNS1_3genE9ELNS1_11target_archE1100ELNS1_3gpuE3ELNS1_3repE0EEENS1_30default_config_static_selectorELNS0_4arch9wavefront6targetE0EEEvS10_
                                        ; -- End function
	.set _ZN7rocprim17ROCPRIM_400000_NS6detail17trampoline_kernelINS0_14default_configENS1_21merge_config_selectorINS0_5tupleIJddEEENS0_10empty_typeEEEZNS1_10merge_implIS3_NS0_12zip_iteratorINS5_IJN6thrust23THRUST_200600_302600_NS6detail15normal_iteratorINSC_10device_ptrIKdEEEESI_EEEEESK_NSA_INS5_IJNSE_INSF_IdEEEESM_EEEEEPS7_SP_SP_NSC_11hip_rocprim7__merge17predicate_wrapperIddNSC_4lessIdEEEEEE10hipError_tPvRmT0_T1_T2_T3_T4_T5_mmT6_P12ihipStream_tbEUlT_E0_NS1_11comp_targetILNS1_3genE9ELNS1_11target_archE1100ELNS1_3gpuE3ELNS1_3repE0EEENS1_30default_config_static_selectorELNS0_4arch9wavefront6targetE0EEEvS10_.num_vgpr, 0
	.set _ZN7rocprim17ROCPRIM_400000_NS6detail17trampoline_kernelINS0_14default_configENS1_21merge_config_selectorINS0_5tupleIJddEEENS0_10empty_typeEEEZNS1_10merge_implIS3_NS0_12zip_iteratorINS5_IJN6thrust23THRUST_200600_302600_NS6detail15normal_iteratorINSC_10device_ptrIKdEEEESI_EEEEESK_NSA_INS5_IJNSE_INSF_IdEEEESM_EEEEEPS7_SP_SP_NSC_11hip_rocprim7__merge17predicate_wrapperIddNSC_4lessIdEEEEEE10hipError_tPvRmT0_T1_T2_T3_T4_T5_mmT6_P12ihipStream_tbEUlT_E0_NS1_11comp_targetILNS1_3genE9ELNS1_11target_archE1100ELNS1_3gpuE3ELNS1_3repE0EEENS1_30default_config_static_selectorELNS0_4arch9wavefront6targetE0EEEvS10_.num_agpr, 0
	.set _ZN7rocprim17ROCPRIM_400000_NS6detail17trampoline_kernelINS0_14default_configENS1_21merge_config_selectorINS0_5tupleIJddEEENS0_10empty_typeEEEZNS1_10merge_implIS3_NS0_12zip_iteratorINS5_IJN6thrust23THRUST_200600_302600_NS6detail15normal_iteratorINSC_10device_ptrIKdEEEESI_EEEEESK_NSA_INS5_IJNSE_INSF_IdEEEESM_EEEEEPS7_SP_SP_NSC_11hip_rocprim7__merge17predicate_wrapperIddNSC_4lessIdEEEEEE10hipError_tPvRmT0_T1_T2_T3_T4_T5_mmT6_P12ihipStream_tbEUlT_E0_NS1_11comp_targetILNS1_3genE9ELNS1_11target_archE1100ELNS1_3gpuE3ELNS1_3repE0EEENS1_30default_config_static_selectorELNS0_4arch9wavefront6targetE0EEEvS10_.numbered_sgpr, 0
	.set _ZN7rocprim17ROCPRIM_400000_NS6detail17trampoline_kernelINS0_14default_configENS1_21merge_config_selectorINS0_5tupleIJddEEENS0_10empty_typeEEEZNS1_10merge_implIS3_NS0_12zip_iteratorINS5_IJN6thrust23THRUST_200600_302600_NS6detail15normal_iteratorINSC_10device_ptrIKdEEEESI_EEEEESK_NSA_INS5_IJNSE_INSF_IdEEEESM_EEEEEPS7_SP_SP_NSC_11hip_rocprim7__merge17predicate_wrapperIddNSC_4lessIdEEEEEE10hipError_tPvRmT0_T1_T2_T3_T4_T5_mmT6_P12ihipStream_tbEUlT_E0_NS1_11comp_targetILNS1_3genE9ELNS1_11target_archE1100ELNS1_3gpuE3ELNS1_3repE0EEENS1_30default_config_static_selectorELNS0_4arch9wavefront6targetE0EEEvS10_.num_named_barrier, 0
	.set _ZN7rocprim17ROCPRIM_400000_NS6detail17trampoline_kernelINS0_14default_configENS1_21merge_config_selectorINS0_5tupleIJddEEENS0_10empty_typeEEEZNS1_10merge_implIS3_NS0_12zip_iteratorINS5_IJN6thrust23THRUST_200600_302600_NS6detail15normal_iteratorINSC_10device_ptrIKdEEEESI_EEEEESK_NSA_INS5_IJNSE_INSF_IdEEEESM_EEEEEPS7_SP_SP_NSC_11hip_rocprim7__merge17predicate_wrapperIddNSC_4lessIdEEEEEE10hipError_tPvRmT0_T1_T2_T3_T4_T5_mmT6_P12ihipStream_tbEUlT_E0_NS1_11comp_targetILNS1_3genE9ELNS1_11target_archE1100ELNS1_3gpuE3ELNS1_3repE0EEENS1_30default_config_static_selectorELNS0_4arch9wavefront6targetE0EEEvS10_.private_seg_size, 0
	.set _ZN7rocprim17ROCPRIM_400000_NS6detail17trampoline_kernelINS0_14default_configENS1_21merge_config_selectorINS0_5tupleIJddEEENS0_10empty_typeEEEZNS1_10merge_implIS3_NS0_12zip_iteratorINS5_IJN6thrust23THRUST_200600_302600_NS6detail15normal_iteratorINSC_10device_ptrIKdEEEESI_EEEEESK_NSA_INS5_IJNSE_INSF_IdEEEESM_EEEEEPS7_SP_SP_NSC_11hip_rocprim7__merge17predicate_wrapperIddNSC_4lessIdEEEEEE10hipError_tPvRmT0_T1_T2_T3_T4_T5_mmT6_P12ihipStream_tbEUlT_E0_NS1_11comp_targetILNS1_3genE9ELNS1_11target_archE1100ELNS1_3gpuE3ELNS1_3repE0EEENS1_30default_config_static_selectorELNS0_4arch9wavefront6targetE0EEEvS10_.uses_vcc, 0
	.set _ZN7rocprim17ROCPRIM_400000_NS6detail17trampoline_kernelINS0_14default_configENS1_21merge_config_selectorINS0_5tupleIJddEEENS0_10empty_typeEEEZNS1_10merge_implIS3_NS0_12zip_iteratorINS5_IJN6thrust23THRUST_200600_302600_NS6detail15normal_iteratorINSC_10device_ptrIKdEEEESI_EEEEESK_NSA_INS5_IJNSE_INSF_IdEEEESM_EEEEEPS7_SP_SP_NSC_11hip_rocprim7__merge17predicate_wrapperIddNSC_4lessIdEEEEEE10hipError_tPvRmT0_T1_T2_T3_T4_T5_mmT6_P12ihipStream_tbEUlT_E0_NS1_11comp_targetILNS1_3genE9ELNS1_11target_archE1100ELNS1_3gpuE3ELNS1_3repE0EEENS1_30default_config_static_selectorELNS0_4arch9wavefront6targetE0EEEvS10_.uses_flat_scratch, 0
	.set _ZN7rocprim17ROCPRIM_400000_NS6detail17trampoline_kernelINS0_14default_configENS1_21merge_config_selectorINS0_5tupleIJddEEENS0_10empty_typeEEEZNS1_10merge_implIS3_NS0_12zip_iteratorINS5_IJN6thrust23THRUST_200600_302600_NS6detail15normal_iteratorINSC_10device_ptrIKdEEEESI_EEEEESK_NSA_INS5_IJNSE_INSF_IdEEEESM_EEEEEPS7_SP_SP_NSC_11hip_rocprim7__merge17predicate_wrapperIddNSC_4lessIdEEEEEE10hipError_tPvRmT0_T1_T2_T3_T4_T5_mmT6_P12ihipStream_tbEUlT_E0_NS1_11comp_targetILNS1_3genE9ELNS1_11target_archE1100ELNS1_3gpuE3ELNS1_3repE0EEENS1_30default_config_static_selectorELNS0_4arch9wavefront6targetE0EEEvS10_.has_dyn_sized_stack, 0
	.set _ZN7rocprim17ROCPRIM_400000_NS6detail17trampoline_kernelINS0_14default_configENS1_21merge_config_selectorINS0_5tupleIJddEEENS0_10empty_typeEEEZNS1_10merge_implIS3_NS0_12zip_iteratorINS5_IJN6thrust23THRUST_200600_302600_NS6detail15normal_iteratorINSC_10device_ptrIKdEEEESI_EEEEESK_NSA_INS5_IJNSE_INSF_IdEEEESM_EEEEEPS7_SP_SP_NSC_11hip_rocprim7__merge17predicate_wrapperIddNSC_4lessIdEEEEEE10hipError_tPvRmT0_T1_T2_T3_T4_T5_mmT6_P12ihipStream_tbEUlT_E0_NS1_11comp_targetILNS1_3genE9ELNS1_11target_archE1100ELNS1_3gpuE3ELNS1_3repE0EEENS1_30default_config_static_selectorELNS0_4arch9wavefront6targetE0EEEvS10_.has_recursion, 0
	.set _ZN7rocprim17ROCPRIM_400000_NS6detail17trampoline_kernelINS0_14default_configENS1_21merge_config_selectorINS0_5tupleIJddEEENS0_10empty_typeEEEZNS1_10merge_implIS3_NS0_12zip_iteratorINS5_IJN6thrust23THRUST_200600_302600_NS6detail15normal_iteratorINSC_10device_ptrIKdEEEESI_EEEEESK_NSA_INS5_IJNSE_INSF_IdEEEESM_EEEEEPS7_SP_SP_NSC_11hip_rocprim7__merge17predicate_wrapperIddNSC_4lessIdEEEEEE10hipError_tPvRmT0_T1_T2_T3_T4_T5_mmT6_P12ihipStream_tbEUlT_E0_NS1_11comp_targetILNS1_3genE9ELNS1_11target_archE1100ELNS1_3gpuE3ELNS1_3repE0EEENS1_30default_config_static_selectorELNS0_4arch9wavefront6targetE0EEEvS10_.has_indirect_call, 0
	.section	.AMDGPU.csdata,"",@progbits
; Kernel info:
; codeLenInByte = 0
; TotalNumSgprs: 0
; NumVgprs: 0
; ScratchSize: 0
; MemoryBound: 0
; FloatMode: 240
; IeeeMode: 1
; LDSByteSize: 0 bytes/workgroup (compile time only)
; SGPRBlocks: 0
; VGPRBlocks: 0
; NumSGPRsForWavesPerEU: 1
; NumVGPRsForWavesPerEU: 1
; NamedBarCnt: 0
; Occupancy: 16
; WaveLimiterHint : 0
; COMPUTE_PGM_RSRC2:SCRATCH_EN: 0
; COMPUTE_PGM_RSRC2:USER_SGPR: 2
; COMPUTE_PGM_RSRC2:TRAP_HANDLER: 0
; COMPUTE_PGM_RSRC2:TGID_X_EN: 1
; COMPUTE_PGM_RSRC2:TGID_Y_EN: 0
; COMPUTE_PGM_RSRC2:TGID_Z_EN: 0
; COMPUTE_PGM_RSRC2:TIDIG_COMP_CNT: 0
	.section	.text._ZN7rocprim17ROCPRIM_400000_NS6detail17trampoline_kernelINS0_14default_configENS1_21merge_config_selectorINS0_5tupleIJddEEENS0_10empty_typeEEEZNS1_10merge_implIS3_NS0_12zip_iteratorINS5_IJN6thrust23THRUST_200600_302600_NS6detail15normal_iteratorINSC_10device_ptrIKdEEEESI_EEEEESK_NSA_INS5_IJNSE_INSF_IdEEEESM_EEEEEPS7_SP_SP_NSC_11hip_rocprim7__merge17predicate_wrapperIddNSC_4lessIdEEEEEE10hipError_tPvRmT0_T1_T2_T3_T4_T5_mmT6_P12ihipStream_tbEUlT_E0_NS1_11comp_targetILNS1_3genE8ELNS1_11target_archE1030ELNS1_3gpuE2ELNS1_3repE0EEENS1_30default_config_static_selectorELNS0_4arch9wavefront6targetE0EEEvS10_,"axG",@progbits,_ZN7rocprim17ROCPRIM_400000_NS6detail17trampoline_kernelINS0_14default_configENS1_21merge_config_selectorINS0_5tupleIJddEEENS0_10empty_typeEEEZNS1_10merge_implIS3_NS0_12zip_iteratorINS5_IJN6thrust23THRUST_200600_302600_NS6detail15normal_iteratorINSC_10device_ptrIKdEEEESI_EEEEESK_NSA_INS5_IJNSE_INSF_IdEEEESM_EEEEEPS7_SP_SP_NSC_11hip_rocprim7__merge17predicate_wrapperIddNSC_4lessIdEEEEEE10hipError_tPvRmT0_T1_T2_T3_T4_T5_mmT6_P12ihipStream_tbEUlT_E0_NS1_11comp_targetILNS1_3genE8ELNS1_11target_archE1030ELNS1_3gpuE2ELNS1_3repE0EEENS1_30default_config_static_selectorELNS0_4arch9wavefront6targetE0EEEvS10_,comdat
	.protected	_ZN7rocprim17ROCPRIM_400000_NS6detail17trampoline_kernelINS0_14default_configENS1_21merge_config_selectorINS0_5tupleIJddEEENS0_10empty_typeEEEZNS1_10merge_implIS3_NS0_12zip_iteratorINS5_IJN6thrust23THRUST_200600_302600_NS6detail15normal_iteratorINSC_10device_ptrIKdEEEESI_EEEEESK_NSA_INS5_IJNSE_INSF_IdEEEESM_EEEEEPS7_SP_SP_NSC_11hip_rocprim7__merge17predicate_wrapperIddNSC_4lessIdEEEEEE10hipError_tPvRmT0_T1_T2_T3_T4_T5_mmT6_P12ihipStream_tbEUlT_E0_NS1_11comp_targetILNS1_3genE8ELNS1_11target_archE1030ELNS1_3gpuE2ELNS1_3repE0EEENS1_30default_config_static_selectorELNS0_4arch9wavefront6targetE0EEEvS10_ ; -- Begin function _ZN7rocprim17ROCPRIM_400000_NS6detail17trampoline_kernelINS0_14default_configENS1_21merge_config_selectorINS0_5tupleIJddEEENS0_10empty_typeEEEZNS1_10merge_implIS3_NS0_12zip_iteratorINS5_IJN6thrust23THRUST_200600_302600_NS6detail15normal_iteratorINSC_10device_ptrIKdEEEESI_EEEEESK_NSA_INS5_IJNSE_INSF_IdEEEESM_EEEEEPS7_SP_SP_NSC_11hip_rocprim7__merge17predicate_wrapperIddNSC_4lessIdEEEEEE10hipError_tPvRmT0_T1_T2_T3_T4_T5_mmT6_P12ihipStream_tbEUlT_E0_NS1_11comp_targetILNS1_3genE8ELNS1_11target_archE1030ELNS1_3gpuE2ELNS1_3repE0EEENS1_30default_config_static_selectorELNS0_4arch9wavefront6targetE0EEEvS10_
	.globl	_ZN7rocprim17ROCPRIM_400000_NS6detail17trampoline_kernelINS0_14default_configENS1_21merge_config_selectorINS0_5tupleIJddEEENS0_10empty_typeEEEZNS1_10merge_implIS3_NS0_12zip_iteratorINS5_IJN6thrust23THRUST_200600_302600_NS6detail15normal_iteratorINSC_10device_ptrIKdEEEESI_EEEEESK_NSA_INS5_IJNSE_INSF_IdEEEESM_EEEEEPS7_SP_SP_NSC_11hip_rocprim7__merge17predicate_wrapperIddNSC_4lessIdEEEEEE10hipError_tPvRmT0_T1_T2_T3_T4_T5_mmT6_P12ihipStream_tbEUlT_E0_NS1_11comp_targetILNS1_3genE8ELNS1_11target_archE1030ELNS1_3gpuE2ELNS1_3repE0EEENS1_30default_config_static_selectorELNS0_4arch9wavefront6targetE0EEEvS10_
	.p2align	8
	.type	_ZN7rocprim17ROCPRIM_400000_NS6detail17trampoline_kernelINS0_14default_configENS1_21merge_config_selectorINS0_5tupleIJddEEENS0_10empty_typeEEEZNS1_10merge_implIS3_NS0_12zip_iteratorINS5_IJN6thrust23THRUST_200600_302600_NS6detail15normal_iteratorINSC_10device_ptrIKdEEEESI_EEEEESK_NSA_INS5_IJNSE_INSF_IdEEEESM_EEEEEPS7_SP_SP_NSC_11hip_rocprim7__merge17predicate_wrapperIddNSC_4lessIdEEEEEE10hipError_tPvRmT0_T1_T2_T3_T4_T5_mmT6_P12ihipStream_tbEUlT_E0_NS1_11comp_targetILNS1_3genE8ELNS1_11target_archE1030ELNS1_3gpuE2ELNS1_3repE0EEENS1_30default_config_static_selectorELNS0_4arch9wavefront6targetE0EEEvS10_,@function
_ZN7rocprim17ROCPRIM_400000_NS6detail17trampoline_kernelINS0_14default_configENS1_21merge_config_selectorINS0_5tupleIJddEEENS0_10empty_typeEEEZNS1_10merge_implIS3_NS0_12zip_iteratorINS5_IJN6thrust23THRUST_200600_302600_NS6detail15normal_iteratorINSC_10device_ptrIKdEEEESI_EEEEESK_NSA_INS5_IJNSE_INSF_IdEEEESM_EEEEEPS7_SP_SP_NSC_11hip_rocprim7__merge17predicate_wrapperIddNSC_4lessIdEEEEEE10hipError_tPvRmT0_T1_T2_T3_T4_T5_mmT6_P12ihipStream_tbEUlT_E0_NS1_11comp_targetILNS1_3genE8ELNS1_11target_archE1030ELNS1_3gpuE2ELNS1_3repE0EEENS1_30default_config_static_selectorELNS0_4arch9wavefront6targetE0EEEvS10_: ; @_ZN7rocprim17ROCPRIM_400000_NS6detail17trampoline_kernelINS0_14default_configENS1_21merge_config_selectorINS0_5tupleIJddEEENS0_10empty_typeEEEZNS1_10merge_implIS3_NS0_12zip_iteratorINS5_IJN6thrust23THRUST_200600_302600_NS6detail15normal_iteratorINSC_10device_ptrIKdEEEESI_EEEEESK_NSA_INS5_IJNSE_INSF_IdEEEESM_EEEEEPS7_SP_SP_NSC_11hip_rocprim7__merge17predicate_wrapperIddNSC_4lessIdEEEEEE10hipError_tPvRmT0_T1_T2_T3_T4_T5_mmT6_P12ihipStream_tbEUlT_E0_NS1_11comp_targetILNS1_3genE8ELNS1_11target_archE1030ELNS1_3gpuE2ELNS1_3repE0EEENS1_30default_config_static_selectorELNS0_4arch9wavefront6targetE0EEEvS10_
; %bb.0:
	.section	.rodata,"a",@progbits
	.p2align	6, 0x0
	.amdhsa_kernel _ZN7rocprim17ROCPRIM_400000_NS6detail17trampoline_kernelINS0_14default_configENS1_21merge_config_selectorINS0_5tupleIJddEEENS0_10empty_typeEEEZNS1_10merge_implIS3_NS0_12zip_iteratorINS5_IJN6thrust23THRUST_200600_302600_NS6detail15normal_iteratorINSC_10device_ptrIKdEEEESI_EEEEESK_NSA_INS5_IJNSE_INSF_IdEEEESM_EEEEEPS7_SP_SP_NSC_11hip_rocprim7__merge17predicate_wrapperIddNSC_4lessIdEEEEEE10hipError_tPvRmT0_T1_T2_T3_T4_T5_mmT6_P12ihipStream_tbEUlT_E0_NS1_11comp_targetILNS1_3genE8ELNS1_11target_archE1030ELNS1_3gpuE2ELNS1_3repE0EEENS1_30default_config_static_selectorELNS0_4arch9wavefront6targetE0EEEvS10_
		.amdhsa_group_segment_fixed_size 0
		.amdhsa_private_segment_fixed_size 0
		.amdhsa_kernarg_size 112
		.amdhsa_user_sgpr_count 2
		.amdhsa_user_sgpr_dispatch_ptr 0
		.amdhsa_user_sgpr_queue_ptr 0
		.amdhsa_user_sgpr_kernarg_segment_ptr 1
		.amdhsa_user_sgpr_dispatch_id 0
		.amdhsa_user_sgpr_kernarg_preload_length 0
		.amdhsa_user_sgpr_kernarg_preload_offset 0
		.amdhsa_user_sgpr_private_segment_size 0
		.amdhsa_wavefront_size32 1
		.amdhsa_uses_dynamic_stack 0
		.amdhsa_enable_private_segment 0
		.amdhsa_system_sgpr_workgroup_id_x 1
		.amdhsa_system_sgpr_workgroup_id_y 0
		.amdhsa_system_sgpr_workgroup_id_z 0
		.amdhsa_system_sgpr_workgroup_info 0
		.amdhsa_system_vgpr_workitem_id 0
		.amdhsa_next_free_vgpr 1
		.amdhsa_next_free_sgpr 1
		.amdhsa_named_barrier_count 0
		.amdhsa_reserve_vcc 0
		.amdhsa_float_round_mode_32 0
		.amdhsa_float_round_mode_16_64 0
		.amdhsa_float_denorm_mode_32 3
		.amdhsa_float_denorm_mode_16_64 3
		.amdhsa_fp16_overflow 0
		.amdhsa_memory_ordered 1
		.amdhsa_forward_progress 1
		.amdhsa_inst_pref_size 0
		.amdhsa_round_robin_scheduling 0
		.amdhsa_exception_fp_ieee_invalid_op 0
		.amdhsa_exception_fp_denorm_src 0
		.amdhsa_exception_fp_ieee_div_zero 0
		.amdhsa_exception_fp_ieee_overflow 0
		.amdhsa_exception_fp_ieee_underflow 0
		.amdhsa_exception_fp_ieee_inexact 0
		.amdhsa_exception_int_div_zero 0
	.end_amdhsa_kernel
	.section	.text._ZN7rocprim17ROCPRIM_400000_NS6detail17trampoline_kernelINS0_14default_configENS1_21merge_config_selectorINS0_5tupleIJddEEENS0_10empty_typeEEEZNS1_10merge_implIS3_NS0_12zip_iteratorINS5_IJN6thrust23THRUST_200600_302600_NS6detail15normal_iteratorINSC_10device_ptrIKdEEEESI_EEEEESK_NSA_INS5_IJNSE_INSF_IdEEEESM_EEEEEPS7_SP_SP_NSC_11hip_rocprim7__merge17predicate_wrapperIddNSC_4lessIdEEEEEE10hipError_tPvRmT0_T1_T2_T3_T4_T5_mmT6_P12ihipStream_tbEUlT_E0_NS1_11comp_targetILNS1_3genE8ELNS1_11target_archE1030ELNS1_3gpuE2ELNS1_3repE0EEENS1_30default_config_static_selectorELNS0_4arch9wavefront6targetE0EEEvS10_,"axG",@progbits,_ZN7rocprim17ROCPRIM_400000_NS6detail17trampoline_kernelINS0_14default_configENS1_21merge_config_selectorINS0_5tupleIJddEEENS0_10empty_typeEEEZNS1_10merge_implIS3_NS0_12zip_iteratorINS5_IJN6thrust23THRUST_200600_302600_NS6detail15normal_iteratorINSC_10device_ptrIKdEEEESI_EEEEESK_NSA_INS5_IJNSE_INSF_IdEEEESM_EEEEEPS7_SP_SP_NSC_11hip_rocprim7__merge17predicate_wrapperIddNSC_4lessIdEEEEEE10hipError_tPvRmT0_T1_T2_T3_T4_T5_mmT6_P12ihipStream_tbEUlT_E0_NS1_11comp_targetILNS1_3genE8ELNS1_11target_archE1030ELNS1_3gpuE2ELNS1_3repE0EEENS1_30default_config_static_selectorELNS0_4arch9wavefront6targetE0EEEvS10_,comdat
.Lfunc_end18:
	.size	_ZN7rocprim17ROCPRIM_400000_NS6detail17trampoline_kernelINS0_14default_configENS1_21merge_config_selectorINS0_5tupleIJddEEENS0_10empty_typeEEEZNS1_10merge_implIS3_NS0_12zip_iteratorINS5_IJN6thrust23THRUST_200600_302600_NS6detail15normal_iteratorINSC_10device_ptrIKdEEEESI_EEEEESK_NSA_INS5_IJNSE_INSF_IdEEEESM_EEEEEPS7_SP_SP_NSC_11hip_rocprim7__merge17predicate_wrapperIddNSC_4lessIdEEEEEE10hipError_tPvRmT0_T1_T2_T3_T4_T5_mmT6_P12ihipStream_tbEUlT_E0_NS1_11comp_targetILNS1_3genE8ELNS1_11target_archE1030ELNS1_3gpuE2ELNS1_3repE0EEENS1_30default_config_static_selectorELNS0_4arch9wavefront6targetE0EEEvS10_, .Lfunc_end18-_ZN7rocprim17ROCPRIM_400000_NS6detail17trampoline_kernelINS0_14default_configENS1_21merge_config_selectorINS0_5tupleIJddEEENS0_10empty_typeEEEZNS1_10merge_implIS3_NS0_12zip_iteratorINS5_IJN6thrust23THRUST_200600_302600_NS6detail15normal_iteratorINSC_10device_ptrIKdEEEESI_EEEEESK_NSA_INS5_IJNSE_INSF_IdEEEESM_EEEEEPS7_SP_SP_NSC_11hip_rocprim7__merge17predicate_wrapperIddNSC_4lessIdEEEEEE10hipError_tPvRmT0_T1_T2_T3_T4_T5_mmT6_P12ihipStream_tbEUlT_E0_NS1_11comp_targetILNS1_3genE8ELNS1_11target_archE1030ELNS1_3gpuE2ELNS1_3repE0EEENS1_30default_config_static_selectorELNS0_4arch9wavefront6targetE0EEEvS10_
                                        ; -- End function
	.set _ZN7rocprim17ROCPRIM_400000_NS6detail17trampoline_kernelINS0_14default_configENS1_21merge_config_selectorINS0_5tupleIJddEEENS0_10empty_typeEEEZNS1_10merge_implIS3_NS0_12zip_iteratorINS5_IJN6thrust23THRUST_200600_302600_NS6detail15normal_iteratorINSC_10device_ptrIKdEEEESI_EEEEESK_NSA_INS5_IJNSE_INSF_IdEEEESM_EEEEEPS7_SP_SP_NSC_11hip_rocprim7__merge17predicate_wrapperIddNSC_4lessIdEEEEEE10hipError_tPvRmT0_T1_T2_T3_T4_T5_mmT6_P12ihipStream_tbEUlT_E0_NS1_11comp_targetILNS1_3genE8ELNS1_11target_archE1030ELNS1_3gpuE2ELNS1_3repE0EEENS1_30default_config_static_selectorELNS0_4arch9wavefront6targetE0EEEvS10_.num_vgpr, 0
	.set _ZN7rocprim17ROCPRIM_400000_NS6detail17trampoline_kernelINS0_14default_configENS1_21merge_config_selectorINS0_5tupleIJddEEENS0_10empty_typeEEEZNS1_10merge_implIS3_NS0_12zip_iteratorINS5_IJN6thrust23THRUST_200600_302600_NS6detail15normal_iteratorINSC_10device_ptrIKdEEEESI_EEEEESK_NSA_INS5_IJNSE_INSF_IdEEEESM_EEEEEPS7_SP_SP_NSC_11hip_rocprim7__merge17predicate_wrapperIddNSC_4lessIdEEEEEE10hipError_tPvRmT0_T1_T2_T3_T4_T5_mmT6_P12ihipStream_tbEUlT_E0_NS1_11comp_targetILNS1_3genE8ELNS1_11target_archE1030ELNS1_3gpuE2ELNS1_3repE0EEENS1_30default_config_static_selectorELNS0_4arch9wavefront6targetE0EEEvS10_.num_agpr, 0
	.set _ZN7rocprim17ROCPRIM_400000_NS6detail17trampoline_kernelINS0_14default_configENS1_21merge_config_selectorINS0_5tupleIJddEEENS0_10empty_typeEEEZNS1_10merge_implIS3_NS0_12zip_iteratorINS5_IJN6thrust23THRUST_200600_302600_NS6detail15normal_iteratorINSC_10device_ptrIKdEEEESI_EEEEESK_NSA_INS5_IJNSE_INSF_IdEEEESM_EEEEEPS7_SP_SP_NSC_11hip_rocprim7__merge17predicate_wrapperIddNSC_4lessIdEEEEEE10hipError_tPvRmT0_T1_T2_T3_T4_T5_mmT6_P12ihipStream_tbEUlT_E0_NS1_11comp_targetILNS1_3genE8ELNS1_11target_archE1030ELNS1_3gpuE2ELNS1_3repE0EEENS1_30default_config_static_selectorELNS0_4arch9wavefront6targetE0EEEvS10_.numbered_sgpr, 0
	.set _ZN7rocprim17ROCPRIM_400000_NS6detail17trampoline_kernelINS0_14default_configENS1_21merge_config_selectorINS0_5tupleIJddEEENS0_10empty_typeEEEZNS1_10merge_implIS3_NS0_12zip_iteratorINS5_IJN6thrust23THRUST_200600_302600_NS6detail15normal_iteratorINSC_10device_ptrIKdEEEESI_EEEEESK_NSA_INS5_IJNSE_INSF_IdEEEESM_EEEEEPS7_SP_SP_NSC_11hip_rocprim7__merge17predicate_wrapperIddNSC_4lessIdEEEEEE10hipError_tPvRmT0_T1_T2_T3_T4_T5_mmT6_P12ihipStream_tbEUlT_E0_NS1_11comp_targetILNS1_3genE8ELNS1_11target_archE1030ELNS1_3gpuE2ELNS1_3repE0EEENS1_30default_config_static_selectorELNS0_4arch9wavefront6targetE0EEEvS10_.num_named_barrier, 0
	.set _ZN7rocprim17ROCPRIM_400000_NS6detail17trampoline_kernelINS0_14default_configENS1_21merge_config_selectorINS0_5tupleIJddEEENS0_10empty_typeEEEZNS1_10merge_implIS3_NS0_12zip_iteratorINS5_IJN6thrust23THRUST_200600_302600_NS6detail15normal_iteratorINSC_10device_ptrIKdEEEESI_EEEEESK_NSA_INS5_IJNSE_INSF_IdEEEESM_EEEEEPS7_SP_SP_NSC_11hip_rocprim7__merge17predicate_wrapperIddNSC_4lessIdEEEEEE10hipError_tPvRmT0_T1_T2_T3_T4_T5_mmT6_P12ihipStream_tbEUlT_E0_NS1_11comp_targetILNS1_3genE8ELNS1_11target_archE1030ELNS1_3gpuE2ELNS1_3repE0EEENS1_30default_config_static_selectorELNS0_4arch9wavefront6targetE0EEEvS10_.private_seg_size, 0
	.set _ZN7rocprim17ROCPRIM_400000_NS6detail17trampoline_kernelINS0_14default_configENS1_21merge_config_selectorINS0_5tupleIJddEEENS0_10empty_typeEEEZNS1_10merge_implIS3_NS0_12zip_iteratorINS5_IJN6thrust23THRUST_200600_302600_NS6detail15normal_iteratorINSC_10device_ptrIKdEEEESI_EEEEESK_NSA_INS5_IJNSE_INSF_IdEEEESM_EEEEEPS7_SP_SP_NSC_11hip_rocprim7__merge17predicate_wrapperIddNSC_4lessIdEEEEEE10hipError_tPvRmT0_T1_T2_T3_T4_T5_mmT6_P12ihipStream_tbEUlT_E0_NS1_11comp_targetILNS1_3genE8ELNS1_11target_archE1030ELNS1_3gpuE2ELNS1_3repE0EEENS1_30default_config_static_selectorELNS0_4arch9wavefront6targetE0EEEvS10_.uses_vcc, 0
	.set _ZN7rocprim17ROCPRIM_400000_NS6detail17trampoline_kernelINS0_14default_configENS1_21merge_config_selectorINS0_5tupleIJddEEENS0_10empty_typeEEEZNS1_10merge_implIS3_NS0_12zip_iteratorINS5_IJN6thrust23THRUST_200600_302600_NS6detail15normal_iteratorINSC_10device_ptrIKdEEEESI_EEEEESK_NSA_INS5_IJNSE_INSF_IdEEEESM_EEEEEPS7_SP_SP_NSC_11hip_rocprim7__merge17predicate_wrapperIddNSC_4lessIdEEEEEE10hipError_tPvRmT0_T1_T2_T3_T4_T5_mmT6_P12ihipStream_tbEUlT_E0_NS1_11comp_targetILNS1_3genE8ELNS1_11target_archE1030ELNS1_3gpuE2ELNS1_3repE0EEENS1_30default_config_static_selectorELNS0_4arch9wavefront6targetE0EEEvS10_.uses_flat_scratch, 0
	.set _ZN7rocprim17ROCPRIM_400000_NS6detail17trampoline_kernelINS0_14default_configENS1_21merge_config_selectorINS0_5tupleIJddEEENS0_10empty_typeEEEZNS1_10merge_implIS3_NS0_12zip_iteratorINS5_IJN6thrust23THRUST_200600_302600_NS6detail15normal_iteratorINSC_10device_ptrIKdEEEESI_EEEEESK_NSA_INS5_IJNSE_INSF_IdEEEESM_EEEEEPS7_SP_SP_NSC_11hip_rocprim7__merge17predicate_wrapperIddNSC_4lessIdEEEEEE10hipError_tPvRmT0_T1_T2_T3_T4_T5_mmT6_P12ihipStream_tbEUlT_E0_NS1_11comp_targetILNS1_3genE8ELNS1_11target_archE1030ELNS1_3gpuE2ELNS1_3repE0EEENS1_30default_config_static_selectorELNS0_4arch9wavefront6targetE0EEEvS10_.has_dyn_sized_stack, 0
	.set _ZN7rocprim17ROCPRIM_400000_NS6detail17trampoline_kernelINS0_14default_configENS1_21merge_config_selectorINS0_5tupleIJddEEENS0_10empty_typeEEEZNS1_10merge_implIS3_NS0_12zip_iteratorINS5_IJN6thrust23THRUST_200600_302600_NS6detail15normal_iteratorINSC_10device_ptrIKdEEEESI_EEEEESK_NSA_INS5_IJNSE_INSF_IdEEEESM_EEEEEPS7_SP_SP_NSC_11hip_rocprim7__merge17predicate_wrapperIddNSC_4lessIdEEEEEE10hipError_tPvRmT0_T1_T2_T3_T4_T5_mmT6_P12ihipStream_tbEUlT_E0_NS1_11comp_targetILNS1_3genE8ELNS1_11target_archE1030ELNS1_3gpuE2ELNS1_3repE0EEENS1_30default_config_static_selectorELNS0_4arch9wavefront6targetE0EEEvS10_.has_recursion, 0
	.set _ZN7rocprim17ROCPRIM_400000_NS6detail17trampoline_kernelINS0_14default_configENS1_21merge_config_selectorINS0_5tupleIJddEEENS0_10empty_typeEEEZNS1_10merge_implIS3_NS0_12zip_iteratorINS5_IJN6thrust23THRUST_200600_302600_NS6detail15normal_iteratorINSC_10device_ptrIKdEEEESI_EEEEESK_NSA_INS5_IJNSE_INSF_IdEEEESM_EEEEEPS7_SP_SP_NSC_11hip_rocprim7__merge17predicate_wrapperIddNSC_4lessIdEEEEEE10hipError_tPvRmT0_T1_T2_T3_T4_T5_mmT6_P12ihipStream_tbEUlT_E0_NS1_11comp_targetILNS1_3genE8ELNS1_11target_archE1030ELNS1_3gpuE2ELNS1_3repE0EEENS1_30default_config_static_selectorELNS0_4arch9wavefront6targetE0EEEvS10_.has_indirect_call, 0
	.section	.AMDGPU.csdata,"",@progbits
; Kernel info:
; codeLenInByte = 0
; TotalNumSgprs: 0
; NumVgprs: 0
; ScratchSize: 0
; MemoryBound: 0
; FloatMode: 240
; IeeeMode: 1
; LDSByteSize: 0 bytes/workgroup (compile time only)
; SGPRBlocks: 0
; VGPRBlocks: 0
; NumSGPRsForWavesPerEU: 1
; NumVGPRsForWavesPerEU: 1
; NamedBarCnt: 0
; Occupancy: 16
; WaveLimiterHint : 0
; COMPUTE_PGM_RSRC2:SCRATCH_EN: 0
; COMPUTE_PGM_RSRC2:USER_SGPR: 2
; COMPUTE_PGM_RSRC2:TRAP_HANDLER: 0
; COMPUTE_PGM_RSRC2:TGID_X_EN: 1
; COMPUTE_PGM_RSRC2:TGID_Y_EN: 0
; COMPUTE_PGM_RSRC2:TGID_Z_EN: 0
; COMPUTE_PGM_RSRC2:TIDIG_COMP_CNT: 0
	.section	.text._ZN7rocprim17ROCPRIM_400000_NS6detail17trampoline_kernelINS0_14default_configENS1_22reduce_config_selectorIN6thrust23THRUST_200600_302600_NS5tupleIblNS6_9null_typeES8_S8_S8_S8_S8_S8_S8_EEEEZNS1_11reduce_implILb1ES3_PS9_SC_S9_NS6_11hip_rocprim9__find_if7functorIS9_EEEE10hipError_tPvRmT1_T2_T3_mT4_P12ihipStream_tbEUlT_E0_NS1_11comp_targetILNS1_3genE0ELNS1_11target_archE4294967295ELNS1_3gpuE0ELNS1_3repE0EEENS1_30default_config_static_selectorELNS0_4arch9wavefront6targetE0EEEvSK_,"axG",@progbits,_ZN7rocprim17ROCPRIM_400000_NS6detail17trampoline_kernelINS0_14default_configENS1_22reduce_config_selectorIN6thrust23THRUST_200600_302600_NS5tupleIblNS6_9null_typeES8_S8_S8_S8_S8_S8_S8_EEEEZNS1_11reduce_implILb1ES3_PS9_SC_S9_NS6_11hip_rocprim9__find_if7functorIS9_EEEE10hipError_tPvRmT1_T2_T3_mT4_P12ihipStream_tbEUlT_E0_NS1_11comp_targetILNS1_3genE0ELNS1_11target_archE4294967295ELNS1_3gpuE0ELNS1_3repE0EEENS1_30default_config_static_selectorELNS0_4arch9wavefront6targetE0EEEvSK_,comdat
	.protected	_ZN7rocprim17ROCPRIM_400000_NS6detail17trampoline_kernelINS0_14default_configENS1_22reduce_config_selectorIN6thrust23THRUST_200600_302600_NS5tupleIblNS6_9null_typeES8_S8_S8_S8_S8_S8_S8_EEEEZNS1_11reduce_implILb1ES3_PS9_SC_S9_NS6_11hip_rocprim9__find_if7functorIS9_EEEE10hipError_tPvRmT1_T2_T3_mT4_P12ihipStream_tbEUlT_E0_NS1_11comp_targetILNS1_3genE0ELNS1_11target_archE4294967295ELNS1_3gpuE0ELNS1_3repE0EEENS1_30default_config_static_selectorELNS0_4arch9wavefront6targetE0EEEvSK_ ; -- Begin function _ZN7rocprim17ROCPRIM_400000_NS6detail17trampoline_kernelINS0_14default_configENS1_22reduce_config_selectorIN6thrust23THRUST_200600_302600_NS5tupleIblNS6_9null_typeES8_S8_S8_S8_S8_S8_S8_EEEEZNS1_11reduce_implILb1ES3_PS9_SC_S9_NS6_11hip_rocprim9__find_if7functorIS9_EEEE10hipError_tPvRmT1_T2_T3_mT4_P12ihipStream_tbEUlT_E0_NS1_11comp_targetILNS1_3genE0ELNS1_11target_archE4294967295ELNS1_3gpuE0ELNS1_3repE0EEENS1_30default_config_static_selectorELNS0_4arch9wavefront6targetE0EEEvSK_
	.globl	_ZN7rocprim17ROCPRIM_400000_NS6detail17trampoline_kernelINS0_14default_configENS1_22reduce_config_selectorIN6thrust23THRUST_200600_302600_NS5tupleIblNS6_9null_typeES8_S8_S8_S8_S8_S8_S8_EEEEZNS1_11reduce_implILb1ES3_PS9_SC_S9_NS6_11hip_rocprim9__find_if7functorIS9_EEEE10hipError_tPvRmT1_T2_T3_mT4_P12ihipStream_tbEUlT_E0_NS1_11comp_targetILNS1_3genE0ELNS1_11target_archE4294967295ELNS1_3gpuE0ELNS1_3repE0EEENS1_30default_config_static_selectorELNS0_4arch9wavefront6targetE0EEEvSK_
	.p2align	8
	.type	_ZN7rocprim17ROCPRIM_400000_NS6detail17trampoline_kernelINS0_14default_configENS1_22reduce_config_selectorIN6thrust23THRUST_200600_302600_NS5tupleIblNS6_9null_typeES8_S8_S8_S8_S8_S8_S8_EEEEZNS1_11reduce_implILb1ES3_PS9_SC_S9_NS6_11hip_rocprim9__find_if7functorIS9_EEEE10hipError_tPvRmT1_T2_T3_mT4_P12ihipStream_tbEUlT_E0_NS1_11comp_targetILNS1_3genE0ELNS1_11target_archE4294967295ELNS1_3gpuE0ELNS1_3repE0EEENS1_30default_config_static_selectorELNS0_4arch9wavefront6targetE0EEEvSK_,@function
_ZN7rocprim17ROCPRIM_400000_NS6detail17trampoline_kernelINS0_14default_configENS1_22reduce_config_selectorIN6thrust23THRUST_200600_302600_NS5tupleIblNS6_9null_typeES8_S8_S8_S8_S8_S8_S8_EEEEZNS1_11reduce_implILb1ES3_PS9_SC_S9_NS6_11hip_rocprim9__find_if7functorIS9_EEEE10hipError_tPvRmT1_T2_T3_mT4_P12ihipStream_tbEUlT_E0_NS1_11comp_targetILNS1_3genE0ELNS1_11target_archE4294967295ELNS1_3gpuE0ELNS1_3repE0EEENS1_30default_config_static_selectorELNS0_4arch9wavefront6targetE0EEEvSK_: ; @_ZN7rocprim17ROCPRIM_400000_NS6detail17trampoline_kernelINS0_14default_configENS1_22reduce_config_selectorIN6thrust23THRUST_200600_302600_NS5tupleIblNS6_9null_typeES8_S8_S8_S8_S8_S8_S8_EEEEZNS1_11reduce_implILb1ES3_PS9_SC_S9_NS6_11hip_rocprim9__find_if7functorIS9_EEEE10hipError_tPvRmT1_T2_T3_mT4_P12ihipStream_tbEUlT_E0_NS1_11comp_targetILNS1_3genE0ELNS1_11target_archE4294967295ELNS1_3gpuE0ELNS1_3repE0EEENS1_30default_config_static_selectorELNS0_4arch9wavefront6targetE0EEEvSK_
; %bb.0:
	s_clause 0x1
	s_load_b256 s[4:11], s[0:1], 0x0
	s_load_b128 s[12:15], s[0:1], 0x20
	s_bfe_u32 s3, ttmp6, 0x4000c
	s_and_b32 s2, ttmp6, 15
	s_add_co_i32 s3, s3, 1
	s_getreg_b32 s16, hwreg(HW_REG_IB_STS2, 6, 4)
	s_mul_i32 s3, ttmp9, s3
	s_mov_b32 s19, 0
	s_add_co_i32 s18, s2, s3
	v_lshlrev_b32_e32 v8, 4, v0
	v_mbcnt_lo_u32_b32 v1, -1, 0
	s_mov_b32 s17, s19
	s_wait_kmcnt 0x0
	s_lshl_b64 s[2:3], s[6:7], 4
	s_cmp_eq_u32 s16, 0
	s_add_nc_u64 s[2:3], s[4:5], s[2:3]
	s_cselect_b32 s16, ttmp9, s18
	s_lshr_b64 s[4:5], s[8:9], 8
	s_lshl_b32 s18, s16, 8
	s_delay_alu instid0(SALU_CYCLE_1)
	s_lshl_b64 s[6:7], s[18:19], 4
	s_cmp_lg_u64 s[4:5], s[16:17]
	s_add_nc_u64 s[6:7], s[2:3], s[6:7]
	s_cbranch_scc0 .LBB19_10
; %bb.1:
	s_clause 0x3
	global_load_b64 v[2:3], v8, s[6:7] offset:8
	global_load_b64 v[4:5], v8, s[6:7] offset:2056
	global_load_u8 v9, v8, s[6:7] offset:2048
	global_load_u8 v10, v8, s[6:7]
	s_wait_loadcnt 0x2
	v_min_i64 v[6:7], v[4:5], v[2:3]
	s_wait_loadcnt 0x1
	v_and_b32_e32 v11, 1, v9
	s_delay_alu instid0(VALU_DEP_1) | instskip(SKIP_1) | instid1(VALU_DEP_3)
	v_cmp_eq_u32_e32 vcc_lo, 1, v11
	s_wait_loadcnt 0x0
	v_dual_cndmask_b32 v3, v3, v7, vcc_lo :: v_dual_bitop2_b32 v10, 1, v10 bitop3:0x40
	s_delay_alu instid0(VALU_DEP_1) | instskip(NEXT) | instid1(VALU_DEP_1)
	v_cmp_eq_u32_e64 s2, 1, v10
	v_dual_cndmask_b32 v2, v2, v6, vcc_lo :: v_dual_cndmask_b32 v3, v5, v3, s2
	s_delay_alu instid0(VALU_DEP_1) | instskip(SKIP_2) | instid1(VALU_DEP_3)
	v_cndmask_b32_e64 v2, v4, v2, s2
	v_cndmask_b32_e64 v9, v9, 1, s2
	s_mov_b32 s2, exec_lo
	v_mov_b32_dpp v5, v3 quad_perm:[1,0,3,2] row_mask:0xf bank_mask:0xf
	s_delay_alu instid0(VALU_DEP_3) | instskip(NEXT) | instid1(VALU_DEP_1)
	v_mov_b32_dpp v4, v2 quad_perm:[1,0,3,2] row_mask:0xf bank_mask:0xf
	v_min_i64 v[6:7], v[2:3], v[4:5]
	v_and_b32_e32 v9, 1, v9
	s_delay_alu instid0(VALU_DEP_1) | instskip(NEXT) | instid1(VALU_DEP_3)
	v_cmp_eq_u32_e32 vcc_lo, 1, v9
	v_cndmask_b32_e32 v4, v4, v6, vcc_lo
	v_mov_b32_dpp v10, v9 quad_perm:[1,0,3,2] row_mask:0xf bank_mask:0xf
	s_delay_alu instid0(VALU_DEP_1) | instskip(NEXT) | instid1(VALU_DEP_1)
	v_dual_cndmask_b32 v5, v5, v7, vcc_lo :: v_dual_bitop2_b32 v10, 1, v10 bitop3:0x40
	v_cmp_eq_u32_e32 vcc_lo, 1, v10
	s_delay_alu instid0(VALU_DEP_2) | instskip(SKIP_1) | instid1(VALU_DEP_2)
	v_dual_cndmask_b32 v3, v3, v5 :: v_dual_cndmask_b32 v2, v2, v4
	v_cndmask_b32_e64 v9, v9, 1, vcc_lo
	v_mov_b32_dpp v5, v3 quad_perm:[2,3,0,1] row_mask:0xf bank_mask:0xf
	s_delay_alu instid0(VALU_DEP_3) | instskip(NEXT) | instid1(VALU_DEP_3)
	v_mov_b32_dpp v4, v2 quad_perm:[2,3,0,1] row_mask:0xf bank_mask:0xf
	v_mov_b32_dpp v11, v9 quad_perm:[2,3,0,1] row_mask:0xf bank_mask:0xf
	s_delay_alu instid0(VALU_DEP_2) | instskip(SKIP_1) | instid1(VALU_DEP_1)
	v_min_i64 v[6:7], v[2:3], v[4:5]
	v_and_b32_e32 v10, 1, v9
	v_cmp_eq_u32_e32 vcc_lo, 1, v10
	s_delay_alu instid0(VALU_DEP_3) | instskip(SKIP_1) | instid1(VALU_DEP_1)
	v_dual_cndmask_b32 v4, v4, v6 :: v_dual_cndmask_b32 v5, v5, v7
	v_and_b32_e32 v10, 1, v11
	v_cmp_eq_u32_e32 vcc_lo, 1, v10
	s_delay_alu instid0(VALU_DEP_3) | instskip(SKIP_1) | instid1(VALU_DEP_2)
	v_dual_cndmask_b32 v2, v2, v4 :: v_dual_cndmask_b32 v3, v3, v5
	v_cndmask_b32_e64 v9, v9, 1, vcc_lo
	v_mov_b32_dpp v4, v2 row_ror:4 row_mask:0xf bank_mask:0xf
	s_delay_alu instid0(VALU_DEP_3) | instskip(NEXT) | instid1(VALU_DEP_3)
	v_mov_b32_dpp v5, v3 row_ror:4 row_mask:0xf bank_mask:0xf
	v_mov_b32_dpp v11, v9 row_ror:4 row_mask:0xf bank_mask:0xf
	s_delay_alu instid0(VALU_DEP_2) | instskip(SKIP_1) | instid1(VALU_DEP_1)
	v_min_i64 v[6:7], v[2:3], v[4:5]
	v_and_b32_e32 v10, 1, v9
	v_cmp_eq_u32_e32 vcc_lo, 1, v10
	s_delay_alu instid0(VALU_DEP_3) | instskip(SKIP_1) | instid1(VALU_DEP_1)
	v_dual_cndmask_b32 v4, v4, v6 :: v_dual_cndmask_b32 v5, v5, v7
	v_and_b32_e32 v10, 1, v11
	v_cmp_eq_u32_e32 vcc_lo, 1, v10
	s_delay_alu instid0(VALU_DEP_3) | instskip(SKIP_1) | instid1(VALU_DEP_2)
	v_dual_cndmask_b32 v2, v2, v4 :: v_dual_cndmask_b32 v3, v3, v5
	v_cndmask_b32_e64 v9, v9, 1, vcc_lo
	v_mov_b32_dpp v4, v2 row_ror:8 row_mask:0xf bank_mask:0xf
	s_delay_alu instid0(VALU_DEP_3) | instskip(NEXT) | instid1(VALU_DEP_3)
	v_mov_b32_dpp v5, v3 row_ror:8 row_mask:0xf bank_mask:0xf
	v_mov_b32_dpp v11, v9 row_ror:8 row_mask:0xf bank_mask:0xf
	s_delay_alu instid0(VALU_DEP_2) | instskip(SKIP_1) | instid1(VALU_DEP_1)
	v_min_i64 v[6:7], v[2:3], v[4:5]
	v_and_b32_e32 v10, 1, v9
	v_cmp_eq_u32_e32 vcc_lo, 1, v10
	s_delay_alu instid0(VALU_DEP_3) | instskip(SKIP_1) | instid1(VALU_DEP_1)
	v_dual_cndmask_b32 v4, v4, v6 :: v_dual_cndmask_b32 v5, v5, v7
	v_and_b32_e32 v10, 1, v11
	v_cmp_eq_u32_e32 vcc_lo, 1, v10
	s_delay_alu instid0(VALU_DEP_3)
	v_dual_cndmask_b32 v2, v2, v4 :: v_dual_cndmask_b32 v3, v3, v5
	v_cndmask_b32_e64 v9, v9, 1, vcc_lo
	ds_swizzle_b32 v4, v2 offset:swizzle(BROADCAST,32,15)
	ds_swizzle_b32 v5, v3 offset:swizzle(BROADCAST,32,15)
	;; [unrolled: 1-line block ×3, first 2 shown]
	s_wait_dscnt 0x1
	v_min_i64 v[6:7], v[2:3], v[4:5]
	v_and_b32_e32 v11, 1, v9
	s_delay_alu instid0(VALU_DEP_1) | instskip(SKIP_1) | instid1(VALU_DEP_3)
	v_cmp_eq_u32_e32 vcc_lo, 1, v11
	s_wait_dscnt 0x0
	v_dual_cndmask_b32 v5, v5, v7, vcc_lo :: v_dual_bitop2_b32 v10, 1, v10 bitop3:0x40
	s_delay_alu instid0(VALU_DEP_4) | instskip(NEXT) | instid1(VALU_DEP_2)
	v_cndmask_b32_e32 v4, v4, v6, vcc_lo
	v_cmp_eq_u32_e32 vcc_lo, 1, v10
	s_delay_alu instid0(VALU_DEP_3) | instskip(SKIP_1) | instid1(VALU_DEP_4)
	v_dual_mov_b32 v7, 0 :: v_dual_cndmask_b32 v3, v3, v5, vcc_lo
	v_cndmask_b32_e64 v5, v9, 1, vcc_lo
	v_cndmask_b32_e32 v2, v2, v4, vcc_lo
	ds_bpermute_b32 v3, v7, v3 offset:124
	ds_bpermute_b32 v6, v7, v5 offset:124
	;; [unrolled: 1-line block ×3, first 2 shown]
	v_cmpx_eq_u32_e32 0, v1
	s_cbranch_execz .LBB19_3
; %bb.2:
	v_lshrrev_b32_e32 v4, 1, v0
	s_delay_alu instid0(VALU_DEP_1)
	v_and_b32_e32 v4, 48, v4
	s_wait_dscnt 0x1
	ds_store_b8 v4, v6
	s_wait_dscnt 0x1
	ds_store_b64 v4, v[2:3] offset:8
.LBB19_3:
	s_or_b32 exec_lo, exec_lo, s2
	s_delay_alu instid0(SALU_CYCLE_1)
	s_mov_b32 s2, exec_lo
	s_wait_dscnt 0x0
	s_barrier_signal -1
	s_barrier_wait -1
	v_cmpx_gt_u32_e32 32, v0
	s_cbranch_execz .LBB19_9
; %bb.4:
	v_and_b32_e32 v2, 3, v1
	s_delay_alu instid0(VALU_DEP_1) | instskip(SKIP_2) | instid1(VALU_DEP_1)
	v_cmp_ne_u32_e32 vcc_lo, 3, v2
	v_lshlrev_b32_e32 v3, 4, v2
	v_add_co_ci_u32_e64 v2, null, 0, v1, vcc_lo
	v_lshlrev_b32_e32 v2, 2, v2
	ds_load_u8 v9, v3
	ds_load_b64 v[4:5], v3 offset:8
	s_wait_dscnt 0x1
	v_and_b32_e32 v3, 0xff, v9
	s_wait_dscnt 0x0
	ds_bpermute_b32 v6, v2, v4
	ds_bpermute_b32 v7, v2, v5
	;; [unrolled: 1-line block ×3, first 2 shown]
	s_wait_dscnt 0x0
	v_and_b32_e32 v2, v9, v10
	s_delay_alu instid0(VALU_DEP_1) | instskip(NEXT) | instid1(VALU_DEP_1)
	v_and_b32_e32 v2, 1, v2
	v_cmp_eq_u32_e32 vcc_lo, 1, v2
                                        ; implicit-def: $vgpr2_vgpr3
	s_and_saveexec_b32 s3, vcc_lo
	s_delay_alu instid0(SALU_CYCLE_1)
	s_xor_b32 s3, exec_lo, s3
; %bb.5:
	v_min_i64 v[2:3], v[6:7], v[4:5]
                                        ; implicit-def: $vgpr9
                                        ; implicit-def: $vgpr6_vgpr7
                                        ; implicit-def: $vgpr4_vgpr5
                                        ; implicit-def: $vgpr10
; %bb.6:
	s_or_saveexec_b32 s3, s3
	v_dual_mov_b32 v12, 1 :: v_dual_lshlrev_b32 v11, 2, v1
	s_xor_b32 exec_lo, exec_lo, s3
; %bb.7:
	v_and_b32_e32 v2, 1, v9
	v_and_b32_e32 v9, 0xff, v10
	s_delay_alu instid0(VALU_DEP_2) | instskip(SKIP_1) | instid1(VALU_DEP_3)
	v_cmp_eq_u32_e32 vcc_lo, 1, v2
	v_dual_cndmask_b32 v3, v7, v5 :: v_dual_cndmask_b32 v2, v6, v4
	v_cndmask_b32_e64 v12, v9, 1, vcc_lo
; %bb.8:
	s_or_b32 exec_lo, exec_lo, s3
	s_delay_alu instid0(VALU_DEP_1) | instskip(NEXT) | instid1(VALU_DEP_1)
	v_and_b32_e32 v7, 1, v12
	v_cmp_eq_u32_e32 vcc_lo, 1, v7
	v_or_b32_e32 v6, 8, v11
	ds_bpermute_b32 v4, v6, v2
	ds_bpermute_b32 v5, v6, v3
	s_wait_dscnt 0x0
	v_min_i64 v[10:11], v[4:5], v[2:3]
	v_cndmask_b32_e32 v2, v4, v2, vcc_lo
	ds_bpermute_b32 v6, v6, v12
	v_cndmask_b32_e32 v3, v5, v3, vcc_lo
	s_wait_dscnt 0x0
	v_bitop3_b32 v7, v12, 1, v6 bitop3:0x80
	v_cndmask_b32_e64 v4, v6, 1, vcc_lo
	s_delay_alu instid0(VALU_DEP_2) | instskip(NEXT) | instid1(VALU_DEP_2)
	v_cmp_eq_u32_e32 vcc_lo, 0, v7
	v_dual_cndmask_b32 v6, 1, v4 :: v_dual_cndmask_b32 v3, v11, v3
	v_cndmask_b32_e32 v2, v10, v2, vcc_lo
.LBB19_9:
	s_or_b32 exec_lo, exec_lo, s2
	s_load_b64 s[4:5], s[0:1], 0x38
	s_branch .LBB19_34
.LBB19_10:
                                        ; implicit-def: $vgpr2_vgpr3
                                        ; implicit-def: $vgpr6
	s_load_b64 s[4:5], s[0:1], 0x38
	s_cbranch_execz .LBB19_34
; %bb.11:
	v_mov_b64_e32 v[4:5], 0
	v_mov_b64_e32 v[2:3], 0
	v_dual_mov_b32 v6, 0 :: v_dual_mov_b32 v7, 0
	s_sub_co_i32 s18, s8, s18
	s_mov_b32 s2, exec_lo
	v_cmpx_gt_u32_e64 s18, v0
	s_cbranch_execz .LBB19_13
; %bb.12:
	s_clause 0x1
	global_load_u8 v7, v8, s[6:7]
	global_load_b64 v[2:3], v8, s[6:7] offset:8
.LBB19_13:
	s_wait_xcnt 0x0
	s_or_b32 exec_lo, exec_lo, s2
	v_or_b32_e32 v9, 0x80, v0
	s_delay_alu instid0(VALU_DEP_1)
	v_cmp_gt_u32_e32 vcc_lo, s18, v9
	s_and_saveexec_b32 s2, vcc_lo
	s_cbranch_execz .LBB19_15
; %bb.14:
	s_clause 0x1
	global_load_u8 v6, v8, s[6:7] offset:2048
	global_load_b64 v[4:5], v8, s[6:7] offset:2056
.LBB19_15:
	s_wait_xcnt 0x0
	s_or_b32 exec_lo, exec_lo, s2
	s_wait_loadcnt 0x0
	v_min_i64 v[8:9], v[4:5], v[2:3]
	v_and_b32_e32 v10, 1, v6
	v_and_b32_e32 v6, 0xff, v6
	s_mov_b32 s6, exec_lo
	s_delay_alu instid0(VALU_DEP_2) | instskip(SKIP_2) | instid1(VALU_DEP_3)
	v_cmp_eq_u32_e64 s2, 1, v10
	v_and_b32_e32 v11, 1, v7
	v_and_b32_e32 v7, 0xff, v7
	v_dual_cndmask_b32 v9, v3, v9, s2 :: v_dual_cndmask_b32 v8, v2, v8, s2
	s_delay_alu instid0(VALU_DEP_3) | instskip(SKIP_1) | instid1(VALU_DEP_2)
	v_cmp_eq_u32_e64 s3, 1, v11
	v_cmp_ne_u32_e64 s2, 31, v1
	v_cndmask_b32_e64 v6, v6, 1, s3
	s_delay_alu instid0(VALU_DEP_2) | instskip(SKIP_1) | instid1(VALU_DEP_3)
	v_add_co_ci_u32_e64 v10, null, 0, v1, s2
	v_dual_cndmask_b32 v4, v4, v8, s3 :: v_dual_cndmask_b32 v5, v5, v9, s3
	v_cndmask_b32_e32 v6, v7, v6, vcc_lo
	s_delay_alu instid0(VALU_DEP_3) | instskip(SKIP_1) | instid1(VALU_DEP_4)
	v_lshlrev_b32_e32 v9, 2, v10
	v_and_b32_e32 v7, 0x60, v0
	v_dual_cndmask_b32 v2, v2, v4 :: v_dual_cndmask_b32 v3, v3, v5
	s_min_u32 s3, s18, 0x80
	ds_bpermute_b32 v8, v9, v6
	v_sub_nc_u32_e64 v7, s3, v7 clamp
	ds_bpermute_b32 v4, v9, v2
	ds_bpermute_b32 v5, v9, v3
	v_add_nc_u32_e32 v9, 1, v1
	s_delay_alu instid0(VALU_DEP_1)
	v_cmpx_lt_u32_e64 v9, v7
	s_cbranch_execz .LBB19_17
; %bb.16:
	s_wait_dscnt 0x0
	v_min_i64 v[10:11], v[4:5], v[2:3]
	v_and_b32_e32 v9, 1, v6
	s_delay_alu instid0(VALU_DEP_1) | instskip(SKIP_3) | instid1(VALU_DEP_3)
	v_cmp_eq_u32_e32 vcc_lo, 1, v9
	v_and_b32_e32 v6, v6, v8
	v_and_b32_e32 v8, 0xff, v8
	v_dual_cndmask_b32 v2, v4, v2 :: v_dual_cndmask_b32 v3, v5, v3
	v_cmp_eq_u32_e64 s2, 0, v6
	s_delay_alu instid0(VALU_DEP_3) | instskip(NEXT) | instid1(VALU_DEP_1)
	v_cndmask_b32_e64 v4, v8, 1, vcc_lo
	v_dual_cndmask_b32 v6, 1, v4, s2 :: v_dual_cndmask_b32 v3, v11, v3, s2
	s_delay_alu instid0(VALU_DEP_4)
	v_cndmask_b32_e64 v2, v10, v2, s2
.LBB19_17:
	s_or_b32 exec_lo, exec_lo, s6
	v_cmp_gt_u32_e32 vcc_lo, 30, v1
	v_add_nc_u32_e32 v9, 2, v1
	s_mov_b32 s6, exec_lo
	s_wait_dscnt 0x1
	v_cndmask_b32_e64 v4, 0, 2, vcc_lo
	s_wait_dscnt 0x0
	s_delay_alu instid0(VALU_DEP_1)
	v_add_lshl_u32 v5, v4, v1, 2
	ds_bpermute_b32 v8, v5, v6
	ds_bpermute_b32 v4, v5, v2
	ds_bpermute_b32 v5, v5, v3
	v_cmpx_lt_u32_e64 v9, v7
	s_cbranch_execz .LBB19_19
; %bb.18:
	s_wait_dscnt 0x0
	v_min_i64 v[10:11], v[4:5], v[2:3]
	v_and_b32_e32 v9, 1, v6
	v_bitop3_b32 v6, v6, 1, v8 bitop3:0x80
	v_and_b32_e32 v8, 0xff, v8
	s_delay_alu instid0(VALU_DEP_3) | instskip(NEXT) | instid1(VALU_DEP_3)
	v_cmp_eq_u32_e32 vcc_lo, 1, v9
	v_cmp_eq_u32_e64 s2, 0, v6
	v_dual_cndmask_b32 v3, v5, v3 :: v_dual_cndmask_b32 v2, v4, v2
	s_delay_alu instid0(VALU_DEP_4) | instskip(NEXT) | instid1(VALU_DEP_1)
	v_cndmask_b32_e64 v4, v8, 1, vcc_lo
	v_dual_cndmask_b32 v6, 1, v4, s2 :: v_dual_cndmask_b32 v3, v11, v3, s2
	s_delay_alu instid0(VALU_DEP_3)
	v_cndmask_b32_e64 v2, v10, v2, s2
.LBB19_19:
	s_or_b32 exec_lo, exec_lo, s6
	v_cmp_gt_u32_e32 vcc_lo, 28, v1
	v_add_nc_u32_e32 v9, 4, v1
	s_mov_b32 s6, exec_lo
	s_wait_dscnt 0x1
	v_cndmask_b32_e64 v4, 0, 4, vcc_lo
	s_wait_dscnt 0x0
	s_delay_alu instid0(VALU_DEP_1)
	v_add_lshl_u32 v5, v4, v1, 2
	ds_bpermute_b32 v8, v5, v6
	ds_bpermute_b32 v4, v5, v2
	ds_bpermute_b32 v5, v5, v3
	v_cmpx_lt_u32_e64 v9, v7
	s_cbranch_execz .LBB19_21
; %bb.20:
	s_wait_dscnt 0x0
	v_min_i64 v[10:11], v[4:5], v[2:3]
	v_and_b32_e32 v9, 1, v6
	v_bitop3_b32 v6, v6, 1, v8 bitop3:0x80
	v_and_b32_e32 v8, 0xff, v8
	s_delay_alu instid0(VALU_DEP_3) | instskip(NEXT) | instid1(VALU_DEP_3)
	v_cmp_eq_u32_e32 vcc_lo, 1, v9
	v_cmp_eq_u32_e64 s2, 0, v6
	v_dual_cndmask_b32 v3, v5, v3 :: v_dual_cndmask_b32 v2, v4, v2
	s_delay_alu instid0(VALU_DEP_4) | instskip(NEXT) | instid1(VALU_DEP_1)
	v_cndmask_b32_e64 v4, v8, 1, vcc_lo
	v_dual_cndmask_b32 v6, 1, v4, s2 :: v_dual_cndmask_b32 v3, v11, v3, s2
	s_delay_alu instid0(VALU_DEP_3)
	v_cndmask_b32_e64 v2, v10, v2, s2
.LBB19_21:
	;; [unrolled: 30-line block ×3, first 2 shown]
	s_or_b32 exec_lo, exec_lo, s6
	s_wait_dscnt 0x2
	v_dual_lshlrev_b32 v8, 2, v1 :: v_dual_add_nc_u32 v10, 16, v1
	s_wait_dscnt 0x0
	s_delay_alu instid0(VALU_DEP_1) | instskip(NEXT) | instid1(VALU_DEP_2)
	v_or_b32_e32 v5, 64, v8
	v_cmp_lt_u32_e32 vcc_lo, v10, v7
	v_mov_b32_e32 v7, v6
	ds_bpermute_b32 v9, v5, v6
	ds_bpermute_b32 v4, v5, v2
	;; [unrolled: 1-line block ×3, first 2 shown]
	s_and_saveexec_b32 s6, vcc_lo
	s_cbranch_execz .LBB19_25
; %bb.24:
	s_wait_dscnt 0x0
	v_min_i64 v[10:11], v[4:5], v[2:3]
	v_and_b32_e32 v7, 1, v6
	v_bitop3_b32 v6, v6, 1, v9 bitop3:0x80
	s_delay_alu instid0(VALU_DEP_2) | instskip(NEXT) | instid1(VALU_DEP_2)
	v_cmp_eq_u32_e32 vcc_lo, 1, v7
	v_cmp_eq_u32_e64 s2, 0, v6
	v_cndmask_b32_e64 v7, v9, 1, vcc_lo
	v_dual_cndmask_b32 v3, v5, v3 :: v_dual_cndmask_b32 v2, v4, v2
	s_delay_alu instid0(VALU_DEP_2) | instskip(NEXT) | instid1(VALU_DEP_1)
	v_cndmask_b32_e64 v7, 1, v7, s2
	v_and_b32_e32 v6, 0xff, v7
	s_delay_alu instid0(VALU_DEP_3)
	v_dual_cndmask_b32 v3, v11, v3, s2 :: v_dual_cndmask_b32 v2, v10, v2, s2
.LBB19_25:
	s_or_b32 exec_lo, exec_lo, s6
	s_delay_alu instid0(SALU_CYCLE_1)
	s_mov_b32 s2, exec_lo
	v_cmpx_eq_u32_e32 0, v1
	s_cbranch_execz .LBB19_27
; %bb.26:
	s_wait_dscnt 0x1
	v_lshrrev_b32_e32 v4, 1, v0
	s_delay_alu instid0(VALU_DEP_1)
	v_and_b32_e32 v4, 48, v4
	ds_store_b8 v4, v7 offset:64
	ds_store_b64 v4, v[2:3] offset:72
.LBB19_27:
	s_or_b32 exec_lo, exec_lo, s2
	s_delay_alu instid0(SALU_CYCLE_1)
	s_mov_b32 s6, exec_lo
	s_wait_dscnt 0x0
	s_barrier_signal -1
	s_barrier_wait -1
	v_cmpx_gt_u32_e32 4, v0
	s_cbranch_execz .LBB19_33
; %bb.28:
	v_dual_lshlrev_b32 v2, 4, v1 :: v_dual_bitop2_b32 v7, 3, v1 bitop3:0x40
	s_add_co_i32 s3, s3, 31
	s_mov_b32 s7, exec_lo
	s_lshr_b32 s3, s3, 5
	ds_load_u8 v9, v2 offset:64
	ds_load_b64 v[2:3], v2 offset:72
	v_cmp_ne_u32_e32 vcc_lo, 3, v7
	v_add_nc_u32_e32 v10, 1, v7
	v_add_co_ci_u32_e64 v1, null, 0, v1, vcc_lo
	s_delay_alu instid0(VALU_DEP_1)
	v_lshlrev_b32_e32 v5, 2, v1
	s_wait_dscnt 0x1
	v_and_b32_e32 v6, 0xff, v9
	s_wait_dscnt 0x0
	ds_bpermute_b32 v4, v5, v2
	ds_bpermute_b32 v1, v5, v6
	;; [unrolled: 1-line block ×3, first 2 shown]
	v_cmpx_gt_u32_e64 s3, v10
	s_cbranch_execz .LBB19_30
; %bb.29:
	s_wait_dscnt 0x0
	v_min_i64 v[10:11], v[4:5], v[2:3]
	v_and_b32_e32 v9, 1, v9
	v_bitop3_b32 v6, v6, 1, v1 bitop3:0x80
	v_and_b32_e32 v1, 0xff, v1
	s_delay_alu instid0(VALU_DEP_3) | instskip(NEXT) | instid1(VALU_DEP_3)
	v_cmp_eq_u32_e32 vcc_lo, 1, v9
	v_cmp_eq_u32_e64 s2, 0, v6
	v_dual_cndmask_b32 v2, v4, v2 :: v_dual_cndmask_b32 v3, v5, v3
	s_delay_alu instid0(VALU_DEP_4) | instskip(NEXT) | instid1(VALU_DEP_1)
	v_cndmask_b32_e64 v1, v1, 1, vcc_lo
	v_dual_cndmask_b32 v6, 1, v1, s2 :: v_dual_cndmask_b32 v2, v10, v2, s2
	s_delay_alu instid0(VALU_DEP_3)
	v_cndmask_b32_e64 v3, v11, v3, s2
.LBB19_30:
	s_or_b32 exec_lo, exec_lo, s7
	s_wait_dscnt 0x0
	v_dual_add_nc_u32 v7, 2, v7 :: v_dual_bitop2_b32 v5, 8, v8 bitop3:0x54
	ds_bpermute_b32 v1, v5, v6
	ds_bpermute_b32 v4, v5, v2
	;; [unrolled: 1-line block ×3, first 2 shown]
	v_cmp_gt_u32_e32 vcc_lo, s3, v7
	s_and_saveexec_b32 s3, vcc_lo
	s_cbranch_execz .LBB19_32
; %bb.31:
	s_wait_dscnt 0x0
	v_min_i64 v[8:9], v[4:5], v[2:3]
	v_and_b32_e32 v7, 1, v6
	v_bitop3_b32 v6, v6, 1, v1 bitop3:0x80
	s_delay_alu instid0(VALU_DEP_2) | instskip(NEXT) | instid1(VALU_DEP_2)
	v_cmp_eq_u32_e32 vcc_lo, 1, v7
	v_cmp_eq_u32_e64 s2, 0, v6
	v_dual_cndmask_b32 v3, v5, v3 :: v_dual_cndmask_b32 v2, v4, v2
	v_cndmask_b32_e64 v1, v1, 1, vcc_lo
	s_delay_alu instid0(VALU_DEP_1) | instskip(NEXT) | instid1(VALU_DEP_3)
	v_dual_cndmask_b32 v6, 1, v1, s2 :: v_dual_cndmask_b32 v3, v9, v3, s2
	v_cndmask_b32_e64 v2, v8, v2, s2
.LBB19_32:
	s_or_b32 exec_lo, exec_lo, s3
.LBB19_33:
	s_delay_alu instid0(SALU_CYCLE_1)
	s_or_b32 exec_lo, exec_lo, s6
.LBB19_34:
	s_wait_xcnt 0x0
	s_load_b32 s0, s[0:1], 0x30
	s_wait_xcnt 0x0
	s_mov_b32 s1, exec_lo
	v_cmpx_eq_u32_e32 0, v0
	s_cbranch_execz .LBB19_36
; %bb.35:
	s_mul_u64 s[2:3], s[14:15], s[12:13]
	s_delay_alu instid0(SALU_CYCLE_1)
	s_lshl_b64 s[2:3], s[2:3], 4
	s_cmp_eq_u64 s[8:9], 0
	s_add_nc_u64 s[2:3], s[10:11], s[2:3]
	s_cselect_b32 s1, -1, 0
	s_wait_dscnt 0x2
	s_wait_kmcnt 0x0
	v_cndmask_b32_e64 v1, v3, s5, s1
	v_cndmask_b32_e64 v0, v2, s4, s1
	;; [unrolled: 1-line block ×3, first 2 shown]
	v_mov_b32_e32 v3, 0
	s_lshl_b64 s[0:1], s[16:17], 4
	s_delay_alu instid0(SALU_CYCLE_1)
	s_add_nc_u64 s[0:1], s[2:3], s[0:1]
	s_clause 0x1
	global_store_b8 v3, v2, s[0:1]
	global_store_b64 v3, v[0:1], s[0:1] offset:8
.LBB19_36:
	s_endpgm
	.section	.rodata,"a",@progbits
	.p2align	6, 0x0
	.amdhsa_kernel _ZN7rocprim17ROCPRIM_400000_NS6detail17trampoline_kernelINS0_14default_configENS1_22reduce_config_selectorIN6thrust23THRUST_200600_302600_NS5tupleIblNS6_9null_typeES8_S8_S8_S8_S8_S8_S8_EEEEZNS1_11reduce_implILb1ES3_PS9_SC_S9_NS6_11hip_rocprim9__find_if7functorIS9_EEEE10hipError_tPvRmT1_T2_T3_mT4_P12ihipStream_tbEUlT_E0_NS1_11comp_targetILNS1_3genE0ELNS1_11target_archE4294967295ELNS1_3gpuE0ELNS1_3repE0EEENS1_30default_config_static_selectorELNS0_4arch9wavefront6targetE0EEEvSK_
		.amdhsa_group_segment_fixed_size 128
		.amdhsa_private_segment_fixed_size 0
		.amdhsa_kernarg_size 72
		.amdhsa_user_sgpr_count 2
		.amdhsa_user_sgpr_dispatch_ptr 0
		.amdhsa_user_sgpr_queue_ptr 0
		.amdhsa_user_sgpr_kernarg_segment_ptr 1
		.amdhsa_user_sgpr_dispatch_id 0
		.amdhsa_user_sgpr_kernarg_preload_length 0
		.amdhsa_user_sgpr_kernarg_preload_offset 0
		.amdhsa_user_sgpr_private_segment_size 0
		.amdhsa_wavefront_size32 1
		.amdhsa_uses_dynamic_stack 0
		.amdhsa_enable_private_segment 0
		.amdhsa_system_sgpr_workgroup_id_x 1
		.amdhsa_system_sgpr_workgroup_id_y 0
		.amdhsa_system_sgpr_workgroup_id_z 0
		.amdhsa_system_sgpr_workgroup_info 0
		.amdhsa_system_vgpr_workitem_id 0
		.amdhsa_next_free_vgpr 13
		.amdhsa_next_free_sgpr 20
		.amdhsa_named_barrier_count 0
		.amdhsa_reserve_vcc 1
		.amdhsa_float_round_mode_32 0
		.amdhsa_float_round_mode_16_64 0
		.amdhsa_float_denorm_mode_32 3
		.amdhsa_float_denorm_mode_16_64 3
		.amdhsa_fp16_overflow 0
		.amdhsa_memory_ordered 1
		.amdhsa_forward_progress 1
		.amdhsa_inst_pref_size 22
		.amdhsa_round_robin_scheduling 0
		.amdhsa_exception_fp_ieee_invalid_op 0
		.amdhsa_exception_fp_denorm_src 0
		.amdhsa_exception_fp_ieee_div_zero 0
		.amdhsa_exception_fp_ieee_overflow 0
		.amdhsa_exception_fp_ieee_underflow 0
		.amdhsa_exception_fp_ieee_inexact 0
		.amdhsa_exception_int_div_zero 0
	.end_amdhsa_kernel
	.section	.text._ZN7rocprim17ROCPRIM_400000_NS6detail17trampoline_kernelINS0_14default_configENS1_22reduce_config_selectorIN6thrust23THRUST_200600_302600_NS5tupleIblNS6_9null_typeES8_S8_S8_S8_S8_S8_S8_EEEEZNS1_11reduce_implILb1ES3_PS9_SC_S9_NS6_11hip_rocprim9__find_if7functorIS9_EEEE10hipError_tPvRmT1_T2_T3_mT4_P12ihipStream_tbEUlT_E0_NS1_11comp_targetILNS1_3genE0ELNS1_11target_archE4294967295ELNS1_3gpuE0ELNS1_3repE0EEENS1_30default_config_static_selectorELNS0_4arch9wavefront6targetE0EEEvSK_,"axG",@progbits,_ZN7rocprim17ROCPRIM_400000_NS6detail17trampoline_kernelINS0_14default_configENS1_22reduce_config_selectorIN6thrust23THRUST_200600_302600_NS5tupleIblNS6_9null_typeES8_S8_S8_S8_S8_S8_S8_EEEEZNS1_11reduce_implILb1ES3_PS9_SC_S9_NS6_11hip_rocprim9__find_if7functorIS9_EEEE10hipError_tPvRmT1_T2_T3_mT4_P12ihipStream_tbEUlT_E0_NS1_11comp_targetILNS1_3genE0ELNS1_11target_archE4294967295ELNS1_3gpuE0ELNS1_3repE0EEENS1_30default_config_static_selectorELNS0_4arch9wavefront6targetE0EEEvSK_,comdat
.Lfunc_end19:
	.size	_ZN7rocprim17ROCPRIM_400000_NS6detail17trampoline_kernelINS0_14default_configENS1_22reduce_config_selectorIN6thrust23THRUST_200600_302600_NS5tupleIblNS6_9null_typeES8_S8_S8_S8_S8_S8_S8_EEEEZNS1_11reduce_implILb1ES3_PS9_SC_S9_NS6_11hip_rocprim9__find_if7functorIS9_EEEE10hipError_tPvRmT1_T2_T3_mT4_P12ihipStream_tbEUlT_E0_NS1_11comp_targetILNS1_3genE0ELNS1_11target_archE4294967295ELNS1_3gpuE0ELNS1_3repE0EEENS1_30default_config_static_selectorELNS0_4arch9wavefront6targetE0EEEvSK_, .Lfunc_end19-_ZN7rocprim17ROCPRIM_400000_NS6detail17trampoline_kernelINS0_14default_configENS1_22reduce_config_selectorIN6thrust23THRUST_200600_302600_NS5tupleIblNS6_9null_typeES8_S8_S8_S8_S8_S8_S8_EEEEZNS1_11reduce_implILb1ES3_PS9_SC_S9_NS6_11hip_rocprim9__find_if7functorIS9_EEEE10hipError_tPvRmT1_T2_T3_mT4_P12ihipStream_tbEUlT_E0_NS1_11comp_targetILNS1_3genE0ELNS1_11target_archE4294967295ELNS1_3gpuE0ELNS1_3repE0EEENS1_30default_config_static_selectorELNS0_4arch9wavefront6targetE0EEEvSK_
                                        ; -- End function
	.set _ZN7rocprim17ROCPRIM_400000_NS6detail17trampoline_kernelINS0_14default_configENS1_22reduce_config_selectorIN6thrust23THRUST_200600_302600_NS5tupleIblNS6_9null_typeES8_S8_S8_S8_S8_S8_S8_EEEEZNS1_11reduce_implILb1ES3_PS9_SC_S9_NS6_11hip_rocprim9__find_if7functorIS9_EEEE10hipError_tPvRmT1_T2_T3_mT4_P12ihipStream_tbEUlT_E0_NS1_11comp_targetILNS1_3genE0ELNS1_11target_archE4294967295ELNS1_3gpuE0ELNS1_3repE0EEENS1_30default_config_static_selectorELNS0_4arch9wavefront6targetE0EEEvSK_.num_vgpr, 13
	.set _ZN7rocprim17ROCPRIM_400000_NS6detail17trampoline_kernelINS0_14default_configENS1_22reduce_config_selectorIN6thrust23THRUST_200600_302600_NS5tupleIblNS6_9null_typeES8_S8_S8_S8_S8_S8_S8_EEEEZNS1_11reduce_implILb1ES3_PS9_SC_S9_NS6_11hip_rocprim9__find_if7functorIS9_EEEE10hipError_tPvRmT1_T2_T3_mT4_P12ihipStream_tbEUlT_E0_NS1_11comp_targetILNS1_3genE0ELNS1_11target_archE4294967295ELNS1_3gpuE0ELNS1_3repE0EEENS1_30default_config_static_selectorELNS0_4arch9wavefront6targetE0EEEvSK_.num_agpr, 0
	.set _ZN7rocprim17ROCPRIM_400000_NS6detail17trampoline_kernelINS0_14default_configENS1_22reduce_config_selectorIN6thrust23THRUST_200600_302600_NS5tupleIblNS6_9null_typeES8_S8_S8_S8_S8_S8_S8_EEEEZNS1_11reduce_implILb1ES3_PS9_SC_S9_NS6_11hip_rocprim9__find_if7functorIS9_EEEE10hipError_tPvRmT1_T2_T3_mT4_P12ihipStream_tbEUlT_E0_NS1_11comp_targetILNS1_3genE0ELNS1_11target_archE4294967295ELNS1_3gpuE0ELNS1_3repE0EEENS1_30default_config_static_selectorELNS0_4arch9wavefront6targetE0EEEvSK_.numbered_sgpr, 20
	.set _ZN7rocprim17ROCPRIM_400000_NS6detail17trampoline_kernelINS0_14default_configENS1_22reduce_config_selectorIN6thrust23THRUST_200600_302600_NS5tupleIblNS6_9null_typeES8_S8_S8_S8_S8_S8_S8_EEEEZNS1_11reduce_implILb1ES3_PS9_SC_S9_NS6_11hip_rocprim9__find_if7functorIS9_EEEE10hipError_tPvRmT1_T2_T3_mT4_P12ihipStream_tbEUlT_E0_NS1_11comp_targetILNS1_3genE0ELNS1_11target_archE4294967295ELNS1_3gpuE0ELNS1_3repE0EEENS1_30default_config_static_selectorELNS0_4arch9wavefront6targetE0EEEvSK_.num_named_barrier, 0
	.set _ZN7rocprim17ROCPRIM_400000_NS6detail17trampoline_kernelINS0_14default_configENS1_22reduce_config_selectorIN6thrust23THRUST_200600_302600_NS5tupleIblNS6_9null_typeES8_S8_S8_S8_S8_S8_S8_EEEEZNS1_11reduce_implILb1ES3_PS9_SC_S9_NS6_11hip_rocprim9__find_if7functorIS9_EEEE10hipError_tPvRmT1_T2_T3_mT4_P12ihipStream_tbEUlT_E0_NS1_11comp_targetILNS1_3genE0ELNS1_11target_archE4294967295ELNS1_3gpuE0ELNS1_3repE0EEENS1_30default_config_static_selectorELNS0_4arch9wavefront6targetE0EEEvSK_.private_seg_size, 0
	.set _ZN7rocprim17ROCPRIM_400000_NS6detail17trampoline_kernelINS0_14default_configENS1_22reduce_config_selectorIN6thrust23THRUST_200600_302600_NS5tupleIblNS6_9null_typeES8_S8_S8_S8_S8_S8_S8_EEEEZNS1_11reduce_implILb1ES3_PS9_SC_S9_NS6_11hip_rocprim9__find_if7functorIS9_EEEE10hipError_tPvRmT1_T2_T3_mT4_P12ihipStream_tbEUlT_E0_NS1_11comp_targetILNS1_3genE0ELNS1_11target_archE4294967295ELNS1_3gpuE0ELNS1_3repE0EEENS1_30default_config_static_selectorELNS0_4arch9wavefront6targetE0EEEvSK_.uses_vcc, 1
	.set _ZN7rocprim17ROCPRIM_400000_NS6detail17trampoline_kernelINS0_14default_configENS1_22reduce_config_selectorIN6thrust23THRUST_200600_302600_NS5tupleIblNS6_9null_typeES8_S8_S8_S8_S8_S8_S8_EEEEZNS1_11reduce_implILb1ES3_PS9_SC_S9_NS6_11hip_rocprim9__find_if7functorIS9_EEEE10hipError_tPvRmT1_T2_T3_mT4_P12ihipStream_tbEUlT_E0_NS1_11comp_targetILNS1_3genE0ELNS1_11target_archE4294967295ELNS1_3gpuE0ELNS1_3repE0EEENS1_30default_config_static_selectorELNS0_4arch9wavefront6targetE0EEEvSK_.uses_flat_scratch, 0
	.set _ZN7rocprim17ROCPRIM_400000_NS6detail17trampoline_kernelINS0_14default_configENS1_22reduce_config_selectorIN6thrust23THRUST_200600_302600_NS5tupleIblNS6_9null_typeES8_S8_S8_S8_S8_S8_S8_EEEEZNS1_11reduce_implILb1ES3_PS9_SC_S9_NS6_11hip_rocprim9__find_if7functorIS9_EEEE10hipError_tPvRmT1_T2_T3_mT4_P12ihipStream_tbEUlT_E0_NS1_11comp_targetILNS1_3genE0ELNS1_11target_archE4294967295ELNS1_3gpuE0ELNS1_3repE0EEENS1_30default_config_static_selectorELNS0_4arch9wavefront6targetE0EEEvSK_.has_dyn_sized_stack, 0
	.set _ZN7rocprim17ROCPRIM_400000_NS6detail17trampoline_kernelINS0_14default_configENS1_22reduce_config_selectorIN6thrust23THRUST_200600_302600_NS5tupleIblNS6_9null_typeES8_S8_S8_S8_S8_S8_S8_EEEEZNS1_11reduce_implILb1ES3_PS9_SC_S9_NS6_11hip_rocprim9__find_if7functorIS9_EEEE10hipError_tPvRmT1_T2_T3_mT4_P12ihipStream_tbEUlT_E0_NS1_11comp_targetILNS1_3genE0ELNS1_11target_archE4294967295ELNS1_3gpuE0ELNS1_3repE0EEENS1_30default_config_static_selectorELNS0_4arch9wavefront6targetE0EEEvSK_.has_recursion, 0
	.set _ZN7rocprim17ROCPRIM_400000_NS6detail17trampoline_kernelINS0_14default_configENS1_22reduce_config_selectorIN6thrust23THRUST_200600_302600_NS5tupleIblNS6_9null_typeES8_S8_S8_S8_S8_S8_S8_EEEEZNS1_11reduce_implILb1ES3_PS9_SC_S9_NS6_11hip_rocprim9__find_if7functorIS9_EEEE10hipError_tPvRmT1_T2_T3_mT4_P12ihipStream_tbEUlT_E0_NS1_11comp_targetILNS1_3genE0ELNS1_11target_archE4294967295ELNS1_3gpuE0ELNS1_3repE0EEENS1_30default_config_static_selectorELNS0_4arch9wavefront6targetE0EEEvSK_.has_indirect_call, 0
	.section	.AMDGPU.csdata,"",@progbits
; Kernel info:
; codeLenInByte = 2804
; TotalNumSgprs: 22
; NumVgprs: 13
; ScratchSize: 0
; MemoryBound: 0
; FloatMode: 240
; IeeeMode: 1
; LDSByteSize: 128 bytes/workgroup (compile time only)
; SGPRBlocks: 0
; VGPRBlocks: 0
; NumSGPRsForWavesPerEU: 22
; NumVGPRsForWavesPerEU: 13
; NamedBarCnt: 0
; Occupancy: 16
; WaveLimiterHint : 1
; COMPUTE_PGM_RSRC2:SCRATCH_EN: 0
; COMPUTE_PGM_RSRC2:USER_SGPR: 2
; COMPUTE_PGM_RSRC2:TRAP_HANDLER: 0
; COMPUTE_PGM_RSRC2:TGID_X_EN: 1
; COMPUTE_PGM_RSRC2:TGID_Y_EN: 0
; COMPUTE_PGM_RSRC2:TGID_Z_EN: 0
; COMPUTE_PGM_RSRC2:TIDIG_COMP_CNT: 0
	.section	.text._ZN7rocprim17ROCPRIM_400000_NS6detail17trampoline_kernelINS0_14default_configENS1_22reduce_config_selectorIN6thrust23THRUST_200600_302600_NS5tupleIblNS6_9null_typeES8_S8_S8_S8_S8_S8_S8_EEEEZNS1_11reduce_implILb1ES3_PS9_SC_S9_NS6_11hip_rocprim9__find_if7functorIS9_EEEE10hipError_tPvRmT1_T2_T3_mT4_P12ihipStream_tbEUlT_E0_NS1_11comp_targetILNS1_3genE5ELNS1_11target_archE942ELNS1_3gpuE9ELNS1_3repE0EEENS1_30default_config_static_selectorELNS0_4arch9wavefront6targetE0EEEvSK_,"axG",@progbits,_ZN7rocprim17ROCPRIM_400000_NS6detail17trampoline_kernelINS0_14default_configENS1_22reduce_config_selectorIN6thrust23THRUST_200600_302600_NS5tupleIblNS6_9null_typeES8_S8_S8_S8_S8_S8_S8_EEEEZNS1_11reduce_implILb1ES3_PS9_SC_S9_NS6_11hip_rocprim9__find_if7functorIS9_EEEE10hipError_tPvRmT1_T2_T3_mT4_P12ihipStream_tbEUlT_E0_NS1_11comp_targetILNS1_3genE5ELNS1_11target_archE942ELNS1_3gpuE9ELNS1_3repE0EEENS1_30default_config_static_selectorELNS0_4arch9wavefront6targetE0EEEvSK_,comdat
	.protected	_ZN7rocprim17ROCPRIM_400000_NS6detail17trampoline_kernelINS0_14default_configENS1_22reduce_config_selectorIN6thrust23THRUST_200600_302600_NS5tupleIblNS6_9null_typeES8_S8_S8_S8_S8_S8_S8_EEEEZNS1_11reduce_implILb1ES3_PS9_SC_S9_NS6_11hip_rocprim9__find_if7functorIS9_EEEE10hipError_tPvRmT1_T2_T3_mT4_P12ihipStream_tbEUlT_E0_NS1_11comp_targetILNS1_3genE5ELNS1_11target_archE942ELNS1_3gpuE9ELNS1_3repE0EEENS1_30default_config_static_selectorELNS0_4arch9wavefront6targetE0EEEvSK_ ; -- Begin function _ZN7rocprim17ROCPRIM_400000_NS6detail17trampoline_kernelINS0_14default_configENS1_22reduce_config_selectorIN6thrust23THRUST_200600_302600_NS5tupleIblNS6_9null_typeES8_S8_S8_S8_S8_S8_S8_EEEEZNS1_11reduce_implILb1ES3_PS9_SC_S9_NS6_11hip_rocprim9__find_if7functorIS9_EEEE10hipError_tPvRmT1_T2_T3_mT4_P12ihipStream_tbEUlT_E0_NS1_11comp_targetILNS1_3genE5ELNS1_11target_archE942ELNS1_3gpuE9ELNS1_3repE0EEENS1_30default_config_static_selectorELNS0_4arch9wavefront6targetE0EEEvSK_
	.globl	_ZN7rocprim17ROCPRIM_400000_NS6detail17trampoline_kernelINS0_14default_configENS1_22reduce_config_selectorIN6thrust23THRUST_200600_302600_NS5tupleIblNS6_9null_typeES8_S8_S8_S8_S8_S8_S8_EEEEZNS1_11reduce_implILb1ES3_PS9_SC_S9_NS6_11hip_rocprim9__find_if7functorIS9_EEEE10hipError_tPvRmT1_T2_T3_mT4_P12ihipStream_tbEUlT_E0_NS1_11comp_targetILNS1_3genE5ELNS1_11target_archE942ELNS1_3gpuE9ELNS1_3repE0EEENS1_30default_config_static_selectorELNS0_4arch9wavefront6targetE0EEEvSK_
	.p2align	8
	.type	_ZN7rocprim17ROCPRIM_400000_NS6detail17trampoline_kernelINS0_14default_configENS1_22reduce_config_selectorIN6thrust23THRUST_200600_302600_NS5tupleIblNS6_9null_typeES8_S8_S8_S8_S8_S8_S8_EEEEZNS1_11reduce_implILb1ES3_PS9_SC_S9_NS6_11hip_rocprim9__find_if7functorIS9_EEEE10hipError_tPvRmT1_T2_T3_mT4_P12ihipStream_tbEUlT_E0_NS1_11comp_targetILNS1_3genE5ELNS1_11target_archE942ELNS1_3gpuE9ELNS1_3repE0EEENS1_30default_config_static_selectorELNS0_4arch9wavefront6targetE0EEEvSK_,@function
_ZN7rocprim17ROCPRIM_400000_NS6detail17trampoline_kernelINS0_14default_configENS1_22reduce_config_selectorIN6thrust23THRUST_200600_302600_NS5tupleIblNS6_9null_typeES8_S8_S8_S8_S8_S8_S8_EEEEZNS1_11reduce_implILb1ES3_PS9_SC_S9_NS6_11hip_rocprim9__find_if7functorIS9_EEEE10hipError_tPvRmT1_T2_T3_mT4_P12ihipStream_tbEUlT_E0_NS1_11comp_targetILNS1_3genE5ELNS1_11target_archE942ELNS1_3gpuE9ELNS1_3repE0EEENS1_30default_config_static_selectorELNS0_4arch9wavefront6targetE0EEEvSK_: ; @_ZN7rocprim17ROCPRIM_400000_NS6detail17trampoline_kernelINS0_14default_configENS1_22reduce_config_selectorIN6thrust23THRUST_200600_302600_NS5tupleIblNS6_9null_typeES8_S8_S8_S8_S8_S8_S8_EEEEZNS1_11reduce_implILb1ES3_PS9_SC_S9_NS6_11hip_rocprim9__find_if7functorIS9_EEEE10hipError_tPvRmT1_T2_T3_mT4_P12ihipStream_tbEUlT_E0_NS1_11comp_targetILNS1_3genE5ELNS1_11target_archE942ELNS1_3gpuE9ELNS1_3repE0EEENS1_30default_config_static_selectorELNS0_4arch9wavefront6targetE0EEEvSK_
; %bb.0:
	.section	.rodata,"a",@progbits
	.p2align	6, 0x0
	.amdhsa_kernel _ZN7rocprim17ROCPRIM_400000_NS6detail17trampoline_kernelINS0_14default_configENS1_22reduce_config_selectorIN6thrust23THRUST_200600_302600_NS5tupleIblNS6_9null_typeES8_S8_S8_S8_S8_S8_S8_EEEEZNS1_11reduce_implILb1ES3_PS9_SC_S9_NS6_11hip_rocprim9__find_if7functorIS9_EEEE10hipError_tPvRmT1_T2_T3_mT4_P12ihipStream_tbEUlT_E0_NS1_11comp_targetILNS1_3genE5ELNS1_11target_archE942ELNS1_3gpuE9ELNS1_3repE0EEENS1_30default_config_static_selectorELNS0_4arch9wavefront6targetE0EEEvSK_
		.amdhsa_group_segment_fixed_size 0
		.amdhsa_private_segment_fixed_size 0
		.amdhsa_kernarg_size 72
		.amdhsa_user_sgpr_count 2
		.amdhsa_user_sgpr_dispatch_ptr 0
		.amdhsa_user_sgpr_queue_ptr 0
		.amdhsa_user_sgpr_kernarg_segment_ptr 1
		.amdhsa_user_sgpr_dispatch_id 0
		.amdhsa_user_sgpr_kernarg_preload_length 0
		.amdhsa_user_sgpr_kernarg_preload_offset 0
		.amdhsa_user_sgpr_private_segment_size 0
		.amdhsa_wavefront_size32 1
		.amdhsa_uses_dynamic_stack 0
		.amdhsa_enable_private_segment 0
		.amdhsa_system_sgpr_workgroup_id_x 1
		.amdhsa_system_sgpr_workgroup_id_y 0
		.amdhsa_system_sgpr_workgroup_id_z 0
		.amdhsa_system_sgpr_workgroup_info 0
		.amdhsa_system_vgpr_workitem_id 0
		.amdhsa_next_free_vgpr 1
		.amdhsa_next_free_sgpr 1
		.amdhsa_named_barrier_count 0
		.amdhsa_reserve_vcc 0
		.amdhsa_float_round_mode_32 0
		.amdhsa_float_round_mode_16_64 0
		.amdhsa_float_denorm_mode_32 3
		.amdhsa_float_denorm_mode_16_64 3
		.amdhsa_fp16_overflow 0
		.amdhsa_memory_ordered 1
		.amdhsa_forward_progress 1
		.amdhsa_inst_pref_size 0
		.amdhsa_round_robin_scheduling 0
		.amdhsa_exception_fp_ieee_invalid_op 0
		.amdhsa_exception_fp_denorm_src 0
		.amdhsa_exception_fp_ieee_div_zero 0
		.amdhsa_exception_fp_ieee_overflow 0
		.amdhsa_exception_fp_ieee_underflow 0
		.amdhsa_exception_fp_ieee_inexact 0
		.amdhsa_exception_int_div_zero 0
	.end_amdhsa_kernel
	.section	.text._ZN7rocprim17ROCPRIM_400000_NS6detail17trampoline_kernelINS0_14default_configENS1_22reduce_config_selectorIN6thrust23THRUST_200600_302600_NS5tupleIblNS6_9null_typeES8_S8_S8_S8_S8_S8_S8_EEEEZNS1_11reduce_implILb1ES3_PS9_SC_S9_NS6_11hip_rocprim9__find_if7functorIS9_EEEE10hipError_tPvRmT1_T2_T3_mT4_P12ihipStream_tbEUlT_E0_NS1_11comp_targetILNS1_3genE5ELNS1_11target_archE942ELNS1_3gpuE9ELNS1_3repE0EEENS1_30default_config_static_selectorELNS0_4arch9wavefront6targetE0EEEvSK_,"axG",@progbits,_ZN7rocprim17ROCPRIM_400000_NS6detail17trampoline_kernelINS0_14default_configENS1_22reduce_config_selectorIN6thrust23THRUST_200600_302600_NS5tupleIblNS6_9null_typeES8_S8_S8_S8_S8_S8_S8_EEEEZNS1_11reduce_implILb1ES3_PS9_SC_S9_NS6_11hip_rocprim9__find_if7functorIS9_EEEE10hipError_tPvRmT1_T2_T3_mT4_P12ihipStream_tbEUlT_E0_NS1_11comp_targetILNS1_3genE5ELNS1_11target_archE942ELNS1_3gpuE9ELNS1_3repE0EEENS1_30default_config_static_selectorELNS0_4arch9wavefront6targetE0EEEvSK_,comdat
.Lfunc_end20:
	.size	_ZN7rocprim17ROCPRIM_400000_NS6detail17trampoline_kernelINS0_14default_configENS1_22reduce_config_selectorIN6thrust23THRUST_200600_302600_NS5tupleIblNS6_9null_typeES8_S8_S8_S8_S8_S8_S8_EEEEZNS1_11reduce_implILb1ES3_PS9_SC_S9_NS6_11hip_rocprim9__find_if7functorIS9_EEEE10hipError_tPvRmT1_T2_T3_mT4_P12ihipStream_tbEUlT_E0_NS1_11comp_targetILNS1_3genE5ELNS1_11target_archE942ELNS1_3gpuE9ELNS1_3repE0EEENS1_30default_config_static_selectorELNS0_4arch9wavefront6targetE0EEEvSK_, .Lfunc_end20-_ZN7rocprim17ROCPRIM_400000_NS6detail17trampoline_kernelINS0_14default_configENS1_22reduce_config_selectorIN6thrust23THRUST_200600_302600_NS5tupleIblNS6_9null_typeES8_S8_S8_S8_S8_S8_S8_EEEEZNS1_11reduce_implILb1ES3_PS9_SC_S9_NS6_11hip_rocprim9__find_if7functorIS9_EEEE10hipError_tPvRmT1_T2_T3_mT4_P12ihipStream_tbEUlT_E0_NS1_11comp_targetILNS1_3genE5ELNS1_11target_archE942ELNS1_3gpuE9ELNS1_3repE0EEENS1_30default_config_static_selectorELNS0_4arch9wavefront6targetE0EEEvSK_
                                        ; -- End function
	.set _ZN7rocprim17ROCPRIM_400000_NS6detail17trampoline_kernelINS0_14default_configENS1_22reduce_config_selectorIN6thrust23THRUST_200600_302600_NS5tupleIblNS6_9null_typeES8_S8_S8_S8_S8_S8_S8_EEEEZNS1_11reduce_implILb1ES3_PS9_SC_S9_NS6_11hip_rocprim9__find_if7functorIS9_EEEE10hipError_tPvRmT1_T2_T3_mT4_P12ihipStream_tbEUlT_E0_NS1_11comp_targetILNS1_3genE5ELNS1_11target_archE942ELNS1_3gpuE9ELNS1_3repE0EEENS1_30default_config_static_selectorELNS0_4arch9wavefront6targetE0EEEvSK_.num_vgpr, 0
	.set _ZN7rocprim17ROCPRIM_400000_NS6detail17trampoline_kernelINS0_14default_configENS1_22reduce_config_selectorIN6thrust23THRUST_200600_302600_NS5tupleIblNS6_9null_typeES8_S8_S8_S8_S8_S8_S8_EEEEZNS1_11reduce_implILb1ES3_PS9_SC_S9_NS6_11hip_rocprim9__find_if7functorIS9_EEEE10hipError_tPvRmT1_T2_T3_mT4_P12ihipStream_tbEUlT_E0_NS1_11comp_targetILNS1_3genE5ELNS1_11target_archE942ELNS1_3gpuE9ELNS1_3repE0EEENS1_30default_config_static_selectorELNS0_4arch9wavefront6targetE0EEEvSK_.num_agpr, 0
	.set _ZN7rocprim17ROCPRIM_400000_NS6detail17trampoline_kernelINS0_14default_configENS1_22reduce_config_selectorIN6thrust23THRUST_200600_302600_NS5tupleIblNS6_9null_typeES8_S8_S8_S8_S8_S8_S8_EEEEZNS1_11reduce_implILb1ES3_PS9_SC_S9_NS6_11hip_rocprim9__find_if7functorIS9_EEEE10hipError_tPvRmT1_T2_T3_mT4_P12ihipStream_tbEUlT_E0_NS1_11comp_targetILNS1_3genE5ELNS1_11target_archE942ELNS1_3gpuE9ELNS1_3repE0EEENS1_30default_config_static_selectorELNS0_4arch9wavefront6targetE0EEEvSK_.numbered_sgpr, 0
	.set _ZN7rocprim17ROCPRIM_400000_NS6detail17trampoline_kernelINS0_14default_configENS1_22reduce_config_selectorIN6thrust23THRUST_200600_302600_NS5tupleIblNS6_9null_typeES8_S8_S8_S8_S8_S8_S8_EEEEZNS1_11reduce_implILb1ES3_PS9_SC_S9_NS6_11hip_rocprim9__find_if7functorIS9_EEEE10hipError_tPvRmT1_T2_T3_mT4_P12ihipStream_tbEUlT_E0_NS1_11comp_targetILNS1_3genE5ELNS1_11target_archE942ELNS1_3gpuE9ELNS1_3repE0EEENS1_30default_config_static_selectorELNS0_4arch9wavefront6targetE0EEEvSK_.num_named_barrier, 0
	.set _ZN7rocprim17ROCPRIM_400000_NS6detail17trampoline_kernelINS0_14default_configENS1_22reduce_config_selectorIN6thrust23THRUST_200600_302600_NS5tupleIblNS6_9null_typeES8_S8_S8_S8_S8_S8_S8_EEEEZNS1_11reduce_implILb1ES3_PS9_SC_S9_NS6_11hip_rocprim9__find_if7functorIS9_EEEE10hipError_tPvRmT1_T2_T3_mT4_P12ihipStream_tbEUlT_E0_NS1_11comp_targetILNS1_3genE5ELNS1_11target_archE942ELNS1_3gpuE9ELNS1_3repE0EEENS1_30default_config_static_selectorELNS0_4arch9wavefront6targetE0EEEvSK_.private_seg_size, 0
	.set _ZN7rocprim17ROCPRIM_400000_NS6detail17trampoline_kernelINS0_14default_configENS1_22reduce_config_selectorIN6thrust23THRUST_200600_302600_NS5tupleIblNS6_9null_typeES8_S8_S8_S8_S8_S8_S8_EEEEZNS1_11reduce_implILb1ES3_PS9_SC_S9_NS6_11hip_rocprim9__find_if7functorIS9_EEEE10hipError_tPvRmT1_T2_T3_mT4_P12ihipStream_tbEUlT_E0_NS1_11comp_targetILNS1_3genE5ELNS1_11target_archE942ELNS1_3gpuE9ELNS1_3repE0EEENS1_30default_config_static_selectorELNS0_4arch9wavefront6targetE0EEEvSK_.uses_vcc, 0
	.set _ZN7rocprim17ROCPRIM_400000_NS6detail17trampoline_kernelINS0_14default_configENS1_22reduce_config_selectorIN6thrust23THRUST_200600_302600_NS5tupleIblNS6_9null_typeES8_S8_S8_S8_S8_S8_S8_EEEEZNS1_11reduce_implILb1ES3_PS9_SC_S9_NS6_11hip_rocprim9__find_if7functorIS9_EEEE10hipError_tPvRmT1_T2_T3_mT4_P12ihipStream_tbEUlT_E0_NS1_11comp_targetILNS1_3genE5ELNS1_11target_archE942ELNS1_3gpuE9ELNS1_3repE0EEENS1_30default_config_static_selectorELNS0_4arch9wavefront6targetE0EEEvSK_.uses_flat_scratch, 0
	.set _ZN7rocprim17ROCPRIM_400000_NS6detail17trampoline_kernelINS0_14default_configENS1_22reduce_config_selectorIN6thrust23THRUST_200600_302600_NS5tupleIblNS6_9null_typeES8_S8_S8_S8_S8_S8_S8_EEEEZNS1_11reduce_implILb1ES3_PS9_SC_S9_NS6_11hip_rocprim9__find_if7functorIS9_EEEE10hipError_tPvRmT1_T2_T3_mT4_P12ihipStream_tbEUlT_E0_NS1_11comp_targetILNS1_3genE5ELNS1_11target_archE942ELNS1_3gpuE9ELNS1_3repE0EEENS1_30default_config_static_selectorELNS0_4arch9wavefront6targetE0EEEvSK_.has_dyn_sized_stack, 0
	.set _ZN7rocprim17ROCPRIM_400000_NS6detail17trampoline_kernelINS0_14default_configENS1_22reduce_config_selectorIN6thrust23THRUST_200600_302600_NS5tupleIblNS6_9null_typeES8_S8_S8_S8_S8_S8_S8_EEEEZNS1_11reduce_implILb1ES3_PS9_SC_S9_NS6_11hip_rocprim9__find_if7functorIS9_EEEE10hipError_tPvRmT1_T2_T3_mT4_P12ihipStream_tbEUlT_E0_NS1_11comp_targetILNS1_3genE5ELNS1_11target_archE942ELNS1_3gpuE9ELNS1_3repE0EEENS1_30default_config_static_selectorELNS0_4arch9wavefront6targetE0EEEvSK_.has_recursion, 0
	.set _ZN7rocprim17ROCPRIM_400000_NS6detail17trampoline_kernelINS0_14default_configENS1_22reduce_config_selectorIN6thrust23THRUST_200600_302600_NS5tupleIblNS6_9null_typeES8_S8_S8_S8_S8_S8_S8_EEEEZNS1_11reduce_implILb1ES3_PS9_SC_S9_NS6_11hip_rocprim9__find_if7functorIS9_EEEE10hipError_tPvRmT1_T2_T3_mT4_P12ihipStream_tbEUlT_E0_NS1_11comp_targetILNS1_3genE5ELNS1_11target_archE942ELNS1_3gpuE9ELNS1_3repE0EEENS1_30default_config_static_selectorELNS0_4arch9wavefront6targetE0EEEvSK_.has_indirect_call, 0
	.section	.AMDGPU.csdata,"",@progbits
; Kernel info:
; codeLenInByte = 0
; TotalNumSgprs: 0
; NumVgprs: 0
; ScratchSize: 0
; MemoryBound: 0
; FloatMode: 240
; IeeeMode: 1
; LDSByteSize: 0 bytes/workgroup (compile time only)
; SGPRBlocks: 0
; VGPRBlocks: 0
; NumSGPRsForWavesPerEU: 1
; NumVGPRsForWavesPerEU: 1
; NamedBarCnt: 0
; Occupancy: 16
; WaveLimiterHint : 0
; COMPUTE_PGM_RSRC2:SCRATCH_EN: 0
; COMPUTE_PGM_RSRC2:USER_SGPR: 2
; COMPUTE_PGM_RSRC2:TRAP_HANDLER: 0
; COMPUTE_PGM_RSRC2:TGID_X_EN: 1
; COMPUTE_PGM_RSRC2:TGID_Y_EN: 0
; COMPUTE_PGM_RSRC2:TGID_Z_EN: 0
; COMPUTE_PGM_RSRC2:TIDIG_COMP_CNT: 0
	.section	.text._ZN7rocprim17ROCPRIM_400000_NS6detail17trampoline_kernelINS0_14default_configENS1_22reduce_config_selectorIN6thrust23THRUST_200600_302600_NS5tupleIblNS6_9null_typeES8_S8_S8_S8_S8_S8_S8_EEEEZNS1_11reduce_implILb1ES3_PS9_SC_S9_NS6_11hip_rocprim9__find_if7functorIS9_EEEE10hipError_tPvRmT1_T2_T3_mT4_P12ihipStream_tbEUlT_E0_NS1_11comp_targetILNS1_3genE4ELNS1_11target_archE910ELNS1_3gpuE8ELNS1_3repE0EEENS1_30default_config_static_selectorELNS0_4arch9wavefront6targetE0EEEvSK_,"axG",@progbits,_ZN7rocprim17ROCPRIM_400000_NS6detail17trampoline_kernelINS0_14default_configENS1_22reduce_config_selectorIN6thrust23THRUST_200600_302600_NS5tupleIblNS6_9null_typeES8_S8_S8_S8_S8_S8_S8_EEEEZNS1_11reduce_implILb1ES3_PS9_SC_S9_NS6_11hip_rocprim9__find_if7functorIS9_EEEE10hipError_tPvRmT1_T2_T3_mT4_P12ihipStream_tbEUlT_E0_NS1_11comp_targetILNS1_3genE4ELNS1_11target_archE910ELNS1_3gpuE8ELNS1_3repE0EEENS1_30default_config_static_selectorELNS0_4arch9wavefront6targetE0EEEvSK_,comdat
	.protected	_ZN7rocprim17ROCPRIM_400000_NS6detail17trampoline_kernelINS0_14default_configENS1_22reduce_config_selectorIN6thrust23THRUST_200600_302600_NS5tupleIblNS6_9null_typeES8_S8_S8_S8_S8_S8_S8_EEEEZNS1_11reduce_implILb1ES3_PS9_SC_S9_NS6_11hip_rocprim9__find_if7functorIS9_EEEE10hipError_tPvRmT1_T2_T3_mT4_P12ihipStream_tbEUlT_E0_NS1_11comp_targetILNS1_3genE4ELNS1_11target_archE910ELNS1_3gpuE8ELNS1_3repE0EEENS1_30default_config_static_selectorELNS0_4arch9wavefront6targetE0EEEvSK_ ; -- Begin function _ZN7rocprim17ROCPRIM_400000_NS6detail17trampoline_kernelINS0_14default_configENS1_22reduce_config_selectorIN6thrust23THRUST_200600_302600_NS5tupleIblNS6_9null_typeES8_S8_S8_S8_S8_S8_S8_EEEEZNS1_11reduce_implILb1ES3_PS9_SC_S9_NS6_11hip_rocprim9__find_if7functorIS9_EEEE10hipError_tPvRmT1_T2_T3_mT4_P12ihipStream_tbEUlT_E0_NS1_11comp_targetILNS1_3genE4ELNS1_11target_archE910ELNS1_3gpuE8ELNS1_3repE0EEENS1_30default_config_static_selectorELNS0_4arch9wavefront6targetE0EEEvSK_
	.globl	_ZN7rocprim17ROCPRIM_400000_NS6detail17trampoline_kernelINS0_14default_configENS1_22reduce_config_selectorIN6thrust23THRUST_200600_302600_NS5tupleIblNS6_9null_typeES8_S8_S8_S8_S8_S8_S8_EEEEZNS1_11reduce_implILb1ES3_PS9_SC_S9_NS6_11hip_rocprim9__find_if7functorIS9_EEEE10hipError_tPvRmT1_T2_T3_mT4_P12ihipStream_tbEUlT_E0_NS1_11comp_targetILNS1_3genE4ELNS1_11target_archE910ELNS1_3gpuE8ELNS1_3repE0EEENS1_30default_config_static_selectorELNS0_4arch9wavefront6targetE0EEEvSK_
	.p2align	8
	.type	_ZN7rocprim17ROCPRIM_400000_NS6detail17trampoline_kernelINS0_14default_configENS1_22reduce_config_selectorIN6thrust23THRUST_200600_302600_NS5tupleIblNS6_9null_typeES8_S8_S8_S8_S8_S8_S8_EEEEZNS1_11reduce_implILb1ES3_PS9_SC_S9_NS6_11hip_rocprim9__find_if7functorIS9_EEEE10hipError_tPvRmT1_T2_T3_mT4_P12ihipStream_tbEUlT_E0_NS1_11comp_targetILNS1_3genE4ELNS1_11target_archE910ELNS1_3gpuE8ELNS1_3repE0EEENS1_30default_config_static_selectorELNS0_4arch9wavefront6targetE0EEEvSK_,@function
_ZN7rocprim17ROCPRIM_400000_NS6detail17trampoline_kernelINS0_14default_configENS1_22reduce_config_selectorIN6thrust23THRUST_200600_302600_NS5tupleIblNS6_9null_typeES8_S8_S8_S8_S8_S8_S8_EEEEZNS1_11reduce_implILb1ES3_PS9_SC_S9_NS6_11hip_rocprim9__find_if7functorIS9_EEEE10hipError_tPvRmT1_T2_T3_mT4_P12ihipStream_tbEUlT_E0_NS1_11comp_targetILNS1_3genE4ELNS1_11target_archE910ELNS1_3gpuE8ELNS1_3repE0EEENS1_30default_config_static_selectorELNS0_4arch9wavefront6targetE0EEEvSK_: ; @_ZN7rocprim17ROCPRIM_400000_NS6detail17trampoline_kernelINS0_14default_configENS1_22reduce_config_selectorIN6thrust23THRUST_200600_302600_NS5tupleIblNS6_9null_typeES8_S8_S8_S8_S8_S8_S8_EEEEZNS1_11reduce_implILb1ES3_PS9_SC_S9_NS6_11hip_rocprim9__find_if7functorIS9_EEEE10hipError_tPvRmT1_T2_T3_mT4_P12ihipStream_tbEUlT_E0_NS1_11comp_targetILNS1_3genE4ELNS1_11target_archE910ELNS1_3gpuE8ELNS1_3repE0EEENS1_30default_config_static_selectorELNS0_4arch9wavefront6targetE0EEEvSK_
; %bb.0:
	.section	.rodata,"a",@progbits
	.p2align	6, 0x0
	.amdhsa_kernel _ZN7rocprim17ROCPRIM_400000_NS6detail17trampoline_kernelINS0_14default_configENS1_22reduce_config_selectorIN6thrust23THRUST_200600_302600_NS5tupleIblNS6_9null_typeES8_S8_S8_S8_S8_S8_S8_EEEEZNS1_11reduce_implILb1ES3_PS9_SC_S9_NS6_11hip_rocprim9__find_if7functorIS9_EEEE10hipError_tPvRmT1_T2_T3_mT4_P12ihipStream_tbEUlT_E0_NS1_11comp_targetILNS1_3genE4ELNS1_11target_archE910ELNS1_3gpuE8ELNS1_3repE0EEENS1_30default_config_static_selectorELNS0_4arch9wavefront6targetE0EEEvSK_
		.amdhsa_group_segment_fixed_size 0
		.amdhsa_private_segment_fixed_size 0
		.amdhsa_kernarg_size 72
		.amdhsa_user_sgpr_count 2
		.amdhsa_user_sgpr_dispatch_ptr 0
		.amdhsa_user_sgpr_queue_ptr 0
		.amdhsa_user_sgpr_kernarg_segment_ptr 1
		.amdhsa_user_sgpr_dispatch_id 0
		.amdhsa_user_sgpr_kernarg_preload_length 0
		.amdhsa_user_sgpr_kernarg_preload_offset 0
		.amdhsa_user_sgpr_private_segment_size 0
		.amdhsa_wavefront_size32 1
		.amdhsa_uses_dynamic_stack 0
		.amdhsa_enable_private_segment 0
		.amdhsa_system_sgpr_workgroup_id_x 1
		.amdhsa_system_sgpr_workgroup_id_y 0
		.amdhsa_system_sgpr_workgroup_id_z 0
		.amdhsa_system_sgpr_workgroup_info 0
		.amdhsa_system_vgpr_workitem_id 0
		.amdhsa_next_free_vgpr 1
		.amdhsa_next_free_sgpr 1
		.amdhsa_named_barrier_count 0
		.amdhsa_reserve_vcc 0
		.amdhsa_float_round_mode_32 0
		.amdhsa_float_round_mode_16_64 0
		.amdhsa_float_denorm_mode_32 3
		.amdhsa_float_denorm_mode_16_64 3
		.amdhsa_fp16_overflow 0
		.amdhsa_memory_ordered 1
		.amdhsa_forward_progress 1
		.amdhsa_inst_pref_size 0
		.amdhsa_round_robin_scheduling 0
		.amdhsa_exception_fp_ieee_invalid_op 0
		.amdhsa_exception_fp_denorm_src 0
		.amdhsa_exception_fp_ieee_div_zero 0
		.amdhsa_exception_fp_ieee_overflow 0
		.amdhsa_exception_fp_ieee_underflow 0
		.amdhsa_exception_fp_ieee_inexact 0
		.amdhsa_exception_int_div_zero 0
	.end_amdhsa_kernel
	.section	.text._ZN7rocprim17ROCPRIM_400000_NS6detail17trampoline_kernelINS0_14default_configENS1_22reduce_config_selectorIN6thrust23THRUST_200600_302600_NS5tupleIblNS6_9null_typeES8_S8_S8_S8_S8_S8_S8_EEEEZNS1_11reduce_implILb1ES3_PS9_SC_S9_NS6_11hip_rocprim9__find_if7functorIS9_EEEE10hipError_tPvRmT1_T2_T3_mT4_P12ihipStream_tbEUlT_E0_NS1_11comp_targetILNS1_3genE4ELNS1_11target_archE910ELNS1_3gpuE8ELNS1_3repE0EEENS1_30default_config_static_selectorELNS0_4arch9wavefront6targetE0EEEvSK_,"axG",@progbits,_ZN7rocprim17ROCPRIM_400000_NS6detail17trampoline_kernelINS0_14default_configENS1_22reduce_config_selectorIN6thrust23THRUST_200600_302600_NS5tupleIblNS6_9null_typeES8_S8_S8_S8_S8_S8_S8_EEEEZNS1_11reduce_implILb1ES3_PS9_SC_S9_NS6_11hip_rocprim9__find_if7functorIS9_EEEE10hipError_tPvRmT1_T2_T3_mT4_P12ihipStream_tbEUlT_E0_NS1_11comp_targetILNS1_3genE4ELNS1_11target_archE910ELNS1_3gpuE8ELNS1_3repE0EEENS1_30default_config_static_selectorELNS0_4arch9wavefront6targetE0EEEvSK_,comdat
.Lfunc_end21:
	.size	_ZN7rocprim17ROCPRIM_400000_NS6detail17trampoline_kernelINS0_14default_configENS1_22reduce_config_selectorIN6thrust23THRUST_200600_302600_NS5tupleIblNS6_9null_typeES8_S8_S8_S8_S8_S8_S8_EEEEZNS1_11reduce_implILb1ES3_PS9_SC_S9_NS6_11hip_rocprim9__find_if7functorIS9_EEEE10hipError_tPvRmT1_T2_T3_mT4_P12ihipStream_tbEUlT_E0_NS1_11comp_targetILNS1_3genE4ELNS1_11target_archE910ELNS1_3gpuE8ELNS1_3repE0EEENS1_30default_config_static_selectorELNS0_4arch9wavefront6targetE0EEEvSK_, .Lfunc_end21-_ZN7rocprim17ROCPRIM_400000_NS6detail17trampoline_kernelINS0_14default_configENS1_22reduce_config_selectorIN6thrust23THRUST_200600_302600_NS5tupleIblNS6_9null_typeES8_S8_S8_S8_S8_S8_S8_EEEEZNS1_11reduce_implILb1ES3_PS9_SC_S9_NS6_11hip_rocprim9__find_if7functorIS9_EEEE10hipError_tPvRmT1_T2_T3_mT4_P12ihipStream_tbEUlT_E0_NS1_11comp_targetILNS1_3genE4ELNS1_11target_archE910ELNS1_3gpuE8ELNS1_3repE0EEENS1_30default_config_static_selectorELNS0_4arch9wavefront6targetE0EEEvSK_
                                        ; -- End function
	.set _ZN7rocprim17ROCPRIM_400000_NS6detail17trampoline_kernelINS0_14default_configENS1_22reduce_config_selectorIN6thrust23THRUST_200600_302600_NS5tupleIblNS6_9null_typeES8_S8_S8_S8_S8_S8_S8_EEEEZNS1_11reduce_implILb1ES3_PS9_SC_S9_NS6_11hip_rocprim9__find_if7functorIS9_EEEE10hipError_tPvRmT1_T2_T3_mT4_P12ihipStream_tbEUlT_E0_NS1_11comp_targetILNS1_3genE4ELNS1_11target_archE910ELNS1_3gpuE8ELNS1_3repE0EEENS1_30default_config_static_selectorELNS0_4arch9wavefront6targetE0EEEvSK_.num_vgpr, 0
	.set _ZN7rocprim17ROCPRIM_400000_NS6detail17trampoline_kernelINS0_14default_configENS1_22reduce_config_selectorIN6thrust23THRUST_200600_302600_NS5tupleIblNS6_9null_typeES8_S8_S8_S8_S8_S8_S8_EEEEZNS1_11reduce_implILb1ES3_PS9_SC_S9_NS6_11hip_rocprim9__find_if7functorIS9_EEEE10hipError_tPvRmT1_T2_T3_mT4_P12ihipStream_tbEUlT_E0_NS1_11comp_targetILNS1_3genE4ELNS1_11target_archE910ELNS1_3gpuE8ELNS1_3repE0EEENS1_30default_config_static_selectorELNS0_4arch9wavefront6targetE0EEEvSK_.num_agpr, 0
	.set _ZN7rocprim17ROCPRIM_400000_NS6detail17trampoline_kernelINS0_14default_configENS1_22reduce_config_selectorIN6thrust23THRUST_200600_302600_NS5tupleIblNS6_9null_typeES8_S8_S8_S8_S8_S8_S8_EEEEZNS1_11reduce_implILb1ES3_PS9_SC_S9_NS6_11hip_rocprim9__find_if7functorIS9_EEEE10hipError_tPvRmT1_T2_T3_mT4_P12ihipStream_tbEUlT_E0_NS1_11comp_targetILNS1_3genE4ELNS1_11target_archE910ELNS1_3gpuE8ELNS1_3repE0EEENS1_30default_config_static_selectorELNS0_4arch9wavefront6targetE0EEEvSK_.numbered_sgpr, 0
	.set _ZN7rocprim17ROCPRIM_400000_NS6detail17trampoline_kernelINS0_14default_configENS1_22reduce_config_selectorIN6thrust23THRUST_200600_302600_NS5tupleIblNS6_9null_typeES8_S8_S8_S8_S8_S8_S8_EEEEZNS1_11reduce_implILb1ES3_PS9_SC_S9_NS6_11hip_rocprim9__find_if7functorIS9_EEEE10hipError_tPvRmT1_T2_T3_mT4_P12ihipStream_tbEUlT_E0_NS1_11comp_targetILNS1_3genE4ELNS1_11target_archE910ELNS1_3gpuE8ELNS1_3repE0EEENS1_30default_config_static_selectorELNS0_4arch9wavefront6targetE0EEEvSK_.num_named_barrier, 0
	.set _ZN7rocprim17ROCPRIM_400000_NS6detail17trampoline_kernelINS0_14default_configENS1_22reduce_config_selectorIN6thrust23THRUST_200600_302600_NS5tupleIblNS6_9null_typeES8_S8_S8_S8_S8_S8_S8_EEEEZNS1_11reduce_implILb1ES3_PS9_SC_S9_NS6_11hip_rocprim9__find_if7functorIS9_EEEE10hipError_tPvRmT1_T2_T3_mT4_P12ihipStream_tbEUlT_E0_NS1_11comp_targetILNS1_3genE4ELNS1_11target_archE910ELNS1_3gpuE8ELNS1_3repE0EEENS1_30default_config_static_selectorELNS0_4arch9wavefront6targetE0EEEvSK_.private_seg_size, 0
	.set _ZN7rocprim17ROCPRIM_400000_NS6detail17trampoline_kernelINS0_14default_configENS1_22reduce_config_selectorIN6thrust23THRUST_200600_302600_NS5tupleIblNS6_9null_typeES8_S8_S8_S8_S8_S8_S8_EEEEZNS1_11reduce_implILb1ES3_PS9_SC_S9_NS6_11hip_rocprim9__find_if7functorIS9_EEEE10hipError_tPvRmT1_T2_T3_mT4_P12ihipStream_tbEUlT_E0_NS1_11comp_targetILNS1_3genE4ELNS1_11target_archE910ELNS1_3gpuE8ELNS1_3repE0EEENS1_30default_config_static_selectorELNS0_4arch9wavefront6targetE0EEEvSK_.uses_vcc, 0
	.set _ZN7rocprim17ROCPRIM_400000_NS6detail17trampoline_kernelINS0_14default_configENS1_22reduce_config_selectorIN6thrust23THRUST_200600_302600_NS5tupleIblNS6_9null_typeES8_S8_S8_S8_S8_S8_S8_EEEEZNS1_11reduce_implILb1ES3_PS9_SC_S9_NS6_11hip_rocprim9__find_if7functorIS9_EEEE10hipError_tPvRmT1_T2_T3_mT4_P12ihipStream_tbEUlT_E0_NS1_11comp_targetILNS1_3genE4ELNS1_11target_archE910ELNS1_3gpuE8ELNS1_3repE0EEENS1_30default_config_static_selectorELNS0_4arch9wavefront6targetE0EEEvSK_.uses_flat_scratch, 0
	.set _ZN7rocprim17ROCPRIM_400000_NS6detail17trampoline_kernelINS0_14default_configENS1_22reduce_config_selectorIN6thrust23THRUST_200600_302600_NS5tupleIblNS6_9null_typeES8_S8_S8_S8_S8_S8_S8_EEEEZNS1_11reduce_implILb1ES3_PS9_SC_S9_NS6_11hip_rocprim9__find_if7functorIS9_EEEE10hipError_tPvRmT1_T2_T3_mT4_P12ihipStream_tbEUlT_E0_NS1_11comp_targetILNS1_3genE4ELNS1_11target_archE910ELNS1_3gpuE8ELNS1_3repE0EEENS1_30default_config_static_selectorELNS0_4arch9wavefront6targetE0EEEvSK_.has_dyn_sized_stack, 0
	.set _ZN7rocprim17ROCPRIM_400000_NS6detail17trampoline_kernelINS0_14default_configENS1_22reduce_config_selectorIN6thrust23THRUST_200600_302600_NS5tupleIblNS6_9null_typeES8_S8_S8_S8_S8_S8_S8_EEEEZNS1_11reduce_implILb1ES3_PS9_SC_S9_NS6_11hip_rocprim9__find_if7functorIS9_EEEE10hipError_tPvRmT1_T2_T3_mT4_P12ihipStream_tbEUlT_E0_NS1_11comp_targetILNS1_3genE4ELNS1_11target_archE910ELNS1_3gpuE8ELNS1_3repE0EEENS1_30default_config_static_selectorELNS0_4arch9wavefront6targetE0EEEvSK_.has_recursion, 0
	.set _ZN7rocprim17ROCPRIM_400000_NS6detail17trampoline_kernelINS0_14default_configENS1_22reduce_config_selectorIN6thrust23THRUST_200600_302600_NS5tupleIblNS6_9null_typeES8_S8_S8_S8_S8_S8_S8_EEEEZNS1_11reduce_implILb1ES3_PS9_SC_S9_NS6_11hip_rocprim9__find_if7functorIS9_EEEE10hipError_tPvRmT1_T2_T3_mT4_P12ihipStream_tbEUlT_E0_NS1_11comp_targetILNS1_3genE4ELNS1_11target_archE910ELNS1_3gpuE8ELNS1_3repE0EEENS1_30default_config_static_selectorELNS0_4arch9wavefront6targetE0EEEvSK_.has_indirect_call, 0
	.section	.AMDGPU.csdata,"",@progbits
; Kernel info:
; codeLenInByte = 0
; TotalNumSgprs: 0
; NumVgprs: 0
; ScratchSize: 0
; MemoryBound: 0
; FloatMode: 240
; IeeeMode: 1
; LDSByteSize: 0 bytes/workgroup (compile time only)
; SGPRBlocks: 0
; VGPRBlocks: 0
; NumSGPRsForWavesPerEU: 1
; NumVGPRsForWavesPerEU: 1
; NamedBarCnt: 0
; Occupancy: 16
; WaveLimiterHint : 0
; COMPUTE_PGM_RSRC2:SCRATCH_EN: 0
; COMPUTE_PGM_RSRC2:USER_SGPR: 2
; COMPUTE_PGM_RSRC2:TRAP_HANDLER: 0
; COMPUTE_PGM_RSRC2:TGID_X_EN: 1
; COMPUTE_PGM_RSRC2:TGID_Y_EN: 0
; COMPUTE_PGM_RSRC2:TGID_Z_EN: 0
; COMPUTE_PGM_RSRC2:TIDIG_COMP_CNT: 0
	.section	.text._ZN7rocprim17ROCPRIM_400000_NS6detail17trampoline_kernelINS0_14default_configENS1_22reduce_config_selectorIN6thrust23THRUST_200600_302600_NS5tupleIblNS6_9null_typeES8_S8_S8_S8_S8_S8_S8_EEEEZNS1_11reduce_implILb1ES3_PS9_SC_S9_NS6_11hip_rocprim9__find_if7functorIS9_EEEE10hipError_tPvRmT1_T2_T3_mT4_P12ihipStream_tbEUlT_E0_NS1_11comp_targetILNS1_3genE3ELNS1_11target_archE908ELNS1_3gpuE7ELNS1_3repE0EEENS1_30default_config_static_selectorELNS0_4arch9wavefront6targetE0EEEvSK_,"axG",@progbits,_ZN7rocprim17ROCPRIM_400000_NS6detail17trampoline_kernelINS0_14default_configENS1_22reduce_config_selectorIN6thrust23THRUST_200600_302600_NS5tupleIblNS6_9null_typeES8_S8_S8_S8_S8_S8_S8_EEEEZNS1_11reduce_implILb1ES3_PS9_SC_S9_NS6_11hip_rocprim9__find_if7functorIS9_EEEE10hipError_tPvRmT1_T2_T3_mT4_P12ihipStream_tbEUlT_E0_NS1_11comp_targetILNS1_3genE3ELNS1_11target_archE908ELNS1_3gpuE7ELNS1_3repE0EEENS1_30default_config_static_selectorELNS0_4arch9wavefront6targetE0EEEvSK_,comdat
	.protected	_ZN7rocprim17ROCPRIM_400000_NS6detail17trampoline_kernelINS0_14default_configENS1_22reduce_config_selectorIN6thrust23THRUST_200600_302600_NS5tupleIblNS6_9null_typeES8_S8_S8_S8_S8_S8_S8_EEEEZNS1_11reduce_implILb1ES3_PS9_SC_S9_NS6_11hip_rocprim9__find_if7functorIS9_EEEE10hipError_tPvRmT1_T2_T3_mT4_P12ihipStream_tbEUlT_E0_NS1_11comp_targetILNS1_3genE3ELNS1_11target_archE908ELNS1_3gpuE7ELNS1_3repE0EEENS1_30default_config_static_selectorELNS0_4arch9wavefront6targetE0EEEvSK_ ; -- Begin function _ZN7rocprim17ROCPRIM_400000_NS6detail17trampoline_kernelINS0_14default_configENS1_22reduce_config_selectorIN6thrust23THRUST_200600_302600_NS5tupleIblNS6_9null_typeES8_S8_S8_S8_S8_S8_S8_EEEEZNS1_11reduce_implILb1ES3_PS9_SC_S9_NS6_11hip_rocprim9__find_if7functorIS9_EEEE10hipError_tPvRmT1_T2_T3_mT4_P12ihipStream_tbEUlT_E0_NS1_11comp_targetILNS1_3genE3ELNS1_11target_archE908ELNS1_3gpuE7ELNS1_3repE0EEENS1_30default_config_static_selectorELNS0_4arch9wavefront6targetE0EEEvSK_
	.globl	_ZN7rocprim17ROCPRIM_400000_NS6detail17trampoline_kernelINS0_14default_configENS1_22reduce_config_selectorIN6thrust23THRUST_200600_302600_NS5tupleIblNS6_9null_typeES8_S8_S8_S8_S8_S8_S8_EEEEZNS1_11reduce_implILb1ES3_PS9_SC_S9_NS6_11hip_rocprim9__find_if7functorIS9_EEEE10hipError_tPvRmT1_T2_T3_mT4_P12ihipStream_tbEUlT_E0_NS1_11comp_targetILNS1_3genE3ELNS1_11target_archE908ELNS1_3gpuE7ELNS1_3repE0EEENS1_30default_config_static_selectorELNS0_4arch9wavefront6targetE0EEEvSK_
	.p2align	8
	.type	_ZN7rocprim17ROCPRIM_400000_NS6detail17trampoline_kernelINS0_14default_configENS1_22reduce_config_selectorIN6thrust23THRUST_200600_302600_NS5tupleIblNS6_9null_typeES8_S8_S8_S8_S8_S8_S8_EEEEZNS1_11reduce_implILb1ES3_PS9_SC_S9_NS6_11hip_rocprim9__find_if7functorIS9_EEEE10hipError_tPvRmT1_T2_T3_mT4_P12ihipStream_tbEUlT_E0_NS1_11comp_targetILNS1_3genE3ELNS1_11target_archE908ELNS1_3gpuE7ELNS1_3repE0EEENS1_30default_config_static_selectorELNS0_4arch9wavefront6targetE0EEEvSK_,@function
_ZN7rocprim17ROCPRIM_400000_NS6detail17trampoline_kernelINS0_14default_configENS1_22reduce_config_selectorIN6thrust23THRUST_200600_302600_NS5tupleIblNS6_9null_typeES8_S8_S8_S8_S8_S8_S8_EEEEZNS1_11reduce_implILb1ES3_PS9_SC_S9_NS6_11hip_rocprim9__find_if7functorIS9_EEEE10hipError_tPvRmT1_T2_T3_mT4_P12ihipStream_tbEUlT_E0_NS1_11comp_targetILNS1_3genE3ELNS1_11target_archE908ELNS1_3gpuE7ELNS1_3repE0EEENS1_30default_config_static_selectorELNS0_4arch9wavefront6targetE0EEEvSK_: ; @_ZN7rocprim17ROCPRIM_400000_NS6detail17trampoline_kernelINS0_14default_configENS1_22reduce_config_selectorIN6thrust23THRUST_200600_302600_NS5tupleIblNS6_9null_typeES8_S8_S8_S8_S8_S8_S8_EEEEZNS1_11reduce_implILb1ES3_PS9_SC_S9_NS6_11hip_rocprim9__find_if7functorIS9_EEEE10hipError_tPvRmT1_T2_T3_mT4_P12ihipStream_tbEUlT_E0_NS1_11comp_targetILNS1_3genE3ELNS1_11target_archE908ELNS1_3gpuE7ELNS1_3repE0EEENS1_30default_config_static_selectorELNS0_4arch9wavefront6targetE0EEEvSK_
; %bb.0:
	.section	.rodata,"a",@progbits
	.p2align	6, 0x0
	.amdhsa_kernel _ZN7rocprim17ROCPRIM_400000_NS6detail17trampoline_kernelINS0_14default_configENS1_22reduce_config_selectorIN6thrust23THRUST_200600_302600_NS5tupleIblNS6_9null_typeES8_S8_S8_S8_S8_S8_S8_EEEEZNS1_11reduce_implILb1ES3_PS9_SC_S9_NS6_11hip_rocprim9__find_if7functorIS9_EEEE10hipError_tPvRmT1_T2_T3_mT4_P12ihipStream_tbEUlT_E0_NS1_11comp_targetILNS1_3genE3ELNS1_11target_archE908ELNS1_3gpuE7ELNS1_3repE0EEENS1_30default_config_static_selectorELNS0_4arch9wavefront6targetE0EEEvSK_
		.amdhsa_group_segment_fixed_size 0
		.amdhsa_private_segment_fixed_size 0
		.amdhsa_kernarg_size 72
		.amdhsa_user_sgpr_count 2
		.amdhsa_user_sgpr_dispatch_ptr 0
		.amdhsa_user_sgpr_queue_ptr 0
		.amdhsa_user_sgpr_kernarg_segment_ptr 1
		.amdhsa_user_sgpr_dispatch_id 0
		.amdhsa_user_sgpr_kernarg_preload_length 0
		.amdhsa_user_sgpr_kernarg_preload_offset 0
		.amdhsa_user_sgpr_private_segment_size 0
		.amdhsa_wavefront_size32 1
		.amdhsa_uses_dynamic_stack 0
		.amdhsa_enable_private_segment 0
		.amdhsa_system_sgpr_workgroup_id_x 1
		.amdhsa_system_sgpr_workgroup_id_y 0
		.amdhsa_system_sgpr_workgroup_id_z 0
		.amdhsa_system_sgpr_workgroup_info 0
		.amdhsa_system_vgpr_workitem_id 0
		.amdhsa_next_free_vgpr 1
		.amdhsa_next_free_sgpr 1
		.amdhsa_named_barrier_count 0
		.amdhsa_reserve_vcc 0
		.amdhsa_float_round_mode_32 0
		.amdhsa_float_round_mode_16_64 0
		.amdhsa_float_denorm_mode_32 3
		.amdhsa_float_denorm_mode_16_64 3
		.amdhsa_fp16_overflow 0
		.amdhsa_memory_ordered 1
		.amdhsa_forward_progress 1
		.amdhsa_inst_pref_size 0
		.amdhsa_round_robin_scheduling 0
		.amdhsa_exception_fp_ieee_invalid_op 0
		.amdhsa_exception_fp_denorm_src 0
		.amdhsa_exception_fp_ieee_div_zero 0
		.amdhsa_exception_fp_ieee_overflow 0
		.amdhsa_exception_fp_ieee_underflow 0
		.amdhsa_exception_fp_ieee_inexact 0
		.amdhsa_exception_int_div_zero 0
	.end_amdhsa_kernel
	.section	.text._ZN7rocprim17ROCPRIM_400000_NS6detail17trampoline_kernelINS0_14default_configENS1_22reduce_config_selectorIN6thrust23THRUST_200600_302600_NS5tupleIblNS6_9null_typeES8_S8_S8_S8_S8_S8_S8_EEEEZNS1_11reduce_implILb1ES3_PS9_SC_S9_NS6_11hip_rocprim9__find_if7functorIS9_EEEE10hipError_tPvRmT1_T2_T3_mT4_P12ihipStream_tbEUlT_E0_NS1_11comp_targetILNS1_3genE3ELNS1_11target_archE908ELNS1_3gpuE7ELNS1_3repE0EEENS1_30default_config_static_selectorELNS0_4arch9wavefront6targetE0EEEvSK_,"axG",@progbits,_ZN7rocprim17ROCPRIM_400000_NS6detail17trampoline_kernelINS0_14default_configENS1_22reduce_config_selectorIN6thrust23THRUST_200600_302600_NS5tupleIblNS6_9null_typeES8_S8_S8_S8_S8_S8_S8_EEEEZNS1_11reduce_implILb1ES3_PS9_SC_S9_NS6_11hip_rocprim9__find_if7functorIS9_EEEE10hipError_tPvRmT1_T2_T3_mT4_P12ihipStream_tbEUlT_E0_NS1_11comp_targetILNS1_3genE3ELNS1_11target_archE908ELNS1_3gpuE7ELNS1_3repE0EEENS1_30default_config_static_selectorELNS0_4arch9wavefront6targetE0EEEvSK_,comdat
.Lfunc_end22:
	.size	_ZN7rocprim17ROCPRIM_400000_NS6detail17trampoline_kernelINS0_14default_configENS1_22reduce_config_selectorIN6thrust23THRUST_200600_302600_NS5tupleIblNS6_9null_typeES8_S8_S8_S8_S8_S8_S8_EEEEZNS1_11reduce_implILb1ES3_PS9_SC_S9_NS6_11hip_rocprim9__find_if7functorIS9_EEEE10hipError_tPvRmT1_T2_T3_mT4_P12ihipStream_tbEUlT_E0_NS1_11comp_targetILNS1_3genE3ELNS1_11target_archE908ELNS1_3gpuE7ELNS1_3repE0EEENS1_30default_config_static_selectorELNS0_4arch9wavefront6targetE0EEEvSK_, .Lfunc_end22-_ZN7rocprim17ROCPRIM_400000_NS6detail17trampoline_kernelINS0_14default_configENS1_22reduce_config_selectorIN6thrust23THRUST_200600_302600_NS5tupleIblNS6_9null_typeES8_S8_S8_S8_S8_S8_S8_EEEEZNS1_11reduce_implILb1ES3_PS9_SC_S9_NS6_11hip_rocprim9__find_if7functorIS9_EEEE10hipError_tPvRmT1_T2_T3_mT4_P12ihipStream_tbEUlT_E0_NS1_11comp_targetILNS1_3genE3ELNS1_11target_archE908ELNS1_3gpuE7ELNS1_3repE0EEENS1_30default_config_static_selectorELNS0_4arch9wavefront6targetE0EEEvSK_
                                        ; -- End function
	.set _ZN7rocprim17ROCPRIM_400000_NS6detail17trampoline_kernelINS0_14default_configENS1_22reduce_config_selectorIN6thrust23THRUST_200600_302600_NS5tupleIblNS6_9null_typeES8_S8_S8_S8_S8_S8_S8_EEEEZNS1_11reduce_implILb1ES3_PS9_SC_S9_NS6_11hip_rocprim9__find_if7functorIS9_EEEE10hipError_tPvRmT1_T2_T3_mT4_P12ihipStream_tbEUlT_E0_NS1_11comp_targetILNS1_3genE3ELNS1_11target_archE908ELNS1_3gpuE7ELNS1_3repE0EEENS1_30default_config_static_selectorELNS0_4arch9wavefront6targetE0EEEvSK_.num_vgpr, 0
	.set _ZN7rocprim17ROCPRIM_400000_NS6detail17trampoline_kernelINS0_14default_configENS1_22reduce_config_selectorIN6thrust23THRUST_200600_302600_NS5tupleIblNS6_9null_typeES8_S8_S8_S8_S8_S8_S8_EEEEZNS1_11reduce_implILb1ES3_PS9_SC_S9_NS6_11hip_rocprim9__find_if7functorIS9_EEEE10hipError_tPvRmT1_T2_T3_mT4_P12ihipStream_tbEUlT_E0_NS1_11comp_targetILNS1_3genE3ELNS1_11target_archE908ELNS1_3gpuE7ELNS1_3repE0EEENS1_30default_config_static_selectorELNS0_4arch9wavefront6targetE0EEEvSK_.num_agpr, 0
	.set _ZN7rocprim17ROCPRIM_400000_NS6detail17trampoline_kernelINS0_14default_configENS1_22reduce_config_selectorIN6thrust23THRUST_200600_302600_NS5tupleIblNS6_9null_typeES8_S8_S8_S8_S8_S8_S8_EEEEZNS1_11reduce_implILb1ES3_PS9_SC_S9_NS6_11hip_rocprim9__find_if7functorIS9_EEEE10hipError_tPvRmT1_T2_T3_mT4_P12ihipStream_tbEUlT_E0_NS1_11comp_targetILNS1_3genE3ELNS1_11target_archE908ELNS1_3gpuE7ELNS1_3repE0EEENS1_30default_config_static_selectorELNS0_4arch9wavefront6targetE0EEEvSK_.numbered_sgpr, 0
	.set _ZN7rocprim17ROCPRIM_400000_NS6detail17trampoline_kernelINS0_14default_configENS1_22reduce_config_selectorIN6thrust23THRUST_200600_302600_NS5tupleIblNS6_9null_typeES8_S8_S8_S8_S8_S8_S8_EEEEZNS1_11reduce_implILb1ES3_PS9_SC_S9_NS6_11hip_rocprim9__find_if7functorIS9_EEEE10hipError_tPvRmT1_T2_T3_mT4_P12ihipStream_tbEUlT_E0_NS1_11comp_targetILNS1_3genE3ELNS1_11target_archE908ELNS1_3gpuE7ELNS1_3repE0EEENS1_30default_config_static_selectorELNS0_4arch9wavefront6targetE0EEEvSK_.num_named_barrier, 0
	.set _ZN7rocprim17ROCPRIM_400000_NS6detail17trampoline_kernelINS0_14default_configENS1_22reduce_config_selectorIN6thrust23THRUST_200600_302600_NS5tupleIblNS6_9null_typeES8_S8_S8_S8_S8_S8_S8_EEEEZNS1_11reduce_implILb1ES3_PS9_SC_S9_NS6_11hip_rocprim9__find_if7functorIS9_EEEE10hipError_tPvRmT1_T2_T3_mT4_P12ihipStream_tbEUlT_E0_NS1_11comp_targetILNS1_3genE3ELNS1_11target_archE908ELNS1_3gpuE7ELNS1_3repE0EEENS1_30default_config_static_selectorELNS0_4arch9wavefront6targetE0EEEvSK_.private_seg_size, 0
	.set _ZN7rocprim17ROCPRIM_400000_NS6detail17trampoline_kernelINS0_14default_configENS1_22reduce_config_selectorIN6thrust23THRUST_200600_302600_NS5tupleIblNS6_9null_typeES8_S8_S8_S8_S8_S8_S8_EEEEZNS1_11reduce_implILb1ES3_PS9_SC_S9_NS6_11hip_rocprim9__find_if7functorIS9_EEEE10hipError_tPvRmT1_T2_T3_mT4_P12ihipStream_tbEUlT_E0_NS1_11comp_targetILNS1_3genE3ELNS1_11target_archE908ELNS1_3gpuE7ELNS1_3repE0EEENS1_30default_config_static_selectorELNS0_4arch9wavefront6targetE0EEEvSK_.uses_vcc, 0
	.set _ZN7rocprim17ROCPRIM_400000_NS6detail17trampoline_kernelINS0_14default_configENS1_22reduce_config_selectorIN6thrust23THRUST_200600_302600_NS5tupleIblNS6_9null_typeES8_S8_S8_S8_S8_S8_S8_EEEEZNS1_11reduce_implILb1ES3_PS9_SC_S9_NS6_11hip_rocprim9__find_if7functorIS9_EEEE10hipError_tPvRmT1_T2_T3_mT4_P12ihipStream_tbEUlT_E0_NS1_11comp_targetILNS1_3genE3ELNS1_11target_archE908ELNS1_3gpuE7ELNS1_3repE0EEENS1_30default_config_static_selectorELNS0_4arch9wavefront6targetE0EEEvSK_.uses_flat_scratch, 0
	.set _ZN7rocprim17ROCPRIM_400000_NS6detail17trampoline_kernelINS0_14default_configENS1_22reduce_config_selectorIN6thrust23THRUST_200600_302600_NS5tupleIblNS6_9null_typeES8_S8_S8_S8_S8_S8_S8_EEEEZNS1_11reduce_implILb1ES3_PS9_SC_S9_NS6_11hip_rocprim9__find_if7functorIS9_EEEE10hipError_tPvRmT1_T2_T3_mT4_P12ihipStream_tbEUlT_E0_NS1_11comp_targetILNS1_3genE3ELNS1_11target_archE908ELNS1_3gpuE7ELNS1_3repE0EEENS1_30default_config_static_selectorELNS0_4arch9wavefront6targetE0EEEvSK_.has_dyn_sized_stack, 0
	.set _ZN7rocprim17ROCPRIM_400000_NS6detail17trampoline_kernelINS0_14default_configENS1_22reduce_config_selectorIN6thrust23THRUST_200600_302600_NS5tupleIblNS6_9null_typeES8_S8_S8_S8_S8_S8_S8_EEEEZNS1_11reduce_implILb1ES3_PS9_SC_S9_NS6_11hip_rocprim9__find_if7functorIS9_EEEE10hipError_tPvRmT1_T2_T3_mT4_P12ihipStream_tbEUlT_E0_NS1_11comp_targetILNS1_3genE3ELNS1_11target_archE908ELNS1_3gpuE7ELNS1_3repE0EEENS1_30default_config_static_selectorELNS0_4arch9wavefront6targetE0EEEvSK_.has_recursion, 0
	.set _ZN7rocprim17ROCPRIM_400000_NS6detail17trampoline_kernelINS0_14default_configENS1_22reduce_config_selectorIN6thrust23THRUST_200600_302600_NS5tupleIblNS6_9null_typeES8_S8_S8_S8_S8_S8_S8_EEEEZNS1_11reduce_implILb1ES3_PS9_SC_S9_NS6_11hip_rocprim9__find_if7functorIS9_EEEE10hipError_tPvRmT1_T2_T3_mT4_P12ihipStream_tbEUlT_E0_NS1_11comp_targetILNS1_3genE3ELNS1_11target_archE908ELNS1_3gpuE7ELNS1_3repE0EEENS1_30default_config_static_selectorELNS0_4arch9wavefront6targetE0EEEvSK_.has_indirect_call, 0
	.section	.AMDGPU.csdata,"",@progbits
; Kernel info:
; codeLenInByte = 0
; TotalNumSgprs: 0
; NumVgprs: 0
; ScratchSize: 0
; MemoryBound: 0
; FloatMode: 240
; IeeeMode: 1
; LDSByteSize: 0 bytes/workgroup (compile time only)
; SGPRBlocks: 0
; VGPRBlocks: 0
; NumSGPRsForWavesPerEU: 1
; NumVGPRsForWavesPerEU: 1
; NamedBarCnt: 0
; Occupancy: 16
; WaveLimiterHint : 0
; COMPUTE_PGM_RSRC2:SCRATCH_EN: 0
; COMPUTE_PGM_RSRC2:USER_SGPR: 2
; COMPUTE_PGM_RSRC2:TRAP_HANDLER: 0
; COMPUTE_PGM_RSRC2:TGID_X_EN: 1
; COMPUTE_PGM_RSRC2:TGID_Y_EN: 0
; COMPUTE_PGM_RSRC2:TGID_Z_EN: 0
; COMPUTE_PGM_RSRC2:TIDIG_COMP_CNT: 0
	.section	.text._ZN7rocprim17ROCPRIM_400000_NS6detail17trampoline_kernelINS0_14default_configENS1_22reduce_config_selectorIN6thrust23THRUST_200600_302600_NS5tupleIblNS6_9null_typeES8_S8_S8_S8_S8_S8_S8_EEEEZNS1_11reduce_implILb1ES3_PS9_SC_S9_NS6_11hip_rocprim9__find_if7functorIS9_EEEE10hipError_tPvRmT1_T2_T3_mT4_P12ihipStream_tbEUlT_E0_NS1_11comp_targetILNS1_3genE2ELNS1_11target_archE906ELNS1_3gpuE6ELNS1_3repE0EEENS1_30default_config_static_selectorELNS0_4arch9wavefront6targetE0EEEvSK_,"axG",@progbits,_ZN7rocprim17ROCPRIM_400000_NS6detail17trampoline_kernelINS0_14default_configENS1_22reduce_config_selectorIN6thrust23THRUST_200600_302600_NS5tupleIblNS6_9null_typeES8_S8_S8_S8_S8_S8_S8_EEEEZNS1_11reduce_implILb1ES3_PS9_SC_S9_NS6_11hip_rocprim9__find_if7functorIS9_EEEE10hipError_tPvRmT1_T2_T3_mT4_P12ihipStream_tbEUlT_E0_NS1_11comp_targetILNS1_3genE2ELNS1_11target_archE906ELNS1_3gpuE6ELNS1_3repE0EEENS1_30default_config_static_selectorELNS0_4arch9wavefront6targetE0EEEvSK_,comdat
	.protected	_ZN7rocprim17ROCPRIM_400000_NS6detail17trampoline_kernelINS0_14default_configENS1_22reduce_config_selectorIN6thrust23THRUST_200600_302600_NS5tupleIblNS6_9null_typeES8_S8_S8_S8_S8_S8_S8_EEEEZNS1_11reduce_implILb1ES3_PS9_SC_S9_NS6_11hip_rocprim9__find_if7functorIS9_EEEE10hipError_tPvRmT1_T2_T3_mT4_P12ihipStream_tbEUlT_E0_NS1_11comp_targetILNS1_3genE2ELNS1_11target_archE906ELNS1_3gpuE6ELNS1_3repE0EEENS1_30default_config_static_selectorELNS0_4arch9wavefront6targetE0EEEvSK_ ; -- Begin function _ZN7rocprim17ROCPRIM_400000_NS6detail17trampoline_kernelINS0_14default_configENS1_22reduce_config_selectorIN6thrust23THRUST_200600_302600_NS5tupleIblNS6_9null_typeES8_S8_S8_S8_S8_S8_S8_EEEEZNS1_11reduce_implILb1ES3_PS9_SC_S9_NS6_11hip_rocprim9__find_if7functorIS9_EEEE10hipError_tPvRmT1_T2_T3_mT4_P12ihipStream_tbEUlT_E0_NS1_11comp_targetILNS1_3genE2ELNS1_11target_archE906ELNS1_3gpuE6ELNS1_3repE0EEENS1_30default_config_static_selectorELNS0_4arch9wavefront6targetE0EEEvSK_
	.globl	_ZN7rocprim17ROCPRIM_400000_NS6detail17trampoline_kernelINS0_14default_configENS1_22reduce_config_selectorIN6thrust23THRUST_200600_302600_NS5tupleIblNS6_9null_typeES8_S8_S8_S8_S8_S8_S8_EEEEZNS1_11reduce_implILb1ES3_PS9_SC_S9_NS6_11hip_rocprim9__find_if7functorIS9_EEEE10hipError_tPvRmT1_T2_T3_mT4_P12ihipStream_tbEUlT_E0_NS1_11comp_targetILNS1_3genE2ELNS1_11target_archE906ELNS1_3gpuE6ELNS1_3repE0EEENS1_30default_config_static_selectorELNS0_4arch9wavefront6targetE0EEEvSK_
	.p2align	8
	.type	_ZN7rocprim17ROCPRIM_400000_NS6detail17trampoline_kernelINS0_14default_configENS1_22reduce_config_selectorIN6thrust23THRUST_200600_302600_NS5tupleIblNS6_9null_typeES8_S8_S8_S8_S8_S8_S8_EEEEZNS1_11reduce_implILb1ES3_PS9_SC_S9_NS6_11hip_rocprim9__find_if7functorIS9_EEEE10hipError_tPvRmT1_T2_T3_mT4_P12ihipStream_tbEUlT_E0_NS1_11comp_targetILNS1_3genE2ELNS1_11target_archE906ELNS1_3gpuE6ELNS1_3repE0EEENS1_30default_config_static_selectorELNS0_4arch9wavefront6targetE0EEEvSK_,@function
_ZN7rocprim17ROCPRIM_400000_NS6detail17trampoline_kernelINS0_14default_configENS1_22reduce_config_selectorIN6thrust23THRUST_200600_302600_NS5tupleIblNS6_9null_typeES8_S8_S8_S8_S8_S8_S8_EEEEZNS1_11reduce_implILb1ES3_PS9_SC_S9_NS6_11hip_rocprim9__find_if7functorIS9_EEEE10hipError_tPvRmT1_T2_T3_mT4_P12ihipStream_tbEUlT_E0_NS1_11comp_targetILNS1_3genE2ELNS1_11target_archE906ELNS1_3gpuE6ELNS1_3repE0EEENS1_30default_config_static_selectorELNS0_4arch9wavefront6targetE0EEEvSK_: ; @_ZN7rocprim17ROCPRIM_400000_NS6detail17trampoline_kernelINS0_14default_configENS1_22reduce_config_selectorIN6thrust23THRUST_200600_302600_NS5tupleIblNS6_9null_typeES8_S8_S8_S8_S8_S8_S8_EEEEZNS1_11reduce_implILb1ES3_PS9_SC_S9_NS6_11hip_rocprim9__find_if7functorIS9_EEEE10hipError_tPvRmT1_T2_T3_mT4_P12ihipStream_tbEUlT_E0_NS1_11comp_targetILNS1_3genE2ELNS1_11target_archE906ELNS1_3gpuE6ELNS1_3repE0EEENS1_30default_config_static_selectorELNS0_4arch9wavefront6targetE0EEEvSK_
; %bb.0:
	.section	.rodata,"a",@progbits
	.p2align	6, 0x0
	.amdhsa_kernel _ZN7rocprim17ROCPRIM_400000_NS6detail17trampoline_kernelINS0_14default_configENS1_22reduce_config_selectorIN6thrust23THRUST_200600_302600_NS5tupleIblNS6_9null_typeES8_S8_S8_S8_S8_S8_S8_EEEEZNS1_11reduce_implILb1ES3_PS9_SC_S9_NS6_11hip_rocprim9__find_if7functorIS9_EEEE10hipError_tPvRmT1_T2_T3_mT4_P12ihipStream_tbEUlT_E0_NS1_11comp_targetILNS1_3genE2ELNS1_11target_archE906ELNS1_3gpuE6ELNS1_3repE0EEENS1_30default_config_static_selectorELNS0_4arch9wavefront6targetE0EEEvSK_
		.amdhsa_group_segment_fixed_size 0
		.amdhsa_private_segment_fixed_size 0
		.amdhsa_kernarg_size 72
		.amdhsa_user_sgpr_count 2
		.amdhsa_user_sgpr_dispatch_ptr 0
		.amdhsa_user_sgpr_queue_ptr 0
		.amdhsa_user_sgpr_kernarg_segment_ptr 1
		.amdhsa_user_sgpr_dispatch_id 0
		.amdhsa_user_sgpr_kernarg_preload_length 0
		.amdhsa_user_sgpr_kernarg_preload_offset 0
		.amdhsa_user_sgpr_private_segment_size 0
		.amdhsa_wavefront_size32 1
		.amdhsa_uses_dynamic_stack 0
		.amdhsa_enable_private_segment 0
		.amdhsa_system_sgpr_workgroup_id_x 1
		.amdhsa_system_sgpr_workgroup_id_y 0
		.amdhsa_system_sgpr_workgroup_id_z 0
		.amdhsa_system_sgpr_workgroup_info 0
		.amdhsa_system_vgpr_workitem_id 0
		.amdhsa_next_free_vgpr 1
		.amdhsa_next_free_sgpr 1
		.amdhsa_named_barrier_count 0
		.amdhsa_reserve_vcc 0
		.amdhsa_float_round_mode_32 0
		.amdhsa_float_round_mode_16_64 0
		.amdhsa_float_denorm_mode_32 3
		.amdhsa_float_denorm_mode_16_64 3
		.amdhsa_fp16_overflow 0
		.amdhsa_memory_ordered 1
		.amdhsa_forward_progress 1
		.amdhsa_inst_pref_size 0
		.amdhsa_round_robin_scheduling 0
		.amdhsa_exception_fp_ieee_invalid_op 0
		.amdhsa_exception_fp_denorm_src 0
		.amdhsa_exception_fp_ieee_div_zero 0
		.amdhsa_exception_fp_ieee_overflow 0
		.amdhsa_exception_fp_ieee_underflow 0
		.amdhsa_exception_fp_ieee_inexact 0
		.amdhsa_exception_int_div_zero 0
	.end_amdhsa_kernel
	.section	.text._ZN7rocprim17ROCPRIM_400000_NS6detail17trampoline_kernelINS0_14default_configENS1_22reduce_config_selectorIN6thrust23THRUST_200600_302600_NS5tupleIblNS6_9null_typeES8_S8_S8_S8_S8_S8_S8_EEEEZNS1_11reduce_implILb1ES3_PS9_SC_S9_NS6_11hip_rocprim9__find_if7functorIS9_EEEE10hipError_tPvRmT1_T2_T3_mT4_P12ihipStream_tbEUlT_E0_NS1_11comp_targetILNS1_3genE2ELNS1_11target_archE906ELNS1_3gpuE6ELNS1_3repE0EEENS1_30default_config_static_selectorELNS0_4arch9wavefront6targetE0EEEvSK_,"axG",@progbits,_ZN7rocprim17ROCPRIM_400000_NS6detail17trampoline_kernelINS0_14default_configENS1_22reduce_config_selectorIN6thrust23THRUST_200600_302600_NS5tupleIblNS6_9null_typeES8_S8_S8_S8_S8_S8_S8_EEEEZNS1_11reduce_implILb1ES3_PS9_SC_S9_NS6_11hip_rocprim9__find_if7functorIS9_EEEE10hipError_tPvRmT1_T2_T3_mT4_P12ihipStream_tbEUlT_E0_NS1_11comp_targetILNS1_3genE2ELNS1_11target_archE906ELNS1_3gpuE6ELNS1_3repE0EEENS1_30default_config_static_selectorELNS0_4arch9wavefront6targetE0EEEvSK_,comdat
.Lfunc_end23:
	.size	_ZN7rocprim17ROCPRIM_400000_NS6detail17trampoline_kernelINS0_14default_configENS1_22reduce_config_selectorIN6thrust23THRUST_200600_302600_NS5tupleIblNS6_9null_typeES8_S8_S8_S8_S8_S8_S8_EEEEZNS1_11reduce_implILb1ES3_PS9_SC_S9_NS6_11hip_rocprim9__find_if7functorIS9_EEEE10hipError_tPvRmT1_T2_T3_mT4_P12ihipStream_tbEUlT_E0_NS1_11comp_targetILNS1_3genE2ELNS1_11target_archE906ELNS1_3gpuE6ELNS1_3repE0EEENS1_30default_config_static_selectorELNS0_4arch9wavefront6targetE0EEEvSK_, .Lfunc_end23-_ZN7rocprim17ROCPRIM_400000_NS6detail17trampoline_kernelINS0_14default_configENS1_22reduce_config_selectorIN6thrust23THRUST_200600_302600_NS5tupleIblNS6_9null_typeES8_S8_S8_S8_S8_S8_S8_EEEEZNS1_11reduce_implILb1ES3_PS9_SC_S9_NS6_11hip_rocprim9__find_if7functorIS9_EEEE10hipError_tPvRmT1_T2_T3_mT4_P12ihipStream_tbEUlT_E0_NS1_11comp_targetILNS1_3genE2ELNS1_11target_archE906ELNS1_3gpuE6ELNS1_3repE0EEENS1_30default_config_static_selectorELNS0_4arch9wavefront6targetE0EEEvSK_
                                        ; -- End function
	.set _ZN7rocprim17ROCPRIM_400000_NS6detail17trampoline_kernelINS0_14default_configENS1_22reduce_config_selectorIN6thrust23THRUST_200600_302600_NS5tupleIblNS6_9null_typeES8_S8_S8_S8_S8_S8_S8_EEEEZNS1_11reduce_implILb1ES3_PS9_SC_S9_NS6_11hip_rocprim9__find_if7functorIS9_EEEE10hipError_tPvRmT1_T2_T3_mT4_P12ihipStream_tbEUlT_E0_NS1_11comp_targetILNS1_3genE2ELNS1_11target_archE906ELNS1_3gpuE6ELNS1_3repE0EEENS1_30default_config_static_selectorELNS0_4arch9wavefront6targetE0EEEvSK_.num_vgpr, 0
	.set _ZN7rocprim17ROCPRIM_400000_NS6detail17trampoline_kernelINS0_14default_configENS1_22reduce_config_selectorIN6thrust23THRUST_200600_302600_NS5tupleIblNS6_9null_typeES8_S8_S8_S8_S8_S8_S8_EEEEZNS1_11reduce_implILb1ES3_PS9_SC_S9_NS6_11hip_rocprim9__find_if7functorIS9_EEEE10hipError_tPvRmT1_T2_T3_mT4_P12ihipStream_tbEUlT_E0_NS1_11comp_targetILNS1_3genE2ELNS1_11target_archE906ELNS1_3gpuE6ELNS1_3repE0EEENS1_30default_config_static_selectorELNS0_4arch9wavefront6targetE0EEEvSK_.num_agpr, 0
	.set _ZN7rocprim17ROCPRIM_400000_NS6detail17trampoline_kernelINS0_14default_configENS1_22reduce_config_selectorIN6thrust23THRUST_200600_302600_NS5tupleIblNS6_9null_typeES8_S8_S8_S8_S8_S8_S8_EEEEZNS1_11reduce_implILb1ES3_PS9_SC_S9_NS6_11hip_rocprim9__find_if7functorIS9_EEEE10hipError_tPvRmT1_T2_T3_mT4_P12ihipStream_tbEUlT_E0_NS1_11comp_targetILNS1_3genE2ELNS1_11target_archE906ELNS1_3gpuE6ELNS1_3repE0EEENS1_30default_config_static_selectorELNS0_4arch9wavefront6targetE0EEEvSK_.numbered_sgpr, 0
	.set _ZN7rocprim17ROCPRIM_400000_NS6detail17trampoline_kernelINS0_14default_configENS1_22reduce_config_selectorIN6thrust23THRUST_200600_302600_NS5tupleIblNS6_9null_typeES8_S8_S8_S8_S8_S8_S8_EEEEZNS1_11reduce_implILb1ES3_PS9_SC_S9_NS6_11hip_rocprim9__find_if7functorIS9_EEEE10hipError_tPvRmT1_T2_T3_mT4_P12ihipStream_tbEUlT_E0_NS1_11comp_targetILNS1_3genE2ELNS1_11target_archE906ELNS1_3gpuE6ELNS1_3repE0EEENS1_30default_config_static_selectorELNS0_4arch9wavefront6targetE0EEEvSK_.num_named_barrier, 0
	.set _ZN7rocprim17ROCPRIM_400000_NS6detail17trampoline_kernelINS0_14default_configENS1_22reduce_config_selectorIN6thrust23THRUST_200600_302600_NS5tupleIblNS6_9null_typeES8_S8_S8_S8_S8_S8_S8_EEEEZNS1_11reduce_implILb1ES3_PS9_SC_S9_NS6_11hip_rocprim9__find_if7functorIS9_EEEE10hipError_tPvRmT1_T2_T3_mT4_P12ihipStream_tbEUlT_E0_NS1_11comp_targetILNS1_3genE2ELNS1_11target_archE906ELNS1_3gpuE6ELNS1_3repE0EEENS1_30default_config_static_selectorELNS0_4arch9wavefront6targetE0EEEvSK_.private_seg_size, 0
	.set _ZN7rocprim17ROCPRIM_400000_NS6detail17trampoline_kernelINS0_14default_configENS1_22reduce_config_selectorIN6thrust23THRUST_200600_302600_NS5tupleIblNS6_9null_typeES8_S8_S8_S8_S8_S8_S8_EEEEZNS1_11reduce_implILb1ES3_PS9_SC_S9_NS6_11hip_rocprim9__find_if7functorIS9_EEEE10hipError_tPvRmT1_T2_T3_mT4_P12ihipStream_tbEUlT_E0_NS1_11comp_targetILNS1_3genE2ELNS1_11target_archE906ELNS1_3gpuE6ELNS1_3repE0EEENS1_30default_config_static_selectorELNS0_4arch9wavefront6targetE0EEEvSK_.uses_vcc, 0
	.set _ZN7rocprim17ROCPRIM_400000_NS6detail17trampoline_kernelINS0_14default_configENS1_22reduce_config_selectorIN6thrust23THRUST_200600_302600_NS5tupleIblNS6_9null_typeES8_S8_S8_S8_S8_S8_S8_EEEEZNS1_11reduce_implILb1ES3_PS9_SC_S9_NS6_11hip_rocprim9__find_if7functorIS9_EEEE10hipError_tPvRmT1_T2_T3_mT4_P12ihipStream_tbEUlT_E0_NS1_11comp_targetILNS1_3genE2ELNS1_11target_archE906ELNS1_3gpuE6ELNS1_3repE0EEENS1_30default_config_static_selectorELNS0_4arch9wavefront6targetE0EEEvSK_.uses_flat_scratch, 0
	.set _ZN7rocprim17ROCPRIM_400000_NS6detail17trampoline_kernelINS0_14default_configENS1_22reduce_config_selectorIN6thrust23THRUST_200600_302600_NS5tupleIblNS6_9null_typeES8_S8_S8_S8_S8_S8_S8_EEEEZNS1_11reduce_implILb1ES3_PS9_SC_S9_NS6_11hip_rocprim9__find_if7functorIS9_EEEE10hipError_tPvRmT1_T2_T3_mT4_P12ihipStream_tbEUlT_E0_NS1_11comp_targetILNS1_3genE2ELNS1_11target_archE906ELNS1_3gpuE6ELNS1_3repE0EEENS1_30default_config_static_selectorELNS0_4arch9wavefront6targetE0EEEvSK_.has_dyn_sized_stack, 0
	.set _ZN7rocprim17ROCPRIM_400000_NS6detail17trampoline_kernelINS0_14default_configENS1_22reduce_config_selectorIN6thrust23THRUST_200600_302600_NS5tupleIblNS6_9null_typeES8_S8_S8_S8_S8_S8_S8_EEEEZNS1_11reduce_implILb1ES3_PS9_SC_S9_NS6_11hip_rocprim9__find_if7functorIS9_EEEE10hipError_tPvRmT1_T2_T3_mT4_P12ihipStream_tbEUlT_E0_NS1_11comp_targetILNS1_3genE2ELNS1_11target_archE906ELNS1_3gpuE6ELNS1_3repE0EEENS1_30default_config_static_selectorELNS0_4arch9wavefront6targetE0EEEvSK_.has_recursion, 0
	.set _ZN7rocprim17ROCPRIM_400000_NS6detail17trampoline_kernelINS0_14default_configENS1_22reduce_config_selectorIN6thrust23THRUST_200600_302600_NS5tupleIblNS6_9null_typeES8_S8_S8_S8_S8_S8_S8_EEEEZNS1_11reduce_implILb1ES3_PS9_SC_S9_NS6_11hip_rocprim9__find_if7functorIS9_EEEE10hipError_tPvRmT1_T2_T3_mT4_P12ihipStream_tbEUlT_E0_NS1_11comp_targetILNS1_3genE2ELNS1_11target_archE906ELNS1_3gpuE6ELNS1_3repE0EEENS1_30default_config_static_selectorELNS0_4arch9wavefront6targetE0EEEvSK_.has_indirect_call, 0
	.section	.AMDGPU.csdata,"",@progbits
; Kernel info:
; codeLenInByte = 0
; TotalNumSgprs: 0
; NumVgprs: 0
; ScratchSize: 0
; MemoryBound: 0
; FloatMode: 240
; IeeeMode: 1
; LDSByteSize: 0 bytes/workgroup (compile time only)
; SGPRBlocks: 0
; VGPRBlocks: 0
; NumSGPRsForWavesPerEU: 1
; NumVGPRsForWavesPerEU: 1
; NamedBarCnt: 0
; Occupancy: 16
; WaveLimiterHint : 0
; COMPUTE_PGM_RSRC2:SCRATCH_EN: 0
; COMPUTE_PGM_RSRC2:USER_SGPR: 2
; COMPUTE_PGM_RSRC2:TRAP_HANDLER: 0
; COMPUTE_PGM_RSRC2:TGID_X_EN: 1
; COMPUTE_PGM_RSRC2:TGID_Y_EN: 0
; COMPUTE_PGM_RSRC2:TGID_Z_EN: 0
; COMPUTE_PGM_RSRC2:TIDIG_COMP_CNT: 0
	.section	.text._ZN7rocprim17ROCPRIM_400000_NS6detail17trampoline_kernelINS0_14default_configENS1_22reduce_config_selectorIN6thrust23THRUST_200600_302600_NS5tupleIblNS6_9null_typeES8_S8_S8_S8_S8_S8_S8_EEEEZNS1_11reduce_implILb1ES3_PS9_SC_S9_NS6_11hip_rocprim9__find_if7functorIS9_EEEE10hipError_tPvRmT1_T2_T3_mT4_P12ihipStream_tbEUlT_E0_NS1_11comp_targetILNS1_3genE10ELNS1_11target_archE1201ELNS1_3gpuE5ELNS1_3repE0EEENS1_30default_config_static_selectorELNS0_4arch9wavefront6targetE0EEEvSK_,"axG",@progbits,_ZN7rocprim17ROCPRIM_400000_NS6detail17trampoline_kernelINS0_14default_configENS1_22reduce_config_selectorIN6thrust23THRUST_200600_302600_NS5tupleIblNS6_9null_typeES8_S8_S8_S8_S8_S8_S8_EEEEZNS1_11reduce_implILb1ES3_PS9_SC_S9_NS6_11hip_rocprim9__find_if7functorIS9_EEEE10hipError_tPvRmT1_T2_T3_mT4_P12ihipStream_tbEUlT_E0_NS1_11comp_targetILNS1_3genE10ELNS1_11target_archE1201ELNS1_3gpuE5ELNS1_3repE0EEENS1_30default_config_static_selectorELNS0_4arch9wavefront6targetE0EEEvSK_,comdat
	.protected	_ZN7rocprim17ROCPRIM_400000_NS6detail17trampoline_kernelINS0_14default_configENS1_22reduce_config_selectorIN6thrust23THRUST_200600_302600_NS5tupleIblNS6_9null_typeES8_S8_S8_S8_S8_S8_S8_EEEEZNS1_11reduce_implILb1ES3_PS9_SC_S9_NS6_11hip_rocprim9__find_if7functorIS9_EEEE10hipError_tPvRmT1_T2_T3_mT4_P12ihipStream_tbEUlT_E0_NS1_11comp_targetILNS1_3genE10ELNS1_11target_archE1201ELNS1_3gpuE5ELNS1_3repE0EEENS1_30default_config_static_selectorELNS0_4arch9wavefront6targetE0EEEvSK_ ; -- Begin function _ZN7rocprim17ROCPRIM_400000_NS6detail17trampoline_kernelINS0_14default_configENS1_22reduce_config_selectorIN6thrust23THRUST_200600_302600_NS5tupleIblNS6_9null_typeES8_S8_S8_S8_S8_S8_S8_EEEEZNS1_11reduce_implILb1ES3_PS9_SC_S9_NS6_11hip_rocprim9__find_if7functorIS9_EEEE10hipError_tPvRmT1_T2_T3_mT4_P12ihipStream_tbEUlT_E0_NS1_11comp_targetILNS1_3genE10ELNS1_11target_archE1201ELNS1_3gpuE5ELNS1_3repE0EEENS1_30default_config_static_selectorELNS0_4arch9wavefront6targetE0EEEvSK_
	.globl	_ZN7rocprim17ROCPRIM_400000_NS6detail17trampoline_kernelINS0_14default_configENS1_22reduce_config_selectorIN6thrust23THRUST_200600_302600_NS5tupleIblNS6_9null_typeES8_S8_S8_S8_S8_S8_S8_EEEEZNS1_11reduce_implILb1ES3_PS9_SC_S9_NS6_11hip_rocprim9__find_if7functorIS9_EEEE10hipError_tPvRmT1_T2_T3_mT4_P12ihipStream_tbEUlT_E0_NS1_11comp_targetILNS1_3genE10ELNS1_11target_archE1201ELNS1_3gpuE5ELNS1_3repE0EEENS1_30default_config_static_selectorELNS0_4arch9wavefront6targetE0EEEvSK_
	.p2align	8
	.type	_ZN7rocprim17ROCPRIM_400000_NS6detail17trampoline_kernelINS0_14default_configENS1_22reduce_config_selectorIN6thrust23THRUST_200600_302600_NS5tupleIblNS6_9null_typeES8_S8_S8_S8_S8_S8_S8_EEEEZNS1_11reduce_implILb1ES3_PS9_SC_S9_NS6_11hip_rocprim9__find_if7functorIS9_EEEE10hipError_tPvRmT1_T2_T3_mT4_P12ihipStream_tbEUlT_E0_NS1_11comp_targetILNS1_3genE10ELNS1_11target_archE1201ELNS1_3gpuE5ELNS1_3repE0EEENS1_30default_config_static_selectorELNS0_4arch9wavefront6targetE0EEEvSK_,@function
_ZN7rocprim17ROCPRIM_400000_NS6detail17trampoline_kernelINS0_14default_configENS1_22reduce_config_selectorIN6thrust23THRUST_200600_302600_NS5tupleIblNS6_9null_typeES8_S8_S8_S8_S8_S8_S8_EEEEZNS1_11reduce_implILb1ES3_PS9_SC_S9_NS6_11hip_rocprim9__find_if7functorIS9_EEEE10hipError_tPvRmT1_T2_T3_mT4_P12ihipStream_tbEUlT_E0_NS1_11comp_targetILNS1_3genE10ELNS1_11target_archE1201ELNS1_3gpuE5ELNS1_3repE0EEENS1_30default_config_static_selectorELNS0_4arch9wavefront6targetE0EEEvSK_: ; @_ZN7rocprim17ROCPRIM_400000_NS6detail17trampoline_kernelINS0_14default_configENS1_22reduce_config_selectorIN6thrust23THRUST_200600_302600_NS5tupleIblNS6_9null_typeES8_S8_S8_S8_S8_S8_S8_EEEEZNS1_11reduce_implILb1ES3_PS9_SC_S9_NS6_11hip_rocprim9__find_if7functorIS9_EEEE10hipError_tPvRmT1_T2_T3_mT4_P12ihipStream_tbEUlT_E0_NS1_11comp_targetILNS1_3genE10ELNS1_11target_archE1201ELNS1_3gpuE5ELNS1_3repE0EEENS1_30default_config_static_selectorELNS0_4arch9wavefront6targetE0EEEvSK_
; %bb.0:
	.section	.rodata,"a",@progbits
	.p2align	6, 0x0
	.amdhsa_kernel _ZN7rocprim17ROCPRIM_400000_NS6detail17trampoline_kernelINS0_14default_configENS1_22reduce_config_selectorIN6thrust23THRUST_200600_302600_NS5tupleIblNS6_9null_typeES8_S8_S8_S8_S8_S8_S8_EEEEZNS1_11reduce_implILb1ES3_PS9_SC_S9_NS6_11hip_rocprim9__find_if7functorIS9_EEEE10hipError_tPvRmT1_T2_T3_mT4_P12ihipStream_tbEUlT_E0_NS1_11comp_targetILNS1_3genE10ELNS1_11target_archE1201ELNS1_3gpuE5ELNS1_3repE0EEENS1_30default_config_static_selectorELNS0_4arch9wavefront6targetE0EEEvSK_
		.amdhsa_group_segment_fixed_size 0
		.amdhsa_private_segment_fixed_size 0
		.amdhsa_kernarg_size 72
		.amdhsa_user_sgpr_count 2
		.amdhsa_user_sgpr_dispatch_ptr 0
		.amdhsa_user_sgpr_queue_ptr 0
		.amdhsa_user_sgpr_kernarg_segment_ptr 1
		.amdhsa_user_sgpr_dispatch_id 0
		.amdhsa_user_sgpr_kernarg_preload_length 0
		.amdhsa_user_sgpr_kernarg_preload_offset 0
		.amdhsa_user_sgpr_private_segment_size 0
		.amdhsa_wavefront_size32 1
		.amdhsa_uses_dynamic_stack 0
		.amdhsa_enable_private_segment 0
		.amdhsa_system_sgpr_workgroup_id_x 1
		.amdhsa_system_sgpr_workgroup_id_y 0
		.amdhsa_system_sgpr_workgroup_id_z 0
		.amdhsa_system_sgpr_workgroup_info 0
		.amdhsa_system_vgpr_workitem_id 0
		.amdhsa_next_free_vgpr 1
		.amdhsa_next_free_sgpr 1
		.amdhsa_named_barrier_count 0
		.amdhsa_reserve_vcc 0
		.amdhsa_float_round_mode_32 0
		.amdhsa_float_round_mode_16_64 0
		.amdhsa_float_denorm_mode_32 3
		.amdhsa_float_denorm_mode_16_64 3
		.amdhsa_fp16_overflow 0
		.amdhsa_memory_ordered 1
		.amdhsa_forward_progress 1
		.amdhsa_inst_pref_size 0
		.amdhsa_round_robin_scheduling 0
		.amdhsa_exception_fp_ieee_invalid_op 0
		.amdhsa_exception_fp_denorm_src 0
		.amdhsa_exception_fp_ieee_div_zero 0
		.amdhsa_exception_fp_ieee_overflow 0
		.amdhsa_exception_fp_ieee_underflow 0
		.amdhsa_exception_fp_ieee_inexact 0
		.amdhsa_exception_int_div_zero 0
	.end_amdhsa_kernel
	.section	.text._ZN7rocprim17ROCPRIM_400000_NS6detail17trampoline_kernelINS0_14default_configENS1_22reduce_config_selectorIN6thrust23THRUST_200600_302600_NS5tupleIblNS6_9null_typeES8_S8_S8_S8_S8_S8_S8_EEEEZNS1_11reduce_implILb1ES3_PS9_SC_S9_NS6_11hip_rocprim9__find_if7functorIS9_EEEE10hipError_tPvRmT1_T2_T3_mT4_P12ihipStream_tbEUlT_E0_NS1_11comp_targetILNS1_3genE10ELNS1_11target_archE1201ELNS1_3gpuE5ELNS1_3repE0EEENS1_30default_config_static_selectorELNS0_4arch9wavefront6targetE0EEEvSK_,"axG",@progbits,_ZN7rocprim17ROCPRIM_400000_NS6detail17trampoline_kernelINS0_14default_configENS1_22reduce_config_selectorIN6thrust23THRUST_200600_302600_NS5tupleIblNS6_9null_typeES8_S8_S8_S8_S8_S8_S8_EEEEZNS1_11reduce_implILb1ES3_PS9_SC_S9_NS6_11hip_rocprim9__find_if7functorIS9_EEEE10hipError_tPvRmT1_T2_T3_mT4_P12ihipStream_tbEUlT_E0_NS1_11comp_targetILNS1_3genE10ELNS1_11target_archE1201ELNS1_3gpuE5ELNS1_3repE0EEENS1_30default_config_static_selectorELNS0_4arch9wavefront6targetE0EEEvSK_,comdat
.Lfunc_end24:
	.size	_ZN7rocprim17ROCPRIM_400000_NS6detail17trampoline_kernelINS0_14default_configENS1_22reduce_config_selectorIN6thrust23THRUST_200600_302600_NS5tupleIblNS6_9null_typeES8_S8_S8_S8_S8_S8_S8_EEEEZNS1_11reduce_implILb1ES3_PS9_SC_S9_NS6_11hip_rocprim9__find_if7functorIS9_EEEE10hipError_tPvRmT1_T2_T3_mT4_P12ihipStream_tbEUlT_E0_NS1_11comp_targetILNS1_3genE10ELNS1_11target_archE1201ELNS1_3gpuE5ELNS1_3repE0EEENS1_30default_config_static_selectorELNS0_4arch9wavefront6targetE0EEEvSK_, .Lfunc_end24-_ZN7rocprim17ROCPRIM_400000_NS6detail17trampoline_kernelINS0_14default_configENS1_22reduce_config_selectorIN6thrust23THRUST_200600_302600_NS5tupleIblNS6_9null_typeES8_S8_S8_S8_S8_S8_S8_EEEEZNS1_11reduce_implILb1ES3_PS9_SC_S9_NS6_11hip_rocprim9__find_if7functorIS9_EEEE10hipError_tPvRmT1_T2_T3_mT4_P12ihipStream_tbEUlT_E0_NS1_11comp_targetILNS1_3genE10ELNS1_11target_archE1201ELNS1_3gpuE5ELNS1_3repE0EEENS1_30default_config_static_selectorELNS0_4arch9wavefront6targetE0EEEvSK_
                                        ; -- End function
	.set _ZN7rocprim17ROCPRIM_400000_NS6detail17trampoline_kernelINS0_14default_configENS1_22reduce_config_selectorIN6thrust23THRUST_200600_302600_NS5tupleIblNS6_9null_typeES8_S8_S8_S8_S8_S8_S8_EEEEZNS1_11reduce_implILb1ES3_PS9_SC_S9_NS6_11hip_rocprim9__find_if7functorIS9_EEEE10hipError_tPvRmT1_T2_T3_mT4_P12ihipStream_tbEUlT_E0_NS1_11comp_targetILNS1_3genE10ELNS1_11target_archE1201ELNS1_3gpuE5ELNS1_3repE0EEENS1_30default_config_static_selectorELNS0_4arch9wavefront6targetE0EEEvSK_.num_vgpr, 0
	.set _ZN7rocprim17ROCPRIM_400000_NS6detail17trampoline_kernelINS0_14default_configENS1_22reduce_config_selectorIN6thrust23THRUST_200600_302600_NS5tupleIblNS6_9null_typeES8_S8_S8_S8_S8_S8_S8_EEEEZNS1_11reduce_implILb1ES3_PS9_SC_S9_NS6_11hip_rocprim9__find_if7functorIS9_EEEE10hipError_tPvRmT1_T2_T3_mT4_P12ihipStream_tbEUlT_E0_NS1_11comp_targetILNS1_3genE10ELNS1_11target_archE1201ELNS1_3gpuE5ELNS1_3repE0EEENS1_30default_config_static_selectorELNS0_4arch9wavefront6targetE0EEEvSK_.num_agpr, 0
	.set _ZN7rocprim17ROCPRIM_400000_NS6detail17trampoline_kernelINS0_14default_configENS1_22reduce_config_selectorIN6thrust23THRUST_200600_302600_NS5tupleIblNS6_9null_typeES8_S8_S8_S8_S8_S8_S8_EEEEZNS1_11reduce_implILb1ES3_PS9_SC_S9_NS6_11hip_rocprim9__find_if7functorIS9_EEEE10hipError_tPvRmT1_T2_T3_mT4_P12ihipStream_tbEUlT_E0_NS1_11comp_targetILNS1_3genE10ELNS1_11target_archE1201ELNS1_3gpuE5ELNS1_3repE0EEENS1_30default_config_static_selectorELNS0_4arch9wavefront6targetE0EEEvSK_.numbered_sgpr, 0
	.set _ZN7rocprim17ROCPRIM_400000_NS6detail17trampoline_kernelINS0_14default_configENS1_22reduce_config_selectorIN6thrust23THRUST_200600_302600_NS5tupleIblNS6_9null_typeES8_S8_S8_S8_S8_S8_S8_EEEEZNS1_11reduce_implILb1ES3_PS9_SC_S9_NS6_11hip_rocprim9__find_if7functorIS9_EEEE10hipError_tPvRmT1_T2_T3_mT4_P12ihipStream_tbEUlT_E0_NS1_11comp_targetILNS1_3genE10ELNS1_11target_archE1201ELNS1_3gpuE5ELNS1_3repE0EEENS1_30default_config_static_selectorELNS0_4arch9wavefront6targetE0EEEvSK_.num_named_barrier, 0
	.set _ZN7rocprim17ROCPRIM_400000_NS6detail17trampoline_kernelINS0_14default_configENS1_22reduce_config_selectorIN6thrust23THRUST_200600_302600_NS5tupleIblNS6_9null_typeES8_S8_S8_S8_S8_S8_S8_EEEEZNS1_11reduce_implILb1ES3_PS9_SC_S9_NS6_11hip_rocprim9__find_if7functorIS9_EEEE10hipError_tPvRmT1_T2_T3_mT4_P12ihipStream_tbEUlT_E0_NS1_11comp_targetILNS1_3genE10ELNS1_11target_archE1201ELNS1_3gpuE5ELNS1_3repE0EEENS1_30default_config_static_selectorELNS0_4arch9wavefront6targetE0EEEvSK_.private_seg_size, 0
	.set _ZN7rocprim17ROCPRIM_400000_NS6detail17trampoline_kernelINS0_14default_configENS1_22reduce_config_selectorIN6thrust23THRUST_200600_302600_NS5tupleIblNS6_9null_typeES8_S8_S8_S8_S8_S8_S8_EEEEZNS1_11reduce_implILb1ES3_PS9_SC_S9_NS6_11hip_rocprim9__find_if7functorIS9_EEEE10hipError_tPvRmT1_T2_T3_mT4_P12ihipStream_tbEUlT_E0_NS1_11comp_targetILNS1_3genE10ELNS1_11target_archE1201ELNS1_3gpuE5ELNS1_3repE0EEENS1_30default_config_static_selectorELNS0_4arch9wavefront6targetE0EEEvSK_.uses_vcc, 0
	.set _ZN7rocprim17ROCPRIM_400000_NS6detail17trampoline_kernelINS0_14default_configENS1_22reduce_config_selectorIN6thrust23THRUST_200600_302600_NS5tupleIblNS6_9null_typeES8_S8_S8_S8_S8_S8_S8_EEEEZNS1_11reduce_implILb1ES3_PS9_SC_S9_NS6_11hip_rocprim9__find_if7functorIS9_EEEE10hipError_tPvRmT1_T2_T3_mT4_P12ihipStream_tbEUlT_E0_NS1_11comp_targetILNS1_3genE10ELNS1_11target_archE1201ELNS1_3gpuE5ELNS1_3repE0EEENS1_30default_config_static_selectorELNS0_4arch9wavefront6targetE0EEEvSK_.uses_flat_scratch, 0
	.set _ZN7rocprim17ROCPRIM_400000_NS6detail17trampoline_kernelINS0_14default_configENS1_22reduce_config_selectorIN6thrust23THRUST_200600_302600_NS5tupleIblNS6_9null_typeES8_S8_S8_S8_S8_S8_S8_EEEEZNS1_11reduce_implILb1ES3_PS9_SC_S9_NS6_11hip_rocprim9__find_if7functorIS9_EEEE10hipError_tPvRmT1_T2_T3_mT4_P12ihipStream_tbEUlT_E0_NS1_11comp_targetILNS1_3genE10ELNS1_11target_archE1201ELNS1_3gpuE5ELNS1_3repE0EEENS1_30default_config_static_selectorELNS0_4arch9wavefront6targetE0EEEvSK_.has_dyn_sized_stack, 0
	.set _ZN7rocprim17ROCPRIM_400000_NS6detail17trampoline_kernelINS0_14default_configENS1_22reduce_config_selectorIN6thrust23THRUST_200600_302600_NS5tupleIblNS6_9null_typeES8_S8_S8_S8_S8_S8_S8_EEEEZNS1_11reduce_implILb1ES3_PS9_SC_S9_NS6_11hip_rocprim9__find_if7functorIS9_EEEE10hipError_tPvRmT1_T2_T3_mT4_P12ihipStream_tbEUlT_E0_NS1_11comp_targetILNS1_3genE10ELNS1_11target_archE1201ELNS1_3gpuE5ELNS1_3repE0EEENS1_30default_config_static_selectorELNS0_4arch9wavefront6targetE0EEEvSK_.has_recursion, 0
	.set _ZN7rocprim17ROCPRIM_400000_NS6detail17trampoline_kernelINS0_14default_configENS1_22reduce_config_selectorIN6thrust23THRUST_200600_302600_NS5tupleIblNS6_9null_typeES8_S8_S8_S8_S8_S8_S8_EEEEZNS1_11reduce_implILb1ES3_PS9_SC_S9_NS6_11hip_rocprim9__find_if7functorIS9_EEEE10hipError_tPvRmT1_T2_T3_mT4_P12ihipStream_tbEUlT_E0_NS1_11comp_targetILNS1_3genE10ELNS1_11target_archE1201ELNS1_3gpuE5ELNS1_3repE0EEENS1_30default_config_static_selectorELNS0_4arch9wavefront6targetE0EEEvSK_.has_indirect_call, 0
	.section	.AMDGPU.csdata,"",@progbits
; Kernel info:
; codeLenInByte = 0
; TotalNumSgprs: 0
; NumVgprs: 0
; ScratchSize: 0
; MemoryBound: 0
; FloatMode: 240
; IeeeMode: 1
; LDSByteSize: 0 bytes/workgroup (compile time only)
; SGPRBlocks: 0
; VGPRBlocks: 0
; NumSGPRsForWavesPerEU: 1
; NumVGPRsForWavesPerEU: 1
; NamedBarCnt: 0
; Occupancy: 16
; WaveLimiterHint : 0
; COMPUTE_PGM_RSRC2:SCRATCH_EN: 0
; COMPUTE_PGM_RSRC2:USER_SGPR: 2
; COMPUTE_PGM_RSRC2:TRAP_HANDLER: 0
; COMPUTE_PGM_RSRC2:TGID_X_EN: 1
; COMPUTE_PGM_RSRC2:TGID_Y_EN: 0
; COMPUTE_PGM_RSRC2:TGID_Z_EN: 0
; COMPUTE_PGM_RSRC2:TIDIG_COMP_CNT: 0
	.section	.text._ZN7rocprim17ROCPRIM_400000_NS6detail17trampoline_kernelINS0_14default_configENS1_22reduce_config_selectorIN6thrust23THRUST_200600_302600_NS5tupleIblNS6_9null_typeES8_S8_S8_S8_S8_S8_S8_EEEEZNS1_11reduce_implILb1ES3_PS9_SC_S9_NS6_11hip_rocprim9__find_if7functorIS9_EEEE10hipError_tPvRmT1_T2_T3_mT4_P12ihipStream_tbEUlT_E0_NS1_11comp_targetILNS1_3genE10ELNS1_11target_archE1200ELNS1_3gpuE4ELNS1_3repE0EEENS1_30default_config_static_selectorELNS0_4arch9wavefront6targetE0EEEvSK_,"axG",@progbits,_ZN7rocprim17ROCPRIM_400000_NS6detail17trampoline_kernelINS0_14default_configENS1_22reduce_config_selectorIN6thrust23THRUST_200600_302600_NS5tupleIblNS6_9null_typeES8_S8_S8_S8_S8_S8_S8_EEEEZNS1_11reduce_implILb1ES3_PS9_SC_S9_NS6_11hip_rocprim9__find_if7functorIS9_EEEE10hipError_tPvRmT1_T2_T3_mT4_P12ihipStream_tbEUlT_E0_NS1_11comp_targetILNS1_3genE10ELNS1_11target_archE1200ELNS1_3gpuE4ELNS1_3repE0EEENS1_30default_config_static_selectorELNS0_4arch9wavefront6targetE0EEEvSK_,comdat
	.protected	_ZN7rocprim17ROCPRIM_400000_NS6detail17trampoline_kernelINS0_14default_configENS1_22reduce_config_selectorIN6thrust23THRUST_200600_302600_NS5tupleIblNS6_9null_typeES8_S8_S8_S8_S8_S8_S8_EEEEZNS1_11reduce_implILb1ES3_PS9_SC_S9_NS6_11hip_rocprim9__find_if7functorIS9_EEEE10hipError_tPvRmT1_T2_T3_mT4_P12ihipStream_tbEUlT_E0_NS1_11comp_targetILNS1_3genE10ELNS1_11target_archE1200ELNS1_3gpuE4ELNS1_3repE0EEENS1_30default_config_static_selectorELNS0_4arch9wavefront6targetE0EEEvSK_ ; -- Begin function _ZN7rocprim17ROCPRIM_400000_NS6detail17trampoline_kernelINS0_14default_configENS1_22reduce_config_selectorIN6thrust23THRUST_200600_302600_NS5tupleIblNS6_9null_typeES8_S8_S8_S8_S8_S8_S8_EEEEZNS1_11reduce_implILb1ES3_PS9_SC_S9_NS6_11hip_rocprim9__find_if7functorIS9_EEEE10hipError_tPvRmT1_T2_T3_mT4_P12ihipStream_tbEUlT_E0_NS1_11comp_targetILNS1_3genE10ELNS1_11target_archE1200ELNS1_3gpuE4ELNS1_3repE0EEENS1_30default_config_static_selectorELNS0_4arch9wavefront6targetE0EEEvSK_
	.globl	_ZN7rocprim17ROCPRIM_400000_NS6detail17trampoline_kernelINS0_14default_configENS1_22reduce_config_selectorIN6thrust23THRUST_200600_302600_NS5tupleIblNS6_9null_typeES8_S8_S8_S8_S8_S8_S8_EEEEZNS1_11reduce_implILb1ES3_PS9_SC_S9_NS6_11hip_rocprim9__find_if7functorIS9_EEEE10hipError_tPvRmT1_T2_T3_mT4_P12ihipStream_tbEUlT_E0_NS1_11comp_targetILNS1_3genE10ELNS1_11target_archE1200ELNS1_3gpuE4ELNS1_3repE0EEENS1_30default_config_static_selectorELNS0_4arch9wavefront6targetE0EEEvSK_
	.p2align	8
	.type	_ZN7rocprim17ROCPRIM_400000_NS6detail17trampoline_kernelINS0_14default_configENS1_22reduce_config_selectorIN6thrust23THRUST_200600_302600_NS5tupleIblNS6_9null_typeES8_S8_S8_S8_S8_S8_S8_EEEEZNS1_11reduce_implILb1ES3_PS9_SC_S9_NS6_11hip_rocprim9__find_if7functorIS9_EEEE10hipError_tPvRmT1_T2_T3_mT4_P12ihipStream_tbEUlT_E0_NS1_11comp_targetILNS1_3genE10ELNS1_11target_archE1200ELNS1_3gpuE4ELNS1_3repE0EEENS1_30default_config_static_selectorELNS0_4arch9wavefront6targetE0EEEvSK_,@function
_ZN7rocprim17ROCPRIM_400000_NS6detail17trampoline_kernelINS0_14default_configENS1_22reduce_config_selectorIN6thrust23THRUST_200600_302600_NS5tupleIblNS6_9null_typeES8_S8_S8_S8_S8_S8_S8_EEEEZNS1_11reduce_implILb1ES3_PS9_SC_S9_NS6_11hip_rocprim9__find_if7functorIS9_EEEE10hipError_tPvRmT1_T2_T3_mT4_P12ihipStream_tbEUlT_E0_NS1_11comp_targetILNS1_3genE10ELNS1_11target_archE1200ELNS1_3gpuE4ELNS1_3repE0EEENS1_30default_config_static_selectorELNS0_4arch9wavefront6targetE0EEEvSK_: ; @_ZN7rocprim17ROCPRIM_400000_NS6detail17trampoline_kernelINS0_14default_configENS1_22reduce_config_selectorIN6thrust23THRUST_200600_302600_NS5tupleIblNS6_9null_typeES8_S8_S8_S8_S8_S8_S8_EEEEZNS1_11reduce_implILb1ES3_PS9_SC_S9_NS6_11hip_rocprim9__find_if7functorIS9_EEEE10hipError_tPvRmT1_T2_T3_mT4_P12ihipStream_tbEUlT_E0_NS1_11comp_targetILNS1_3genE10ELNS1_11target_archE1200ELNS1_3gpuE4ELNS1_3repE0EEENS1_30default_config_static_selectorELNS0_4arch9wavefront6targetE0EEEvSK_
; %bb.0:
	.section	.rodata,"a",@progbits
	.p2align	6, 0x0
	.amdhsa_kernel _ZN7rocprim17ROCPRIM_400000_NS6detail17trampoline_kernelINS0_14default_configENS1_22reduce_config_selectorIN6thrust23THRUST_200600_302600_NS5tupleIblNS6_9null_typeES8_S8_S8_S8_S8_S8_S8_EEEEZNS1_11reduce_implILb1ES3_PS9_SC_S9_NS6_11hip_rocprim9__find_if7functorIS9_EEEE10hipError_tPvRmT1_T2_T3_mT4_P12ihipStream_tbEUlT_E0_NS1_11comp_targetILNS1_3genE10ELNS1_11target_archE1200ELNS1_3gpuE4ELNS1_3repE0EEENS1_30default_config_static_selectorELNS0_4arch9wavefront6targetE0EEEvSK_
		.amdhsa_group_segment_fixed_size 0
		.amdhsa_private_segment_fixed_size 0
		.amdhsa_kernarg_size 72
		.amdhsa_user_sgpr_count 2
		.amdhsa_user_sgpr_dispatch_ptr 0
		.amdhsa_user_sgpr_queue_ptr 0
		.amdhsa_user_sgpr_kernarg_segment_ptr 1
		.amdhsa_user_sgpr_dispatch_id 0
		.amdhsa_user_sgpr_kernarg_preload_length 0
		.amdhsa_user_sgpr_kernarg_preload_offset 0
		.amdhsa_user_sgpr_private_segment_size 0
		.amdhsa_wavefront_size32 1
		.amdhsa_uses_dynamic_stack 0
		.amdhsa_enable_private_segment 0
		.amdhsa_system_sgpr_workgroup_id_x 1
		.amdhsa_system_sgpr_workgroup_id_y 0
		.amdhsa_system_sgpr_workgroup_id_z 0
		.amdhsa_system_sgpr_workgroup_info 0
		.amdhsa_system_vgpr_workitem_id 0
		.amdhsa_next_free_vgpr 1
		.amdhsa_next_free_sgpr 1
		.amdhsa_named_barrier_count 0
		.amdhsa_reserve_vcc 0
		.amdhsa_float_round_mode_32 0
		.amdhsa_float_round_mode_16_64 0
		.amdhsa_float_denorm_mode_32 3
		.amdhsa_float_denorm_mode_16_64 3
		.amdhsa_fp16_overflow 0
		.amdhsa_memory_ordered 1
		.amdhsa_forward_progress 1
		.amdhsa_inst_pref_size 0
		.amdhsa_round_robin_scheduling 0
		.amdhsa_exception_fp_ieee_invalid_op 0
		.amdhsa_exception_fp_denorm_src 0
		.amdhsa_exception_fp_ieee_div_zero 0
		.amdhsa_exception_fp_ieee_overflow 0
		.amdhsa_exception_fp_ieee_underflow 0
		.amdhsa_exception_fp_ieee_inexact 0
		.amdhsa_exception_int_div_zero 0
	.end_amdhsa_kernel
	.section	.text._ZN7rocprim17ROCPRIM_400000_NS6detail17trampoline_kernelINS0_14default_configENS1_22reduce_config_selectorIN6thrust23THRUST_200600_302600_NS5tupleIblNS6_9null_typeES8_S8_S8_S8_S8_S8_S8_EEEEZNS1_11reduce_implILb1ES3_PS9_SC_S9_NS6_11hip_rocprim9__find_if7functorIS9_EEEE10hipError_tPvRmT1_T2_T3_mT4_P12ihipStream_tbEUlT_E0_NS1_11comp_targetILNS1_3genE10ELNS1_11target_archE1200ELNS1_3gpuE4ELNS1_3repE0EEENS1_30default_config_static_selectorELNS0_4arch9wavefront6targetE0EEEvSK_,"axG",@progbits,_ZN7rocprim17ROCPRIM_400000_NS6detail17trampoline_kernelINS0_14default_configENS1_22reduce_config_selectorIN6thrust23THRUST_200600_302600_NS5tupleIblNS6_9null_typeES8_S8_S8_S8_S8_S8_S8_EEEEZNS1_11reduce_implILb1ES3_PS9_SC_S9_NS6_11hip_rocprim9__find_if7functorIS9_EEEE10hipError_tPvRmT1_T2_T3_mT4_P12ihipStream_tbEUlT_E0_NS1_11comp_targetILNS1_3genE10ELNS1_11target_archE1200ELNS1_3gpuE4ELNS1_3repE0EEENS1_30default_config_static_selectorELNS0_4arch9wavefront6targetE0EEEvSK_,comdat
.Lfunc_end25:
	.size	_ZN7rocprim17ROCPRIM_400000_NS6detail17trampoline_kernelINS0_14default_configENS1_22reduce_config_selectorIN6thrust23THRUST_200600_302600_NS5tupleIblNS6_9null_typeES8_S8_S8_S8_S8_S8_S8_EEEEZNS1_11reduce_implILb1ES3_PS9_SC_S9_NS6_11hip_rocprim9__find_if7functorIS9_EEEE10hipError_tPvRmT1_T2_T3_mT4_P12ihipStream_tbEUlT_E0_NS1_11comp_targetILNS1_3genE10ELNS1_11target_archE1200ELNS1_3gpuE4ELNS1_3repE0EEENS1_30default_config_static_selectorELNS0_4arch9wavefront6targetE0EEEvSK_, .Lfunc_end25-_ZN7rocprim17ROCPRIM_400000_NS6detail17trampoline_kernelINS0_14default_configENS1_22reduce_config_selectorIN6thrust23THRUST_200600_302600_NS5tupleIblNS6_9null_typeES8_S8_S8_S8_S8_S8_S8_EEEEZNS1_11reduce_implILb1ES3_PS9_SC_S9_NS6_11hip_rocprim9__find_if7functorIS9_EEEE10hipError_tPvRmT1_T2_T3_mT4_P12ihipStream_tbEUlT_E0_NS1_11comp_targetILNS1_3genE10ELNS1_11target_archE1200ELNS1_3gpuE4ELNS1_3repE0EEENS1_30default_config_static_selectorELNS0_4arch9wavefront6targetE0EEEvSK_
                                        ; -- End function
	.set _ZN7rocprim17ROCPRIM_400000_NS6detail17trampoline_kernelINS0_14default_configENS1_22reduce_config_selectorIN6thrust23THRUST_200600_302600_NS5tupleIblNS6_9null_typeES8_S8_S8_S8_S8_S8_S8_EEEEZNS1_11reduce_implILb1ES3_PS9_SC_S9_NS6_11hip_rocprim9__find_if7functorIS9_EEEE10hipError_tPvRmT1_T2_T3_mT4_P12ihipStream_tbEUlT_E0_NS1_11comp_targetILNS1_3genE10ELNS1_11target_archE1200ELNS1_3gpuE4ELNS1_3repE0EEENS1_30default_config_static_selectorELNS0_4arch9wavefront6targetE0EEEvSK_.num_vgpr, 0
	.set _ZN7rocprim17ROCPRIM_400000_NS6detail17trampoline_kernelINS0_14default_configENS1_22reduce_config_selectorIN6thrust23THRUST_200600_302600_NS5tupleIblNS6_9null_typeES8_S8_S8_S8_S8_S8_S8_EEEEZNS1_11reduce_implILb1ES3_PS9_SC_S9_NS6_11hip_rocprim9__find_if7functorIS9_EEEE10hipError_tPvRmT1_T2_T3_mT4_P12ihipStream_tbEUlT_E0_NS1_11comp_targetILNS1_3genE10ELNS1_11target_archE1200ELNS1_3gpuE4ELNS1_3repE0EEENS1_30default_config_static_selectorELNS0_4arch9wavefront6targetE0EEEvSK_.num_agpr, 0
	.set _ZN7rocprim17ROCPRIM_400000_NS6detail17trampoline_kernelINS0_14default_configENS1_22reduce_config_selectorIN6thrust23THRUST_200600_302600_NS5tupleIblNS6_9null_typeES8_S8_S8_S8_S8_S8_S8_EEEEZNS1_11reduce_implILb1ES3_PS9_SC_S9_NS6_11hip_rocprim9__find_if7functorIS9_EEEE10hipError_tPvRmT1_T2_T3_mT4_P12ihipStream_tbEUlT_E0_NS1_11comp_targetILNS1_3genE10ELNS1_11target_archE1200ELNS1_3gpuE4ELNS1_3repE0EEENS1_30default_config_static_selectorELNS0_4arch9wavefront6targetE0EEEvSK_.numbered_sgpr, 0
	.set _ZN7rocprim17ROCPRIM_400000_NS6detail17trampoline_kernelINS0_14default_configENS1_22reduce_config_selectorIN6thrust23THRUST_200600_302600_NS5tupleIblNS6_9null_typeES8_S8_S8_S8_S8_S8_S8_EEEEZNS1_11reduce_implILb1ES3_PS9_SC_S9_NS6_11hip_rocprim9__find_if7functorIS9_EEEE10hipError_tPvRmT1_T2_T3_mT4_P12ihipStream_tbEUlT_E0_NS1_11comp_targetILNS1_3genE10ELNS1_11target_archE1200ELNS1_3gpuE4ELNS1_3repE0EEENS1_30default_config_static_selectorELNS0_4arch9wavefront6targetE0EEEvSK_.num_named_barrier, 0
	.set _ZN7rocprim17ROCPRIM_400000_NS6detail17trampoline_kernelINS0_14default_configENS1_22reduce_config_selectorIN6thrust23THRUST_200600_302600_NS5tupleIblNS6_9null_typeES8_S8_S8_S8_S8_S8_S8_EEEEZNS1_11reduce_implILb1ES3_PS9_SC_S9_NS6_11hip_rocprim9__find_if7functorIS9_EEEE10hipError_tPvRmT1_T2_T3_mT4_P12ihipStream_tbEUlT_E0_NS1_11comp_targetILNS1_3genE10ELNS1_11target_archE1200ELNS1_3gpuE4ELNS1_3repE0EEENS1_30default_config_static_selectorELNS0_4arch9wavefront6targetE0EEEvSK_.private_seg_size, 0
	.set _ZN7rocprim17ROCPRIM_400000_NS6detail17trampoline_kernelINS0_14default_configENS1_22reduce_config_selectorIN6thrust23THRUST_200600_302600_NS5tupleIblNS6_9null_typeES8_S8_S8_S8_S8_S8_S8_EEEEZNS1_11reduce_implILb1ES3_PS9_SC_S9_NS6_11hip_rocprim9__find_if7functorIS9_EEEE10hipError_tPvRmT1_T2_T3_mT4_P12ihipStream_tbEUlT_E0_NS1_11comp_targetILNS1_3genE10ELNS1_11target_archE1200ELNS1_3gpuE4ELNS1_3repE0EEENS1_30default_config_static_selectorELNS0_4arch9wavefront6targetE0EEEvSK_.uses_vcc, 0
	.set _ZN7rocprim17ROCPRIM_400000_NS6detail17trampoline_kernelINS0_14default_configENS1_22reduce_config_selectorIN6thrust23THRUST_200600_302600_NS5tupleIblNS6_9null_typeES8_S8_S8_S8_S8_S8_S8_EEEEZNS1_11reduce_implILb1ES3_PS9_SC_S9_NS6_11hip_rocprim9__find_if7functorIS9_EEEE10hipError_tPvRmT1_T2_T3_mT4_P12ihipStream_tbEUlT_E0_NS1_11comp_targetILNS1_3genE10ELNS1_11target_archE1200ELNS1_3gpuE4ELNS1_3repE0EEENS1_30default_config_static_selectorELNS0_4arch9wavefront6targetE0EEEvSK_.uses_flat_scratch, 0
	.set _ZN7rocprim17ROCPRIM_400000_NS6detail17trampoline_kernelINS0_14default_configENS1_22reduce_config_selectorIN6thrust23THRUST_200600_302600_NS5tupleIblNS6_9null_typeES8_S8_S8_S8_S8_S8_S8_EEEEZNS1_11reduce_implILb1ES3_PS9_SC_S9_NS6_11hip_rocprim9__find_if7functorIS9_EEEE10hipError_tPvRmT1_T2_T3_mT4_P12ihipStream_tbEUlT_E0_NS1_11comp_targetILNS1_3genE10ELNS1_11target_archE1200ELNS1_3gpuE4ELNS1_3repE0EEENS1_30default_config_static_selectorELNS0_4arch9wavefront6targetE0EEEvSK_.has_dyn_sized_stack, 0
	.set _ZN7rocprim17ROCPRIM_400000_NS6detail17trampoline_kernelINS0_14default_configENS1_22reduce_config_selectorIN6thrust23THRUST_200600_302600_NS5tupleIblNS6_9null_typeES8_S8_S8_S8_S8_S8_S8_EEEEZNS1_11reduce_implILb1ES3_PS9_SC_S9_NS6_11hip_rocprim9__find_if7functorIS9_EEEE10hipError_tPvRmT1_T2_T3_mT4_P12ihipStream_tbEUlT_E0_NS1_11comp_targetILNS1_3genE10ELNS1_11target_archE1200ELNS1_3gpuE4ELNS1_3repE0EEENS1_30default_config_static_selectorELNS0_4arch9wavefront6targetE0EEEvSK_.has_recursion, 0
	.set _ZN7rocprim17ROCPRIM_400000_NS6detail17trampoline_kernelINS0_14default_configENS1_22reduce_config_selectorIN6thrust23THRUST_200600_302600_NS5tupleIblNS6_9null_typeES8_S8_S8_S8_S8_S8_S8_EEEEZNS1_11reduce_implILb1ES3_PS9_SC_S9_NS6_11hip_rocprim9__find_if7functorIS9_EEEE10hipError_tPvRmT1_T2_T3_mT4_P12ihipStream_tbEUlT_E0_NS1_11comp_targetILNS1_3genE10ELNS1_11target_archE1200ELNS1_3gpuE4ELNS1_3repE0EEENS1_30default_config_static_selectorELNS0_4arch9wavefront6targetE0EEEvSK_.has_indirect_call, 0
	.section	.AMDGPU.csdata,"",@progbits
; Kernel info:
; codeLenInByte = 0
; TotalNumSgprs: 0
; NumVgprs: 0
; ScratchSize: 0
; MemoryBound: 0
; FloatMode: 240
; IeeeMode: 1
; LDSByteSize: 0 bytes/workgroup (compile time only)
; SGPRBlocks: 0
; VGPRBlocks: 0
; NumSGPRsForWavesPerEU: 1
; NumVGPRsForWavesPerEU: 1
; NamedBarCnt: 0
; Occupancy: 16
; WaveLimiterHint : 0
; COMPUTE_PGM_RSRC2:SCRATCH_EN: 0
; COMPUTE_PGM_RSRC2:USER_SGPR: 2
; COMPUTE_PGM_RSRC2:TRAP_HANDLER: 0
; COMPUTE_PGM_RSRC2:TGID_X_EN: 1
; COMPUTE_PGM_RSRC2:TGID_Y_EN: 0
; COMPUTE_PGM_RSRC2:TGID_Z_EN: 0
; COMPUTE_PGM_RSRC2:TIDIG_COMP_CNT: 0
	.section	.text._ZN7rocprim17ROCPRIM_400000_NS6detail17trampoline_kernelINS0_14default_configENS1_22reduce_config_selectorIN6thrust23THRUST_200600_302600_NS5tupleIblNS6_9null_typeES8_S8_S8_S8_S8_S8_S8_EEEEZNS1_11reduce_implILb1ES3_PS9_SC_S9_NS6_11hip_rocprim9__find_if7functorIS9_EEEE10hipError_tPvRmT1_T2_T3_mT4_P12ihipStream_tbEUlT_E0_NS1_11comp_targetILNS1_3genE9ELNS1_11target_archE1100ELNS1_3gpuE3ELNS1_3repE0EEENS1_30default_config_static_selectorELNS0_4arch9wavefront6targetE0EEEvSK_,"axG",@progbits,_ZN7rocprim17ROCPRIM_400000_NS6detail17trampoline_kernelINS0_14default_configENS1_22reduce_config_selectorIN6thrust23THRUST_200600_302600_NS5tupleIblNS6_9null_typeES8_S8_S8_S8_S8_S8_S8_EEEEZNS1_11reduce_implILb1ES3_PS9_SC_S9_NS6_11hip_rocprim9__find_if7functorIS9_EEEE10hipError_tPvRmT1_T2_T3_mT4_P12ihipStream_tbEUlT_E0_NS1_11comp_targetILNS1_3genE9ELNS1_11target_archE1100ELNS1_3gpuE3ELNS1_3repE0EEENS1_30default_config_static_selectorELNS0_4arch9wavefront6targetE0EEEvSK_,comdat
	.protected	_ZN7rocprim17ROCPRIM_400000_NS6detail17trampoline_kernelINS0_14default_configENS1_22reduce_config_selectorIN6thrust23THRUST_200600_302600_NS5tupleIblNS6_9null_typeES8_S8_S8_S8_S8_S8_S8_EEEEZNS1_11reduce_implILb1ES3_PS9_SC_S9_NS6_11hip_rocprim9__find_if7functorIS9_EEEE10hipError_tPvRmT1_T2_T3_mT4_P12ihipStream_tbEUlT_E0_NS1_11comp_targetILNS1_3genE9ELNS1_11target_archE1100ELNS1_3gpuE3ELNS1_3repE0EEENS1_30default_config_static_selectorELNS0_4arch9wavefront6targetE0EEEvSK_ ; -- Begin function _ZN7rocprim17ROCPRIM_400000_NS6detail17trampoline_kernelINS0_14default_configENS1_22reduce_config_selectorIN6thrust23THRUST_200600_302600_NS5tupleIblNS6_9null_typeES8_S8_S8_S8_S8_S8_S8_EEEEZNS1_11reduce_implILb1ES3_PS9_SC_S9_NS6_11hip_rocprim9__find_if7functorIS9_EEEE10hipError_tPvRmT1_T2_T3_mT4_P12ihipStream_tbEUlT_E0_NS1_11comp_targetILNS1_3genE9ELNS1_11target_archE1100ELNS1_3gpuE3ELNS1_3repE0EEENS1_30default_config_static_selectorELNS0_4arch9wavefront6targetE0EEEvSK_
	.globl	_ZN7rocprim17ROCPRIM_400000_NS6detail17trampoline_kernelINS0_14default_configENS1_22reduce_config_selectorIN6thrust23THRUST_200600_302600_NS5tupleIblNS6_9null_typeES8_S8_S8_S8_S8_S8_S8_EEEEZNS1_11reduce_implILb1ES3_PS9_SC_S9_NS6_11hip_rocprim9__find_if7functorIS9_EEEE10hipError_tPvRmT1_T2_T3_mT4_P12ihipStream_tbEUlT_E0_NS1_11comp_targetILNS1_3genE9ELNS1_11target_archE1100ELNS1_3gpuE3ELNS1_3repE0EEENS1_30default_config_static_selectorELNS0_4arch9wavefront6targetE0EEEvSK_
	.p2align	8
	.type	_ZN7rocprim17ROCPRIM_400000_NS6detail17trampoline_kernelINS0_14default_configENS1_22reduce_config_selectorIN6thrust23THRUST_200600_302600_NS5tupleIblNS6_9null_typeES8_S8_S8_S8_S8_S8_S8_EEEEZNS1_11reduce_implILb1ES3_PS9_SC_S9_NS6_11hip_rocprim9__find_if7functorIS9_EEEE10hipError_tPvRmT1_T2_T3_mT4_P12ihipStream_tbEUlT_E0_NS1_11comp_targetILNS1_3genE9ELNS1_11target_archE1100ELNS1_3gpuE3ELNS1_3repE0EEENS1_30default_config_static_selectorELNS0_4arch9wavefront6targetE0EEEvSK_,@function
_ZN7rocprim17ROCPRIM_400000_NS6detail17trampoline_kernelINS0_14default_configENS1_22reduce_config_selectorIN6thrust23THRUST_200600_302600_NS5tupleIblNS6_9null_typeES8_S8_S8_S8_S8_S8_S8_EEEEZNS1_11reduce_implILb1ES3_PS9_SC_S9_NS6_11hip_rocprim9__find_if7functorIS9_EEEE10hipError_tPvRmT1_T2_T3_mT4_P12ihipStream_tbEUlT_E0_NS1_11comp_targetILNS1_3genE9ELNS1_11target_archE1100ELNS1_3gpuE3ELNS1_3repE0EEENS1_30default_config_static_selectorELNS0_4arch9wavefront6targetE0EEEvSK_: ; @_ZN7rocprim17ROCPRIM_400000_NS6detail17trampoline_kernelINS0_14default_configENS1_22reduce_config_selectorIN6thrust23THRUST_200600_302600_NS5tupleIblNS6_9null_typeES8_S8_S8_S8_S8_S8_S8_EEEEZNS1_11reduce_implILb1ES3_PS9_SC_S9_NS6_11hip_rocprim9__find_if7functorIS9_EEEE10hipError_tPvRmT1_T2_T3_mT4_P12ihipStream_tbEUlT_E0_NS1_11comp_targetILNS1_3genE9ELNS1_11target_archE1100ELNS1_3gpuE3ELNS1_3repE0EEENS1_30default_config_static_selectorELNS0_4arch9wavefront6targetE0EEEvSK_
; %bb.0:
	.section	.rodata,"a",@progbits
	.p2align	6, 0x0
	.amdhsa_kernel _ZN7rocprim17ROCPRIM_400000_NS6detail17trampoline_kernelINS0_14default_configENS1_22reduce_config_selectorIN6thrust23THRUST_200600_302600_NS5tupleIblNS6_9null_typeES8_S8_S8_S8_S8_S8_S8_EEEEZNS1_11reduce_implILb1ES3_PS9_SC_S9_NS6_11hip_rocprim9__find_if7functorIS9_EEEE10hipError_tPvRmT1_T2_T3_mT4_P12ihipStream_tbEUlT_E0_NS1_11comp_targetILNS1_3genE9ELNS1_11target_archE1100ELNS1_3gpuE3ELNS1_3repE0EEENS1_30default_config_static_selectorELNS0_4arch9wavefront6targetE0EEEvSK_
		.amdhsa_group_segment_fixed_size 0
		.amdhsa_private_segment_fixed_size 0
		.amdhsa_kernarg_size 72
		.amdhsa_user_sgpr_count 2
		.amdhsa_user_sgpr_dispatch_ptr 0
		.amdhsa_user_sgpr_queue_ptr 0
		.amdhsa_user_sgpr_kernarg_segment_ptr 1
		.amdhsa_user_sgpr_dispatch_id 0
		.amdhsa_user_sgpr_kernarg_preload_length 0
		.amdhsa_user_sgpr_kernarg_preload_offset 0
		.amdhsa_user_sgpr_private_segment_size 0
		.amdhsa_wavefront_size32 1
		.amdhsa_uses_dynamic_stack 0
		.amdhsa_enable_private_segment 0
		.amdhsa_system_sgpr_workgroup_id_x 1
		.amdhsa_system_sgpr_workgroup_id_y 0
		.amdhsa_system_sgpr_workgroup_id_z 0
		.amdhsa_system_sgpr_workgroup_info 0
		.amdhsa_system_vgpr_workitem_id 0
		.amdhsa_next_free_vgpr 1
		.amdhsa_next_free_sgpr 1
		.amdhsa_named_barrier_count 0
		.amdhsa_reserve_vcc 0
		.amdhsa_float_round_mode_32 0
		.amdhsa_float_round_mode_16_64 0
		.amdhsa_float_denorm_mode_32 3
		.amdhsa_float_denorm_mode_16_64 3
		.amdhsa_fp16_overflow 0
		.amdhsa_memory_ordered 1
		.amdhsa_forward_progress 1
		.amdhsa_inst_pref_size 0
		.amdhsa_round_robin_scheduling 0
		.amdhsa_exception_fp_ieee_invalid_op 0
		.amdhsa_exception_fp_denorm_src 0
		.amdhsa_exception_fp_ieee_div_zero 0
		.amdhsa_exception_fp_ieee_overflow 0
		.amdhsa_exception_fp_ieee_underflow 0
		.amdhsa_exception_fp_ieee_inexact 0
		.amdhsa_exception_int_div_zero 0
	.end_amdhsa_kernel
	.section	.text._ZN7rocprim17ROCPRIM_400000_NS6detail17trampoline_kernelINS0_14default_configENS1_22reduce_config_selectorIN6thrust23THRUST_200600_302600_NS5tupleIblNS6_9null_typeES8_S8_S8_S8_S8_S8_S8_EEEEZNS1_11reduce_implILb1ES3_PS9_SC_S9_NS6_11hip_rocprim9__find_if7functorIS9_EEEE10hipError_tPvRmT1_T2_T3_mT4_P12ihipStream_tbEUlT_E0_NS1_11comp_targetILNS1_3genE9ELNS1_11target_archE1100ELNS1_3gpuE3ELNS1_3repE0EEENS1_30default_config_static_selectorELNS0_4arch9wavefront6targetE0EEEvSK_,"axG",@progbits,_ZN7rocprim17ROCPRIM_400000_NS6detail17trampoline_kernelINS0_14default_configENS1_22reduce_config_selectorIN6thrust23THRUST_200600_302600_NS5tupleIblNS6_9null_typeES8_S8_S8_S8_S8_S8_S8_EEEEZNS1_11reduce_implILb1ES3_PS9_SC_S9_NS6_11hip_rocprim9__find_if7functorIS9_EEEE10hipError_tPvRmT1_T2_T3_mT4_P12ihipStream_tbEUlT_E0_NS1_11comp_targetILNS1_3genE9ELNS1_11target_archE1100ELNS1_3gpuE3ELNS1_3repE0EEENS1_30default_config_static_selectorELNS0_4arch9wavefront6targetE0EEEvSK_,comdat
.Lfunc_end26:
	.size	_ZN7rocprim17ROCPRIM_400000_NS6detail17trampoline_kernelINS0_14default_configENS1_22reduce_config_selectorIN6thrust23THRUST_200600_302600_NS5tupleIblNS6_9null_typeES8_S8_S8_S8_S8_S8_S8_EEEEZNS1_11reduce_implILb1ES3_PS9_SC_S9_NS6_11hip_rocprim9__find_if7functorIS9_EEEE10hipError_tPvRmT1_T2_T3_mT4_P12ihipStream_tbEUlT_E0_NS1_11comp_targetILNS1_3genE9ELNS1_11target_archE1100ELNS1_3gpuE3ELNS1_3repE0EEENS1_30default_config_static_selectorELNS0_4arch9wavefront6targetE0EEEvSK_, .Lfunc_end26-_ZN7rocprim17ROCPRIM_400000_NS6detail17trampoline_kernelINS0_14default_configENS1_22reduce_config_selectorIN6thrust23THRUST_200600_302600_NS5tupleIblNS6_9null_typeES8_S8_S8_S8_S8_S8_S8_EEEEZNS1_11reduce_implILb1ES3_PS9_SC_S9_NS6_11hip_rocprim9__find_if7functorIS9_EEEE10hipError_tPvRmT1_T2_T3_mT4_P12ihipStream_tbEUlT_E0_NS1_11comp_targetILNS1_3genE9ELNS1_11target_archE1100ELNS1_3gpuE3ELNS1_3repE0EEENS1_30default_config_static_selectorELNS0_4arch9wavefront6targetE0EEEvSK_
                                        ; -- End function
	.set _ZN7rocprim17ROCPRIM_400000_NS6detail17trampoline_kernelINS0_14default_configENS1_22reduce_config_selectorIN6thrust23THRUST_200600_302600_NS5tupleIblNS6_9null_typeES8_S8_S8_S8_S8_S8_S8_EEEEZNS1_11reduce_implILb1ES3_PS9_SC_S9_NS6_11hip_rocprim9__find_if7functorIS9_EEEE10hipError_tPvRmT1_T2_T3_mT4_P12ihipStream_tbEUlT_E0_NS1_11comp_targetILNS1_3genE9ELNS1_11target_archE1100ELNS1_3gpuE3ELNS1_3repE0EEENS1_30default_config_static_selectorELNS0_4arch9wavefront6targetE0EEEvSK_.num_vgpr, 0
	.set _ZN7rocprim17ROCPRIM_400000_NS6detail17trampoline_kernelINS0_14default_configENS1_22reduce_config_selectorIN6thrust23THRUST_200600_302600_NS5tupleIblNS6_9null_typeES8_S8_S8_S8_S8_S8_S8_EEEEZNS1_11reduce_implILb1ES3_PS9_SC_S9_NS6_11hip_rocprim9__find_if7functorIS9_EEEE10hipError_tPvRmT1_T2_T3_mT4_P12ihipStream_tbEUlT_E0_NS1_11comp_targetILNS1_3genE9ELNS1_11target_archE1100ELNS1_3gpuE3ELNS1_3repE0EEENS1_30default_config_static_selectorELNS0_4arch9wavefront6targetE0EEEvSK_.num_agpr, 0
	.set _ZN7rocprim17ROCPRIM_400000_NS6detail17trampoline_kernelINS0_14default_configENS1_22reduce_config_selectorIN6thrust23THRUST_200600_302600_NS5tupleIblNS6_9null_typeES8_S8_S8_S8_S8_S8_S8_EEEEZNS1_11reduce_implILb1ES3_PS9_SC_S9_NS6_11hip_rocprim9__find_if7functorIS9_EEEE10hipError_tPvRmT1_T2_T3_mT4_P12ihipStream_tbEUlT_E0_NS1_11comp_targetILNS1_3genE9ELNS1_11target_archE1100ELNS1_3gpuE3ELNS1_3repE0EEENS1_30default_config_static_selectorELNS0_4arch9wavefront6targetE0EEEvSK_.numbered_sgpr, 0
	.set _ZN7rocprim17ROCPRIM_400000_NS6detail17trampoline_kernelINS0_14default_configENS1_22reduce_config_selectorIN6thrust23THRUST_200600_302600_NS5tupleIblNS6_9null_typeES8_S8_S8_S8_S8_S8_S8_EEEEZNS1_11reduce_implILb1ES3_PS9_SC_S9_NS6_11hip_rocprim9__find_if7functorIS9_EEEE10hipError_tPvRmT1_T2_T3_mT4_P12ihipStream_tbEUlT_E0_NS1_11comp_targetILNS1_3genE9ELNS1_11target_archE1100ELNS1_3gpuE3ELNS1_3repE0EEENS1_30default_config_static_selectorELNS0_4arch9wavefront6targetE0EEEvSK_.num_named_barrier, 0
	.set _ZN7rocprim17ROCPRIM_400000_NS6detail17trampoline_kernelINS0_14default_configENS1_22reduce_config_selectorIN6thrust23THRUST_200600_302600_NS5tupleIblNS6_9null_typeES8_S8_S8_S8_S8_S8_S8_EEEEZNS1_11reduce_implILb1ES3_PS9_SC_S9_NS6_11hip_rocprim9__find_if7functorIS9_EEEE10hipError_tPvRmT1_T2_T3_mT4_P12ihipStream_tbEUlT_E0_NS1_11comp_targetILNS1_3genE9ELNS1_11target_archE1100ELNS1_3gpuE3ELNS1_3repE0EEENS1_30default_config_static_selectorELNS0_4arch9wavefront6targetE0EEEvSK_.private_seg_size, 0
	.set _ZN7rocprim17ROCPRIM_400000_NS6detail17trampoline_kernelINS0_14default_configENS1_22reduce_config_selectorIN6thrust23THRUST_200600_302600_NS5tupleIblNS6_9null_typeES8_S8_S8_S8_S8_S8_S8_EEEEZNS1_11reduce_implILb1ES3_PS9_SC_S9_NS6_11hip_rocprim9__find_if7functorIS9_EEEE10hipError_tPvRmT1_T2_T3_mT4_P12ihipStream_tbEUlT_E0_NS1_11comp_targetILNS1_3genE9ELNS1_11target_archE1100ELNS1_3gpuE3ELNS1_3repE0EEENS1_30default_config_static_selectorELNS0_4arch9wavefront6targetE0EEEvSK_.uses_vcc, 0
	.set _ZN7rocprim17ROCPRIM_400000_NS6detail17trampoline_kernelINS0_14default_configENS1_22reduce_config_selectorIN6thrust23THRUST_200600_302600_NS5tupleIblNS6_9null_typeES8_S8_S8_S8_S8_S8_S8_EEEEZNS1_11reduce_implILb1ES3_PS9_SC_S9_NS6_11hip_rocprim9__find_if7functorIS9_EEEE10hipError_tPvRmT1_T2_T3_mT4_P12ihipStream_tbEUlT_E0_NS1_11comp_targetILNS1_3genE9ELNS1_11target_archE1100ELNS1_3gpuE3ELNS1_3repE0EEENS1_30default_config_static_selectorELNS0_4arch9wavefront6targetE0EEEvSK_.uses_flat_scratch, 0
	.set _ZN7rocprim17ROCPRIM_400000_NS6detail17trampoline_kernelINS0_14default_configENS1_22reduce_config_selectorIN6thrust23THRUST_200600_302600_NS5tupleIblNS6_9null_typeES8_S8_S8_S8_S8_S8_S8_EEEEZNS1_11reduce_implILb1ES3_PS9_SC_S9_NS6_11hip_rocprim9__find_if7functorIS9_EEEE10hipError_tPvRmT1_T2_T3_mT4_P12ihipStream_tbEUlT_E0_NS1_11comp_targetILNS1_3genE9ELNS1_11target_archE1100ELNS1_3gpuE3ELNS1_3repE0EEENS1_30default_config_static_selectorELNS0_4arch9wavefront6targetE0EEEvSK_.has_dyn_sized_stack, 0
	.set _ZN7rocprim17ROCPRIM_400000_NS6detail17trampoline_kernelINS0_14default_configENS1_22reduce_config_selectorIN6thrust23THRUST_200600_302600_NS5tupleIblNS6_9null_typeES8_S8_S8_S8_S8_S8_S8_EEEEZNS1_11reduce_implILb1ES3_PS9_SC_S9_NS6_11hip_rocprim9__find_if7functorIS9_EEEE10hipError_tPvRmT1_T2_T3_mT4_P12ihipStream_tbEUlT_E0_NS1_11comp_targetILNS1_3genE9ELNS1_11target_archE1100ELNS1_3gpuE3ELNS1_3repE0EEENS1_30default_config_static_selectorELNS0_4arch9wavefront6targetE0EEEvSK_.has_recursion, 0
	.set _ZN7rocprim17ROCPRIM_400000_NS6detail17trampoline_kernelINS0_14default_configENS1_22reduce_config_selectorIN6thrust23THRUST_200600_302600_NS5tupleIblNS6_9null_typeES8_S8_S8_S8_S8_S8_S8_EEEEZNS1_11reduce_implILb1ES3_PS9_SC_S9_NS6_11hip_rocprim9__find_if7functorIS9_EEEE10hipError_tPvRmT1_T2_T3_mT4_P12ihipStream_tbEUlT_E0_NS1_11comp_targetILNS1_3genE9ELNS1_11target_archE1100ELNS1_3gpuE3ELNS1_3repE0EEENS1_30default_config_static_selectorELNS0_4arch9wavefront6targetE0EEEvSK_.has_indirect_call, 0
	.section	.AMDGPU.csdata,"",@progbits
; Kernel info:
; codeLenInByte = 0
; TotalNumSgprs: 0
; NumVgprs: 0
; ScratchSize: 0
; MemoryBound: 0
; FloatMode: 240
; IeeeMode: 1
; LDSByteSize: 0 bytes/workgroup (compile time only)
; SGPRBlocks: 0
; VGPRBlocks: 0
; NumSGPRsForWavesPerEU: 1
; NumVGPRsForWavesPerEU: 1
; NamedBarCnt: 0
; Occupancy: 16
; WaveLimiterHint : 0
; COMPUTE_PGM_RSRC2:SCRATCH_EN: 0
; COMPUTE_PGM_RSRC2:USER_SGPR: 2
; COMPUTE_PGM_RSRC2:TRAP_HANDLER: 0
; COMPUTE_PGM_RSRC2:TGID_X_EN: 1
; COMPUTE_PGM_RSRC2:TGID_Y_EN: 0
; COMPUTE_PGM_RSRC2:TGID_Z_EN: 0
; COMPUTE_PGM_RSRC2:TIDIG_COMP_CNT: 0
	.section	.text._ZN7rocprim17ROCPRIM_400000_NS6detail17trampoline_kernelINS0_14default_configENS1_22reduce_config_selectorIN6thrust23THRUST_200600_302600_NS5tupleIblNS6_9null_typeES8_S8_S8_S8_S8_S8_S8_EEEEZNS1_11reduce_implILb1ES3_PS9_SC_S9_NS6_11hip_rocprim9__find_if7functorIS9_EEEE10hipError_tPvRmT1_T2_T3_mT4_P12ihipStream_tbEUlT_E0_NS1_11comp_targetILNS1_3genE8ELNS1_11target_archE1030ELNS1_3gpuE2ELNS1_3repE0EEENS1_30default_config_static_selectorELNS0_4arch9wavefront6targetE0EEEvSK_,"axG",@progbits,_ZN7rocprim17ROCPRIM_400000_NS6detail17trampoline_kernelINS0_14default_configENS1_22reduce_config_selectorIN6thrust23THRUST_200600_302600_NS5tupleIblNS6_9null_typeES8_S8_S8_S8_S8_S8_S8_EEEEZNS1_11reduce_implILb1ES3_PS9_SC_S9_NS6_11hip_rocprim9__find_if7functorIS9_EEEE10hipError_tPvRmT1_T2_T3_mT4_P12ihipStream_tbEUlT_E0_NS1_11comp_targetILNS1_3genE8ELNS1_11target_archE1030ELNS1_3gpuE2ELNS1_3repE0EEENS1_30default_config_static_selectorELNS0_4arch9wavefront6targetE0EEEvSK_,comdat
	.protected	_ZN7rocprim17ROCPRIM_400000_NS6detail17trampoline_kernelINS0_14default_configENS1_22reduce_config_selectorIN6thrust23THRUST_200600_302600_NS5tupleIblNS6_9null_typeES8_S8_S8_S8_S8_S8_S8_EEEEZNS1_11reduce_implILb1ES3_PS9_SC_S9_NS6_11hip_rocprim9__find_if7functorIS9_EEEE10hipError_tPvRmT1_T2_T3_mT4_P12ihipStream_tbEUlT_E0_NS1_11comp_targetILNS1_3genE8ELNS1_11target_archE1030ELNS1_3gpuE2ELNS1_3repE0EEENS1_30default_config_static_selectorELNS0_4arch9wavefront6targetE0EEEvSK_ ; -- Begin function _ZN7rocprim17ROCPRIM_400000_NS6detail17trampoline_kernelINS0_14default_configENS1_22reduce_config_selectorIN6thrust23THRUST_200600_302600_NS5tupleIblNS6_9null_typeES8_S8_S8_S8_S8_S8_S8_EEEEZNS1_11reduce_implILb1ES3_PS9_SC_S9_NS6_11hip_rocprim9__find_if7functorIS9_EEEE10hipError_tPvRmT1_T2_T3_mT4_P12ihipStream_tbEUlT_E0_NS1_11comp_targetILNS1_3genE8ELNS1_11target_archE1030ELNS1_3gpuE2ELNS1_3repE0EEENS1_30default_config_static_selectorELNS0_4arch9wavefront6targetE0EEEvSK_
	.globl	_ZN7rocprim17ROCPRIM_400000_NS6detail17trampoline_kernelINS0_14default_configENS1_22reduce_config_selectorIN6thrust23THRUST_200600_302600_NS5tupleIblNS6_9null_typeES8_S8_S8_S8_S8_S8_S8_EEEEZNS1_11reduce_implILb1ES3_PS9_SC_S9_NS6_11hip_rocprim9__find_if7functorIS9_EEEE10hipError_tPvRmT1_T2_T3_mT4_P12ihipStream_tbEUlT_E0_NS1_11comp_targetILNS1_3genE8ELNS1_11target_archE1030ELNS1_3gpuE2ELNS1_3repE0EEENS1_30default_config_static_selectorELNS0_4arch9wavefront6targetE0EEEvSK_
	.p2align	8
	.type	_ZN7rocprim17ROCPRIM_400000_NS6detail17trampoline_kernelINS0_14default_configENS1_22reduce_config_selectorIN6thrust23THRUST_200600_302600_NS5tupleIblNS6_9null_typeES8_S8_S8_S8_S8_S8_S8_EEEEZNS1_11reduce_implILb1ES3_PS9_SC_S9_NS6_11hip_rocprim9__find_if7functorIS9_EEEE10hipError_tPvRmT1_T2_T3_mT4_P12ihipStream_tbEUlT_E0_NS1_11comp_targetILNS1_3genE8ELNS1_11target_archE1030ELNS1_3gpuE2ELNS1_3repE0EEENS1_30default_config_static_selectorELNS0_4arch9wavefront6targetE0EEEvSK_,@function
_ZN7rocprim17ROCPRIM_400000_NS6detail17trampoline_kernelINS0_14default_configENS1_22reduce_config_selectorIN6thrust23THRUST_200600_302600_NS5tupleIblNS6_9null_typeES8_S8_S8_S8_S8_S8_S8_EEEEZNS1_11reduce_implILb1ES3_PS9_SC_S9_NS6_11hip_rocprim9__find_if7functorIS9_EEEE10hipError_tPvRmT1_T2_T3_mT4_P12ihipStream_tbEUlT_E0_NS1_11comp_targetILNS1_3genE8ELNS1_11target_archE1030ELNS1_3gpuE2ELNS1_3repE0EEENS1_30default_config_static_selectorELNS0_4arch9wavefront6targetE0EEEvSK_: ; @_ZN7rocprim17ROCPRIM_400000_NS6detail17trampoline_kernelINS0_14default_configENS1_22reduce_config_selectorIN6thrust23THRUST_200600_302600_NS5tupleIblNS6_9null_typeES8_S8_S8_S8_S8_S8_S8_EEEEZNS1_11reduce_implILb1ES3_PS9_SC_S9_NS6_11hip_rocprim9__find_if7functorIS9_EEEE10hipError_tPvRmT1_T2_T3_mT4_P12ihipStream_tbEUlT_E0_NS1_11comp_targetILNS1_3genE8ELNS1_11target_archE1030ELNS1_3gpuE2ELNS1_3repE0EEENS1_30default_config_static_selectorELNS0_4arch9wavefront6targetE0EEEvSK_
; %bb.0:
	.section	.rodata,"a",@progbits
	.p2align	6, 0x0
	.amdhsa_kernel _ZN7rocprim17ROCPRIM_400000_NS6detail17trampoline_kernelINS0_14default_configENS1_22reduce_config_selectorIN6thrust23THRUST_200600_302600_NS5tupleIblNS6_9null_typeES8_S8_S8_S8_S8_S8_S8_EEEEZNS1_11reduce_implILb1ES3_PS9_SC_S9_NS6_11hip_rocprim9__find_if7functorIS9_EEEE10hipError_tPvRmT1_T2_T3_mT4_P12ihipStream_tbEUlT_E0_NS1_11comp_targetILNS1_3genE8ELNS1_11target_archE1030ELNS1_3gpuE2ELNS1_3repE0EEENS1_30default_config_static_selectorELNS0_4arch9wavefront6targetE0EEEvSK_
		.amdhsa_group_segment_fixed_size 0
		.amdhsa_private_segment_fixed_size 0
		.amdhsa_kernarg_size 72
		.amdhsa_user_sgpr_count 2
		.amdhsa_user_sgpr_dispatch_ptr 0
		.amdhsa_user_sgpr_queue_ptr 0
		.amdhsa_user_sgpr_kernarg_segment_ptr 1
		.amdhsa_user_sgpr_dispatch_id 0
		.amdhsa_user_sgpr_kernarg_preload_length 0
		.amdhsa_user_sgpr_kernarg_preload_offset 0
		.amdhsa_user_sgpr_private_segment_size 0
		.amdhsa_wavefront_size32 1
		.amdhsa_uses_dynamic_stack 0
		.amdhsa_enable_private_segment 0
		.amdhsa_system_sgpr_workgroup_id_x 1
		.amdhsa_system_sgpr_workgroup_id_y 0
		.amdhsa_system_sgpr_workgroup_id_z 0
		.amdhsa_system_sgpr_workgroup_info 0
		.amdhsa_system_vgpr_workitem_id 0
		.amdhsa_next_free_vgpr 1
		.amdhsa_next_free_sgpr 1
		.amdhsa_named_barrier_count 0
		.amdhsa_reserve_vcc 0
		.amdhsa_float_round_mode_32 0
		.amdhsa_float_round_mode_16_64 0
		.amdhsa_float_denorm_mode_32 3
		.amdhsa_float_denorm_mode_16_64 3
		.amdhsa_fp16_overflow 0
		.amdhsa_memory_ordered 1
		.amdhsa_forward_progress 1
		.amdhsa_inst_pref_size 0
		.amdhsa_round_robin_scheduling 0
		.amdhsa_exception_fp_ieee_invalid_op 0
		.amdhsa_exception_fp_denorm_src 0
		.amdhsa_exception_fp_ieee_div_zero 0
		.amdhsa_exception_fp_ieee_overflow 0
		.amdhsa_exception_fp_ieee_underflow 0
		.amdhsa_exception_fp_ieee_inexact 0
		.amdhsa_exception_int_div_zero 0
	.end_amdhsa_kernel
	.section	.text._ZN7rocprim17ROCPRIM_400000_NS6detail17trampoline_kernelINS0_14default_configENS1_22reduce_config_selectorIN6thrust23THRUST_200600_302600_NS5tupleIblNS6_9null_typeES8_S8_S8_S8_S8_S8_S8_EEEEZNS1_11reduce_implILb1ES3_PS9_SC_S9_NS6_11hip_rocprim9__find_if7functorIS9_EEEE10hipError_tPvRmT1_T2_T3_mT4_P12ihipStream_tbEUlT_E0_NS1_11comp_targetILNS1_3genE8ELNS1_11target_archE1030ELNS1_3gpuE2ELNS1_3repE0EEENS1_30default_config_static_selectorELNS0_4arch9wavefront6targetE0EEEvSK_,"axG",@progbits,_ZN7rocprim17ROCPRIM_400000_NS6detail17trampoline_kernelINS0_14default_configENS1_22reduce_config_selectorIN6thrust23THRUST_200600_302600_NS5tupleIblNS6_9null_typeES8_S8_S8_S8_S8_S8_S8_EEEEZNS1_11reduce_implILb1ES3_PS9_SC_S9_NS6_11hip_rocprim9__find_if7functorIS9_EEEE10hipError_tPvRmT1_T2_T3_mT4_P12ihipStream_tbEUlT_E0_NS1_11comp_targetILNS1_3genE8ELNS1_11target_archE1030ELNS1_3gpuE2ELNS1_3repE0EEENS1_30default_config_static_selectorELNS0_4arch9wavefront6targetE0EEEvSK_,comdat
.Lfunc_end27:
	.size	_ZN7rocprim17ROCPRIM_400000_NS6detail17trampoline_kernelINS0_14default_configENS1_22reduce_config_selectorIN6thrust23THRUST_200600_302600_NS5tupleIblNS6_9null_typeES8_S8_S8_S8_S8_S8_S8_EEEEZNS1_11reduce_implILb1ES3_PS9_SC_S9_NS6_11hip_rocprim9__find_if7functorIS9_EEEE10hipError_tPvRmT1_T2_T3_mT4_P12ihipStream_tbEUlT_E0_NS1_11comp_targetILNS1_3genE8ELNS1_11target_archE1030ELNS1_3gpuE2ELNS1_3repE0EEENS1_30default_config_static_selectorELNS0_4arch9wavefront6targetE0EEEvSK_, .Lfunc_end27-_ZN7rocprim17ROCPRIM_400000_NS6detail17trampoline_kernelINS0_14default_configENS1_22reduce_config_selectorIN6thrust23THRUST_200600_302600_NS5tupleIblNS6_9null_typeES8_S8_S8_S8_S8_S8_S8_EEEEZNS1_11reduce_implILb1ES3_PS9_SC_S9_NS6_11hip_rocprim9__find_if7functorIS9_EEEE10hipError_tPvRmT1_T2_T3_mT4_P12ihipStream_tbEUlT_E0_NS1_11comp_targetILNS1_3genE8ELNS1_11target_archE1030ELNS1_3gpuE2ELNS1_3repE0EEENS1_30default_config_static_selectorELNS0_4arch9wavefront6targetE0EEEvSK_
                                        ; -- End function
	.set _ZN7rocprim17ROCPRIM_400000_NS6detail17trampoline_kernelINS0_14default_configENS1_22reduce_config_selectorIN6thrust23THRUST_200600_302600_NS5tupleIblNS6_9null_typeES8_S8_S8_S8_S8_S8_S8_EEEEZNS1_11reduce_implILb1ES3_PS9_SC_S9_NS6_11hip_rocprim9__find_if7functorIS9_EEEE10hipError_tPvRmT1_T2_T3_mT4_P12ihipStream_tbEUlT_E0_NS1_11comp_targetILNS1_3genE8ELNS1_11target_archE1030ELNS1_3gpuE2ELNS1_3repE0EEENS1_30default_config_static_selectorELNS0_4arch9wavefront6targetE0EEEvSK_.num_vgpr, 0
	.set _ZN7rocprim17ROCPRIM_400000_NS6detail17trampoline_kernelINS0_14default_configENS1_22reduce_config_selectorIN6thrust23THRUST_200600_302600_NS5tupleIblNS6_9null_typeES8_S8_S8_S8_S8_S8_S8_EEEEZNS1_11reduce_implILb1ES3_PS9_SC_S9_NS6_11hip_rocprim9__find_if7functorIS9_EEEE10hipError_tPvRmT1_T2_T3_mT4_P12ihipStream_tbEUlT_E0_NS1_11comp_targetILNS1_3genE8ELNS1_11target_archE1030ELNS1_3gpuE2ELNS1_3repE0EEENS1_30default_config_static_selectorELNS0_4arch9wavefront6targetE0EEEvSK_.num_agpr, 0
	.set _ZN7rocprim17ROCPRIM_400000_NS6detail17trampoline_kernelINS0_14default_configENS1_22reduce_config_selectorIN6thrust23THRUST_200600_302600_NS5tupleIblNS6_9null_typeES8_S8_S8_S8_S8_S8_S8_EEEEZNS1_11reduce_implILb1ES3_PS9_SC_S9_NS6_11hip_rocprim9__find_if7functorIS9_EEEE10hipError_tPvRmT1_T2_T3_mT4_P12ihipStream_tbEUlT_E0_NS1_11comp_targetILNS1_3genE8ELNS1_11target_archE1030ELNS1_3gpuE2ELNS1_3repE0EEENS1_30default_config_static_selectorELNS0_4arch9wavefront6targetE0EEEvSK_.numbered_sgpr, 0
	.set _ZN7rocprim17ROCPRIM_400000_NS6detail17trampoline_kernelINS0_14default_configENS1_22reduce_config_selectorIN6thrust23THRUST_200600_302600_NS5tupleIblNS6_9null_typeES8_S8_S8_S8_S8_S8_S8_EEEEZNS1_11reduce_implILb1ES3_PS9_SC_S9_NS6_11hip_rocprim9__find_if7functorIS9_EEEE10hipError_tPvRmT1_T2_T3_mT4_P12ihipStream_tbEUlT_E0_NS1_11comp_targetILNS1_3genE8ELNS1_11target_archE1030ELNS1_3gpuE2ELNS1_3repE0EEENS1_30default_config_static_selectorELNS0_4arch9wavefront6targetE0EEEvSK_.num_named_barrier, 0
	.set _ZN7rocprim17ROCPRIM_400000_NS6detail17trampoline_kernelINS0_14default_configENS1_22reduce_config_selectorIN6thrust23THRUST_200600_302600_NS5tupleIblNS6_9null_typeES8_S8_S8_S8_S8_S8_S8_EEEEZNS1_11reduce_implILb1ES3_PS9_SC_S9_NS6_11hip_rocprim9__find_if7functorIS9_EEEE10hipError_tPvRmT1_T2_T3_mT4_P12ihipStream_tbEUlT_E0_NS1_11comp_targetILNS1_3genE8ELNS1_11target_archE1030ELNS1_3gpuE2ELNS1_3repE0EEENS1_30default_config_static_selectorELNS0_4arch9wavefront6targetE0EEEvSK_.private_seg_size, 0
	.set _ZN7rocprim17ROCPRIM_400000_NS6detail17trampoline_kernelINS0_14default_configENS1_22reduce_config_selectorIN6thrust23THRUST_200600_302600_NS5tupleIblNS6_9null_typeES8_S8_S8_S8_S8_S8_S8_EEEEZNS1_11reduce_implILb1ES3_PS9_SC_S9_NS6_11hip_rocprim9__find_if7functorIS9_EEEE10hipError_tPvRmT1_T2_T3_mT4_P12ihipStream_tbEUlT_E0_NS1_11comp_targetILNS1_3genE8ELNS1_11target_archE1030ELNS1_3gpuE2ELNS1_3repE0EEENS1_30default_config_static_selectorELNS0_4arch9wavefront6targetE0EEEvSK_.uses_vcc, 0
	.set _ZN7rocprim17ROCPRIM_400000_NS6detail17trampoline_kernelINS0_14default_configENS1_22reduce_config_selectorIN6thrust23THRUST_200600_302600_NS5tupleIblNS6_9null_typeES8_S8_S8_S8_S8_S8_S8_EEEEZNS1_11reduce_implILb1ES3_PS9_SC_S9_NS6_11hip_rocprim9__find_if7functorIS9_EEEE10hipError_tPvRmT1_T2_T3_mT4_P12ihipStream_tbEUlT_E0_NS1_11comp_targetILNS1_3genE8ELNS1_11target_archE1030ELNS1_3gpuE2ELNS1_3repE0EEENS1_30default_config_static_selectorELNS0_4arch9wavefront6targetE0EEEvSK_.uses_flat_scratch, 0
	.set _ZN7rocprim17ROCPRIM_400000_NS6detail17trampoline_kernelINS0_14default_configENS1_22reduce_config_selectorIN6thrust23THRUST_200600_302600_NS5tupleIblNS6_9null_typeES8_S8_S8_S8_S8_S8_S8_EEEEZNS1_11reduce_implILb1ES3_PS9_SC_S9_NS6_11hip_rocprim9__find_if7functorIS9_EEEE10hipError_tPvRmT1_T2_T3_mT4_P12ihipStream_tbEUlT_E0_NS1_11comp_targetILNS1_3genE8ELNS1_11target_archE1030ELNS1_3gpuE2ELNS1_3repE0EEENS1_30default_config_static_selectorELNS0_4arch9wavefront6targetE0EEEvSK_.has_dyn_sized_stack, 0
	.set _ZN7rocprim17ROCPRIM_400000_NS6detail17trampoline_kernelINS0_14default_configENS1_22reduce_config_selectorIN6thrust23THRUST_200600_302600_NS5tupleIblNS6_9null_typeES8_S8_S8_S8_S8_S8_S8_EEEEZNS1_11reduce_implILb1ES3_PS9_SC_S9_NS6_11hip_rocprim9__find_if7functorIS9_EEEE10hipError_tPvRmT1_T2_T3_mT4_P12ihipStream_tbEUlT_E0_NS1_11comp_targetILNS1_3genE8ELNS1_11target_archE1030ELNS1_3gpuE2ELNS1_3repE0EEENS1_30default_config_static_selectorELNS0_4arch9wavefront6targetE0EEEvSK_.has_recursion, 0
	.set _ZN7rocprim17ROCPRIM_400000_NS6detail17trampoline_kernelINS0_14default_configENS1_22reduce_config_selectorIN6thrust23THRUST_200600_302600_NS5tupleIblNS6_9null_typeES8_S8_S8_S8_S8_S8_S8_EEEEZNS1_11reduce_implILb1ES3_PS9_SC_S9_NS6_11hip_rocprim9__find_if7functorIS9_EEEE10hipError_tPvRmT1_T2_T3_mT4_P12ihipStream_tbEUlT_E0_NS1_11comp_targetILNS1_3genE8ELNS1_11target_archE1030ELNS1_3gpuE2ELNS1_3repE0EEENS1_30default_config_static_selectorELNS0_4arch9wavefront6targetE0EEEvSK_.has_indirect_call, 0
	.section	.AMDGPU.csdata,"",@progbits
; Kernel info:
; codeLenInByte = 0
; TotalNumSgprs: 0
; NumVgprs: 0
; ScratchSize: 0
; MemoryBound: 0
; FloatMode: 240
; IeeeMode: 1
; LDSByteSize: 0 bytes/workgroup (compile time only)
; SGPRBlocks: 0
; VGPRBlocks: 0
; NumSGPRsForWavesPerEU: 1
; NumVGPRsForWavesPerEU: 1
; NamedBarCnt: 0
; Occupancy: 16
; WaveLimiterHint : 0
; COMPUTE_PGM_RSRC2:SCRATCH_EN: 0
; COMPUTE_PGM_RSRC2:USER_SGPR: 2
; COMPUTE_PGM_RSRC2:TRAP_HANDLER: 0
; COMPUTE_PGM_RSRC2:TGID_X_EN: 1
; COMPUTE_PGM_RSRC2:TGID_Y_EN: 0
; COMPUTE_PGM_RSRC2:TGID_Z_EN: 0
; COMPUTE_PGM_RSRC2:TIDIG_COMP_CNT: 0
	.section	.text._ZN7rocprim17ROCPRIM_400000_NS6detail17trampoline_kernelINS0_14default_configENS1_22reduce_config_selectorIN6thrust23THRUST_200600_302600_NS5tupleIblNS6_9null_typeES8_S8_S8_S8_S8_S8_S8_EEEEZNS1_11reduce_implILb1ES3_PS9_SC_S9_NS6_11hip_rocprim9__find_if7functorIS9_EEEE10hipError_tPvRmT1_T2_T3_mT4_P12ihipStream_tbEUlT_E1_NS1_11comp_targetILNS1_3genE0ELNS1_11target_archE4294967295ELNS1_3gpuE0ELNS1_3repE0EEENS1_30default_config_static_selectorELNS0_4arch9wavefront6targetE0EEEvSK_,"axG",@progbits,_ZN7rocprim17ROCPRIM_400000_NS6detail17trampoline_kernelINS0_14default_configENS1_22reduce_config_selectorIN6thrust23THRUST_200600_302600_NS5tupleIblNS6_9null_typeES8_S8_S8_S8_S8_S8_S8_EEEEZNS1_11reduce_implILb1ES3_PS9_SC_S9_NS6_11hip_rocprim9__find_if7functorIS9_EEEE10hipError_tPvRmT1_T2_T3_mT4_P12ihipStream_tbEUlT_E1_NS1_11comp_targetILNS1_3genE0ELNS1_11target_archE4294967295ELNS1_3gpuE0ELNS1_3repE0EEENS1_30default_config_static_selectorELNS0_4arch9wavefront6targetE0EEEvSK_,comdat
	.protected	_ZN7rocprim17ROCPRIM_400000_NS6detail17trampoline_kernelINS0_14default_configENS1_22reduce_config_selectorIN6thrust23THRUST_200600_302600_NS5tupleIblNS6_9null_typeES8_S8_S8_S8_S8_S8_S8_EEEEZNS1_11reduce_implILb1ES3_PS9_SC_S9_NS6_11hip_rocprim9__find_if7functorIS9_EEEE10hipError_tPvRmT1_T2_T3_mT4_P12ihipStream_tbEUlT_E1_NS1_11comp_targetILNS1_3genE0ELNS1_11target_archE4294967295ELNS1_3gpuE0ELNS1_3repE0EEENS1_30default_config_static_selectorELNS0_4arch9wavefront6targetE0EEEvSK_ ; -- Begin function _ZN7rocprim17ROCPRIM_400000_NS6detail17trampoline_kernelINS0_14default_configENS1_22reduce_config_selectorIN6thrust23THRUST_200600_302600_NS5tupleIblNS6_9null_typeES8_S8_S8_S8_S8_S8_S8_EEEEZNS1_11reduce_implILb1ES3_PS9_SC_S9_NS6_11hip_rocprim9__find_if7functorIS9_EEEE10hipError_tPvRmT1_T2_T3_mT4_P12ihipStream_tbEUlT_E1_NS1_11comp_targetILNS1_3genE0ELNS1_11target_archE4294967295ELNS1_3gpuE0ELNS1_3repE0EEENS1_30default_config_static_selectorELNS0_4arch9wavefront6targetE0EEEvSK_
	.globl	_ZN7rocprim17ROCPRIM_400000_NS6detail17trampoline_kernelINS0_14default_configENS1_22reduce_config_selectorIN6thrust23THRUST_200600_302600_NS5tupleIblNS6_9null_typeES8_S8_S8_S8_S8_S8_S8_EEEEZNS1_11reduce_implILb1ES3_PS9_SC_S9_NS6_11hip_rocprim9__find_if7functorIS9_EEEE10hipError_tPvRmT1_T2_T3_mT4_P12ihipStream_tbEUlT_E1_NS1_11comp_targetILNS1_3genE0ELNS1_11target_archE4294967295ELNS1_3gpuE0ELNS1_3repE0EEENS1_30default_config_static_selectorELNS0_4arch9wavefront6targetE0EEEvSK_
	.p2align	8
	.type	_ZN7rocprim17ROCPRIM_400000_NS6detail17trampoline_kernelINS0_14default_configENS1_22reduce_config_selectorIN6thrust23THRUST_200600_302600_NS5tupleIblNS6_9null_typeES8_S8_S8_S8_S8_S8_S8_EEEEZNS1_11reduce_implILb1ES3_PS9_SC_S9_NS6_11hip_rocprim9__find_if7functorIS9_EEEE10hipError_tPvRmT1_T2_T3_mT4_P12ihipStream_tbEUlT_E1_NS1_11comp_targetILNS1_3genE0ELNS1_11target_archE4294967295ELNS1_3gpuE0ELNS1_3repE0EEENS1_30default_config_static_selectorELNS0_4arch9wavefront6targetE0EEEvSK_,@function
_ZN7rocprim17ROCPRIM_400000_NS6detail17trampoline_kernelINS0_14default_configENS1_22reduce_config_selectorIN6thrust23THRUST_200600_302600_NS5tupleIblNS6_9null_typeES8_S8_S8_S8_S8_S8_S8_EEEEZNS1_11reduce_implILb1ES3_PS9_SC_S9_NS6_11hip_rocprim9__find_if7functorIS9_EEEE10hipError_tPvRmT1_T2_T3_mT4_P12ihipStream_tbEUlT_E1_NS1_11comp_targetILNS1_3genE0ELNS1_11target_archE4294967295ELNS1_3gpuE0ELNS1_3repE0EEENS1_30default_config_static_selectorELNS0_4arch9wavefront6targetE0EEEvSK_: ; @_ZN7rocprim17ROCPRIM_400000_NS6detail17trampoline_kernelINS0_14default_configENS1_22reduce_config_selectorIN6thrust23THRUST_200600_302600_NS5tupleIblNS6_9null_typeES8_S8_S8_S8_S8_S8_S8_EEEEZNS1_11reduce_implILb1ES3_PS9_SC_S9_NS6_11hip_rocprim9__find_if7functorIS9_EEEE10hipError_tPvRmT1_T2_T3_mT4_P12ihipStream_tbEUlT_E1_NS1_11comp_targetILNS1_3genE0ELNS1_11target_archE4294967295ELNS1_3gpuE0ELNS1_3repE0EEENS1_30default_config_static_selectorELNS0_4arch9wavefront6targetE0EEEvSK_
; %bb.0:
	s_clause 0x1
	s_load_b32 s16, s[0:1], 0x4
	s_load_b128 s[12:15], s[0:1], 0x8
	s_wait_kmcnt 0x0
	s_cmp_lt_i32 s16, 4
	s_cbranch_scc1 .LBB28_38
; %bb.1:
	s_cmp_gt_i32 s16, 7
	s_cbranch_scc0 .LBB28_39
; %bb.2:
	s_cmp_eq_u32 s16, 8
	s_mov_b32 s17, 0
	s_cbranch_scc0 .LBB28_40
; %bb.3:
	s_bfe_u32 s2, ttmp6, 0x4000c
	s_and_b32 s3, ttmp6, 15
	s_add_co_i32 s2, s2, 1
	s_getreg_b32 s4, hwreg(HW_REG_IB_STS2, 6, 4)
	s_mul_i32 s2, ttmp9, s2
	s_mov_b32 s11, 0
	s_add_co_i32 s3, s3, s2
	s_cmp_eq_u32 s4, 0
	s_mov_b32 s5, s11
	s_cselect_b32 s10, ttmp9, s3
	s_lshr_b64 s[2:3], s[14:15], 10
	s_lshl_b32 s4, s10, 10
	s_delay_alu instid0(SALU_CYCLE_1)
	s_lshl_b64 s[6:7], s[4:5], 4
	s_cmp_lg_u64 s[2:3], s[10:11]
	s_add_nc_u64 s[8:9], s[12:13], s[6:7]
	s_cbranch_scc0 .LBB28_61
; %bb.4:
	v_lshlrev_b32_e32 v2, 4, v0
	s_clause 0xf
	global_load_u8 v25, v2, s[8:9]
	global_load_u8 v26, v2, s[8:9] offset:2048
	global_load_b64 v[18:19], v2, s[8:9] offset:8
	global_load_b64 v[16:17], v2, s[8:9] offset:2056
	global_load_u8 v24, v2, s[8:9] offset:4096
	global_load_b64 v[12:13], v2, s[8:9] offset:4104
	global_load_u8 v23, v2, s[8:9] offset:6144
	;; [unrolled: 2-line block ×6, first 2 shown]
	global_load_b64 v[2:3], v2, s[8:9] offset:14344
	s_wait_loadcnt 0xe
	v_and_b32_e32 v14, v26, v25
	s_delay_alu instid0(VALU_DEP_1) | instskip(NEXT) | instid1(VALU_DEP_1)
	v_and_b32_e32 v14, 1, v14
	v_cmp_eq_u32_e32 vcc_lo, 1, v14
                                        ; implicit-def: $vgpr14_vgpr15
	s_wait_xcnt 0x0
	s_and_saveexec_b32 s2, vcc_lo
	s_delay_alu instid0(SALU_CYCLE_1)
	s_xor_b32 s2, exec_lo, s2
	s_cbranch_execz .LBB28_6
; %bb.5:
	s_wait_loadcnt 0xc
	v_min_i64 v[14:15], v[16:17], v[18:19]
                                        ; implicit-def: $vgpr25
                                        ; implicit-def: $vgpr26
                                        ; implicit-def: $vgpr16_vgpr17
                                        ; implicit-def: $vgpr18_vgpr19
.LBB28_6:
	s_or_saveexec_b32 s3, s2
	s_mov_b32 s5, -1
	s_xor_b32 exec_lo, exec_lo, s3
	s_cbranch_execz .LBB28_8
; %bb.7:
	v_and_b32_e32 v14, 1, v25
	v_bitop3_b16 v15, v26, 0xff, v25 bitop3:0xc8
	s_delay_alu instid0(VALU_DEP_2) | instskip(NEXT) | instid1(VALU_DEP_2)
	v_cmp_eq_u32_e32 vcc_lo, 1, v14
	v_cmp_ne_u16_e64 s2, 0, v15
	s_wait_loadcnt 0xc
	v_dual_cndmask_b32 v15, v17, v19 :: v_dual_cndmask_b32 v14, v16, v18
	s_or_not1_b32 s5, s2, exec_lo
.LBB28_8:
	s_or_b32 exec_lo, exec_lo, s3
	s_wait_loadcnt 0xb
	v_and_b32_e32 v16, 1, v24
	s_delay_alu instid0(VALU_DEP_1) | instskip(SKIP_1) | instid1(SALU_CYCLE_1)
	v_cmp_eq_u32_e32 vcc_lo, 1, v16
                                        ; implicit-def: $vgpr16_vgpr17
	s_and_b32 s2, s5, vcc_lo
	s_xor_b32 s3, s2, -1
                                        ; implicit-def: $sgpr2
	s_delay_alu instid0(SALU_CYCLE_1) | instskip(NEXT) | instid1(SALU_CYCLE_1)
	s_and_saveexec_b32 s6, s3
	s_xor_b32 s3, exec_lo, s6
	s_cbranch_execz .LBB28_10
; %bb.9:
	s_wait_loadcnt 0xa
	s_delay_alu instid0(VALU_DEP_3)
	v_dual_cndmask_b32 v17, v13, v15, s5 :: v_dual_cndmask_b32 v16, v12, v14, s5
	s_or_b32 s2, s5, vcc_lo
                                        ; implicit-def: $vgpr12_vgpr13
                                        ; implicit-def: $vgpr14_vgpr15
.LBB28_10:
	s_and_not1_saveexec_b32 s3, s3
	s_cbranch_execz .LBB28_12
; %bb.11:
	s_wait_loadcnt 0xa
	s_delay_alu instid0(VALU_DEP_3)
	v_min_i64 v[16:17], v[12:13], v[14:15]
	s_or_b32 s2, s2, exec_lo
.LBB28_12:
	s_or_b32 exec_lo, exec_lo, s3
	s_wait_loadcnt 0x9
	v_and_b32_e32 v12, 1, v23
	s_delay_alu instid0(VALU_DEP_1) | instskip(SKIP_1) | instid1(SALU_CYCLE_1)
	v_cmp_eq_u32_e32 vcc_lo, 1, v12
                                        ; implicit-def: $vgpr12_vgpr13
	s_and_b32 s3, s2, vcc_lo
	s_xor_b32 s5, s3, -1
                                        ; implicit-def: $sgpr3
	s_delay_alu instid0(SALU_CYCLE_1) | instskip(NEXT) | instid1(SALU_CYCLE_1)
	s_and_saveexec_b32 s6, s5
	s_xor_b32 s5, exec_lo, s6
	s_cbranch_execz .LBB28_14
; %bb.13:
	s_wait_loadcnt 0x8
	s_delay_alu instid0(VALU_DEP_3)
	v_dual_cndmask_b32 v13, v11, v17, s2 :: v_dual_cndmask_b32 v12, v10, v16, s2
	s_or_b32 s3, s2, vcc_lo
                                        ; implicit-def: $vgpr10_vgpr11
                                        ; implicit-def: $vgpr16_vgpr17
.LBB28_14:
	s_and_not1_saveexec_b32 s2, s5
	s_cbranch_execz .LBB28_16
; %bb.15:
	s_wait_loadcnt 0x8
	s_delay_alu instid0(VALU_DEP_3)
	v_min_i64 v[12:13], v[10:11], v[16:17]
	s_or_b32 s3, s3, exec_lo
.LBB28_16:
	s_or_b32 exec_lo, exec_lo, s2
	s_wait_loadcnt 0x7
	v_and_b32_e32 v10, 1, v22
	s_delay_alu instid0(VALU_DEP_1) | instskip(SKIP_1) | instid1(SALU_CYCLE_1)
	v_cmp_eq_u32_e32 vcc_lo, 1, v10
                                        ; implicit-def: $vgpr10_vgpr11
	s_and_b32 s2, s3, vcc_lo
	s_xor_b32 s5, s2, -1
                                        ; implicit-def: $sgpr2
	s_delay_alu instid0(SALU_CYCLE_1) | instskip(NEXT) | instid1(SALU_CYCLE_1)
	s_and_saveexec_b32 s6, s5
	s_xor_b32 s5, exec_lo, s6
	s_cbranch_execz .LBB28_18
; %bb.17:
	s_wait_loadcnt 0x6
	s_delay_alu instid0(VALU_DEP_3)
	v_dual_cndmask_b32 v11, v9, v13, s3 :: v_dual_cndmask_b32 v10, v8, v12, s3
	s_or_b32 s2, s3, vcc_lo
                                        ; implicit-def: $vgpr8_vgpr9
                                        ; implicit-def: $vgpr12_vgpr13
.LBB28_18:
	s_and_not1_saveexec_b32 s3, s5
	s_cbranch_execz .LBB28_20
; %bb.19:
	s_wait_loadcnt 0x6
	s_delay_alu instid0(VALU_DEP_3)
	v_min_i64 v[10:11], v[8:9], v[12:13]
	s_or_b32 s2, s2, exec_lo
.LBB28_20:
	s_or_b32 exec_lo, exec_lo, s3
	s_wait_loadcnt 0x5
	v_and_b32_e32 v8, 1, v21
	s_delay_alu instid0(VALU_DEP_1) | instskip(SKIP_1) | instid1(SALU_CYCLE_1)
	v_cmp_eq_u32_e32 vcc_lo, 1, v8
                                        ; implicit-def: $vgpr8_vgpr9
	s_and_b32 s3, s2, vcc_lo
	s_xor_b32 s5, s3, -1
                                        ; implicit-def: $sgpr3
	s_delay_alu instid0(SALU_CYCLE_1) | instskip(NEXT) | instid1(SALU_CYCLE_1)
	s_and_saveexec_b32 s6, s5
	s_xor_b32 s5, exec_lo, s6
	s_cbranch_execz .LBB28_22
; %bb.21:
	s_wait_loadcnt 0x4
	s_delay_alu instid0(VALU_DEP_3)
	v_dual_cndmask_b32 v9, v7, v11, s2 :: v_dual_cndmask_b32 v8, v6, v10, s2
	s_or_b32 s3, s2, vcc_lo
                                        ; implicit-def: $vgpr6_vgpr7
                                        ; implicit-def: $vgpr10_vgpr11
.LBB28_22:
	s_and_not1_saveexec_b32 s2, s5
	s_cbranch_execz .LBB28_24
; %bb.23:
	s_wait_loadcnt 0x4
	s_delay_alu instid0(VALU_DEP_3)
	v_min_i64 v[8:9], v[6:7], v[10:11]
	s_or_b32 s3, s3, exec_lo
.LBB28_24:
	s_or_b32 exec_lo, exec_lo, s2
	s_wait_loadcnt 0x3
	v_and_b32_e32 v6, 1, v20
	s_delay_alu instid0(VALU_DEP_1) | instskip(SKIP_1) | instid1(SALU_CYCLE_1)
	v_cmp_eq_u32_e32 vcc_lo, 1, v6
                                        ; implicit-def: $vgpr6_vgpr7
	s_and_b32 s2, s3, vcc_lo
	s_xor_b32 s5, s2, -1
                                        ; implicit-def: $sgpr2
	s_delay_alu instid0(SALU_CYCLE_1) | instskip(NEXT) | instid1(SALU_CYCLE_1)
	s_and_saveexec_b32 s6, s5
	s_xor_b32 s5, exec_lo, s6
	s_cbranch_execz .LBB28_26
; %bb.25:
	s_wait_loadcnt 0x2
	s_delay_alu instid0(VALU_DEP_3)
	v_dual_cndmask_b32 v7, v5, v9, s3 :: v_dual_cndmask_b32 v6, v4, v8, s3
	s_or_b32 s2, s3, vcc_lo
                                        ; implicit-def: $vgpr4_vgpr5
                                        ; implicit-def: $vgpr8_vgpr9
.LBB28_26:
	s_and_not1_saveexec_b32 s3, s5
	s_cbranch_execz .LBB28_28
; %bb.27:
	s_wait_loadcnt 0x2
	s_delay_alu instid0(VALU_DEP_3)
	v_min_i64 v[6:7], v[4:5], v[8:9]
	s_or_b32 s2, s2, exec_lo
.LBB28_28:
	s_or_b32 exec_lo, exec_lo, s3
	s_wait_loadcnt 0x0
	s_delay_alu instid0(VALU_DEP_1) | instskip(SKIP_2) | instid1(VALU_DEP_2)
	v_min_i64 v[4:5], v[2:3], v[6:7]
	v_and_b32_e32 v8, 1, v1
	v_cndmask_b32_e64 v1, v1, 1, s2
	v_cmp_eq_u32_e32 vcc_lo, 1, v8
	s_delay_alu instid0(VALU_DEP_2) | instskip(SKIP_1) | instid1(VALU_DEP_2)
	v_and_b32_e32 v8, 0xff, v1
	v_and_b32_e32 v1, 1, v1
	v_mov_b32_dpp v9, v8 quad_perm:[1,0,3,2] row_mask:0xf bank_mask:0xf
	v_dual_cndmask_b32 v4, v6, v4 :: v_dual_cndmask_b32 v5, v7, v5
	s_delay_alu instid0(VALU_DEP_3) | instskip(NEXT) | instid1(VALU_DEP_2)
	v_cmp_eq_u32_e32 vcc_lo, 1, v1
	v_cndmask_b32_e64 v2, v2, v4, s2
	s_delay_alu instid0(VALU_DEP_1) | instskip(NEXT) | instid1(VALU_DEP_4)
	v_mov_b32_dpp v4, v2 quad_perm:[1,0,3,2] row_mask:0xf bank_mask:0xf
	v_cndmask_b32_e64 v3, v3, v5, s2
	s_mov_b32 s2, exec_lo
	s_delay_alu instid0(VALU_DEP_1) | instskip(NEXT) | instid1(VALU_DEP_1)
	v_mov_b32_dpp v5, v3 quad_perm:[1,0,3,2] row_mask:0xf bank_mask:0xf
	v_min_i64 v[6:7], v[2:3], v[4:5]
	s_delay_alu instid0(VALU_DEP_1) | instskip(NEXT) | instid1(VALU_DEP_2)
	v_dual_cndmask_b32 v4, v4, v6, vcc_lo :: v_dual_bitop2_b32 v1, 1, v9 bitop3:0x40
	v_cndmask_b32_e32 v5, v5, v7, vcc_lo
	s_delay_alu instid0(VALU_DEP_2) | instskip(NEXT) | instid1(VALU_DEP_3)
	v_cmp_eq_u32_e32 vcc_lo, 1, v1
	v_cndmask_b32_e32 v2, v2, v4, vcc_lo
	v_cndmask_b32_e64 v1, v8, 1, vcc_lo
	s_delay_alu instid0(VALU_DEP_2) | instskip(SKIP_1) | instid1(VALU_DEP_3)
	v_mov_b32_dpp v4, v2 quad_perm:[2,3,0,1] row_mask:0xf bank_mask:0xf
	v_cndmask_b32_e32 v3, v3, v5, vcc_lo
	v_mov_b32_dpp v9, v1 quad_perm:[2,3,0,1] row_mask:0xf bank_mask:0xf
	s_delay_alu instid0(VALU_DEP_2) | instskip(NEXT) | instid1(VALU_DEP_1)
	v_mov_b32_dpp v5, v3 quad_perm:[2,3,0,1] row_mask:0xf bank_mask:0xf
	v_min_i64 v[6:7], v[2:3], v[4:5]
	v_and_b32_e32 v8, 1, v1
	s_delay_alu instid0(VALU_DEP_1) | instskip(NEXT) | instid1(VALU_DEP_3)
	v_cmp_eq_u32_e32 vcc_lo, 1, v8
	v_dual_cndmask_b32 v4, v4, v6, vcc_lo :: v_dual_bitop2_b32 v8, 1, v9 bitop3:0x40
	s_delay_alu instid0(VALU_DEP_4) | instskip(NEXT) | instid1(VALU_DEP_2)
	v_cndmask_b32_e32 v5, v5, v7, vcc_lo
	v_cmp_eq_u32_e32 vcc_lo, 1, v8
	s_delay_alu instid0(VALU_DEP_3) | instskip(SKIP_1) | instid1(VALU_DEP_2)
	v_cndmask_b32_e32 v2, v2, v4, vcc_lo
	v_cndmask_b32_e64 v1, v1, 1, vcc_lo
	v_mov_b32_dpp v4, v2 row_ror:4 row_mask:0xf bank_mask:0xf
	v_cndmask_b32_e32 v3, v3, v5, vcc_lo
	s_delay_alu instid0(VALU_DEP_3) | instskip(NEXT) | instid1(VALU_DEP_2)
	v_mov_b32_dpp v9, v1 row_ror:4 row_mask:0xf bank_mask:0xf
	v_mov_b32_dpp v5, v3 row_ror:4 row_mask:0xf bank_mask:0xf
	s_delay_alu instid0(VALU_DEP_1) | instskip(SKIP_1) | instid1(VALU_DEP_1)
	v_min_i64 v[6:7], v[2:3], v[4:5]
	v_and_b32_e32 v8, 1, v1
	v_cmp_eq_u32_e32 vcc_lo, 1, v8
	s_delay_alu instid0(VALU_DEP_3) | instskip(NEXT) | instid1(VALU_DEP_4)
	v_dual_cndmask_b32 v4, v4, v6, vcc_lo :: v_dual_bitop2_b32 v8, 1, v9 bitop3:0x40
	v_cndmask_b32_e32 v5, v5, v7, vcc_lo
	s_delay_alu instid0(VALU_DEP_2) | instskip(NEXT) | instid1(VALU_DEP_3)
	v_cmp_eq_u32_e32 vcc_lo, 1, v8
	v_cndmask_b32_e32 v2, v2, v4, vcc_lo
	v_cndmask_b32_e64 v1, v1, 1, vcc_lo
	s_delay_alu instid0(VALU_DEP_2) | instskip(SKIP_1) | instid1(VALU_DEP_3)
	v_mov_b32_dpp v4, v2 row_ror:8 row_mask:0xf bank_mask:0xf
	v_cndmask_b32_e32 v3, v3, v5, vcc_lo
	v_mov_b32_dpp v9, v1 row_ror:8 row_mask:0xf bank_mask:0xf
	s_delay_alu instid0(VALU_DEP_2) | instskip(NEXT) | instid1(VALU_DEP_1)
	v_mov_b32_dpp v5, v3 row_ror:8 row_mask:0xf bank_mask:0xf
	v_min_i64 v[6:7], v[2:3], v[4:5]
	v_and_b32_e32 v8, 1, v1
	s_delay_alu instid0(VALU_DEP_1) | instskip(NEXT) | instid1(VALU_DEP_3)
	v_cmp_eq_u32_e32 vcc_lo, 1, v8
	v_dual_cndmask_b32 v4, v4, v6, vcc_lo :: v_dual_bitop2_b32 v8, 1, v9 bitop3:0x40
	s_delay_alu instid0(VALU_DEP_4) | instskip(NEXT) | instid1(VALU_DEP_2)
	v_cndmask_b32_e32 v5, v5, v7, vcc_lo
	v_cmp_eq_u32_e32 vcc_lo, 1, v8
	v_cndmask_b32_e64 v1, v1, 1, vcc_lo
	s_delay_alu instid0(VALU_DEP_4)
	v_cndmask_b32_e32 v2, v2, v4, vcc_lo
	ds_swizzle_b32 v8, v1 offset:swizzle(BROADCAST,32,15)
	v_cndmask_b32_e32 v3, v3, v5, vcc_lo
	ds_swizzle_b32 v4, v2 offset:swizzle(BROADCAST,32,15)
	s_wait_dscnt 0x1
	v_and_b32_e32 v8, 1, v8
	ds_swizzle_b32 v5, v3 offset:swizzle(BROADCAST,32,15)
	s_wait_dscnt 0x0
	v_min_i64 v[6:7], v[2:3], v[4:5]
	v_and_b32_e32 v9, 1, v1
	s_delay_alu instid0(VALU_DEP_1) | instskip(NEXT) | instid1(VALU_DEP_3)
	v_cmp_eq_u32_e32 vcc_lo, 1, v9
	v_dual_cndmask_b32 v4, v4, v6 :: v_dual_cndmask_b32 v5, v5, v7
	v_mov_b32_e32 v6, 0
	v_cmp_eq_u32_e32 vcc_lo, 1, v8
	v_mbcnt_lo_u32_b32 v8, -1, 0
	s_delay_alu instid0(VALU_DEP_4)
	v_dual_cndmask_b32 v3, v3, v5 :: v_dual_cndmask_b32 v2, v2, v4
	v_cndmask_b32_e64 v1, v1, 1, vcc_lo
	ds_bpermute_b32 v3, v6, v3 offset:124
	ds_bpermute_b32 v2, v6, v2 offset:124
	;; [unrolled: 1-line block ×3, first 2 shown]
	v_cmpx_eq_u32_e32 0, v8
	s_xor_b32 s2, exec_lo, s2
	s_cbranch_execz .LBB28_30
; %bb.29:
	v_lshrrev_b32_e32 v4, 1, v0
	s_delay_alu instid0(VALU_DEP_1)
	v_and_b32_e32 v4, 48, v4
	s_wait_dscnt 0x0
	ds_store_b8 v4, v1 offset:192
	ds_store_b64 v4, v[2:3] offset:200
.LBB28_30:
	s_or_b32 exec_lo, exec_lo, s2
	s_delay_alu instid0(SALU_CYCLE_1)
	s_mov_b32 s2, exec_lo
	s_wait_dscnt 0x0
	s_barrier_signal -1
	s_barrier_wait -1
	v_cmpx_gt_u32_e32 32, v0
	s_cbranch_execz .LBB28_36
; %bb.31:
	v_and_b32_e32 v2, 3, v8
	s_delay_alu instid0(VALU_DEP_1) | instskip(SKIP_2) | instid1(VALU_DEP_1)
	v_cmp_ne_u32_e32 vcc_lo, 3, v2
	v_lshlrev_b32_e32 v3, 4, v2
	v_add_co_ci_u32_e64 v2, null, 0, v8, vcc_lo
	v_lshlrev_b32_e32 v2, 2, v2
	ds_load_u8 v1, v3 offset:192
	ds_load_b64 v[4:5], v3 offset:200
	s_wait_dscnt 0x1
	v_and_b32_e32 v3, 0xff, v1
	s_wait_dscnt 0x0
	ds_bpermute_b32 v6, v2, v4
	ds_bpermute_b32 v7, v2, v5
	;; [unrolled: 1-line block ×3, first 2 shown]
	s_wait_dscnt 0x0
	v_and_b32_e32 v2, v1, v9
	s_delay_alu instid0(VALU_DEP_1) | instskip(NEXT) | instid1(VALU_DEP_1)
	v_and_b32_e32 v2, 1, v2
	v_cmp_eq_u32_e32 vcc_lo, 1, v2
                                        ; implicit-def: $vgpr2_vgpr3
	s_and_saveexec_b32 s3, vcc_lo
	s_delay_alu instid0(SALU_CYCLE_1)
	s_xor_b32 s3, exec_lo, s3
; %bb.32:
	v_min_i64 v[2:3], v[6:7], v[4:5]
                                        ; implicit-def: $vgpr1
                                        ; implicit-def: $vgpr6_vgpr7
                                        ; implicit-def: $vgpr4_vgpr5
                                        ; implicit-def: $vgpr9
; %bb.33:
	s_or_saveexec_b32 s3, s3
	v_dual_lshlrev_b32 v8, 2, v8 :: v_dual_mov_b32 v10, 1
	s_xor_b32 exec_lo, exec_lo, s3
; %bb.34:
	v_and_b32_e32 v1, 1, v1
	s_delay_alu instid0(VALU_DEP_1) | instskip(SKIP_2) | instid1(VALU_DEP_2)
	v_cmp_eq_u32_e32 vcc_lo, 1, v1
	v_and_b32_e32 v1, 0xff, v9
	v_dual_cndmask_b32 v3, v7, v5 :: v_dual_cndmask_b32 v2, v6, v4
	v_cndmask_b32_e64 v10, v1, 1, vcc_lo
; %bb.35:
	s_or_b32 exec_lo, exec_lo, s3
	v_or_b32_e32 v1, 8, v8
	ds_bpermute_b32 v4, v1, v2
	ds_bpermute_b32 v5, v1, v3
	v_and_b32_e32 v8, 1, v10
	s_delay_alu instid0(VALU_DEP_1)
	v_cmp_eq_u32_e32 vcc_lo, 1, v8
	s_wait_dscnt 0x0
	v_min_i64 v[6:7], v[4:5], v[2:3]
	v_cndmask_b32_e32 v2, v4, v2, vcc_lo
	ds_bpermute_b32 v1, v1, v10
	v_cndmask_b32_e32 v3, v5, v3, vcc_lo
	s_wait_dscnt 0x0
	v_bitop3_b32 v8, v10, 1, v1 bitop3:0x80
	v_cndmask_b32_e64 v1, v1, 1, vcc_lo
	s_delay_alu instid0(VALU_DEP_2) | instskip(NEXT) | instid1(VALU_DEP_2)
	v_cmp_eq_u32_e32 vcc_lo, 0, v8
	v_dual_cndmask_b32 v1, 1, v1, vcc_lo :: v_dual_cndmask_b32 v3, v7, v3, vcc_lo
	v_cndmask_b32_e32 v2, v6, v2, vcc_lo
.LBB28_36:
	s_or_b32 exec_lo, exec_lo, s2
.LBB28_37:
	v_cmp_eq_u32_e64 s2, 0, v0
	s_and_b32 vcc_lo, exec_lo, s17
	s_cbranch_vccnz .LBB28_41
	s_branch .LBB28_150
.LBB28_38:
	s_mov_b32 s2, 0
                                        ; implicit-def: $sgpr10_sgpr11
                                        ; implicit-def: $vgpr2_vgpr3
                                        ; implicit-def: $vgpr1
	s_cbranch_execnz .LBB28_187
	s_branch .LBB28_239
.LBB28_39:
	s_mov_b32 s17, -1
.LBB28_40:
	s_mov_b32 s2, 0
                                        ; implicit-def: $sgpr10_sgpr11
                                        ; implicit-def: $vgpr2_vgpr3
                                        ; implicit-def: $vgpr1
	s_and_b32 vcc_lo, exec_lo, s17
	s_cbranch_vccz .LBB28_150
.LBB28_41:
	s_cmp_eq_u32 s16, 4
	s_cbranch_scc0 .LBB28_60
; %bb.42:
	s_bfe_u32 s2, ttmp6, 0x4000c
	s_and_b32 s3, ttmp6, 15
	s_add_co_i32 s2, s2, 1
	s_getreg_b32 s4, hwreg(HW_REG_IB_STS2, 6, 4)
	s_mul_i32 s2, ttmp9, s2
	s_mov_b32 s11, 0
	s_add_co_i32 s3, s3, s2
	s_cmp_eq_u32 s4, 0
	s_mov_b32 s7, s11
	s_cselect_b32 s10, ttmp9, s3
	s_lshr_b64 s[2:3], s[14:15], 9
	s_lshl_b32 s6, s10, 9
	s_delay_alu instid0(SALU_CYCLE_1)
	s_lshl_b64 s[4:5], s[6:7], 4
	s_cmp_lg_u64 s[2:3], s[10:11]
	s_add_nc_u64 s[4:5], s[12:13], s[4:5]
	s_cbranch_scc0 .LBB28_84
; %bb.43:
	s_wait_dscnt 0x2
	v_lshlrev_b32_e32 v6, 4, v0
	s_clause 0x4
	global_load_u8 v13, v6, s[4:5]
	global_load_u8 v14, v6, s[4:5] offset:2048
	global_load_b64 v[10:11], v6, s[4:5] offset:8
	global_load_b64 v[8:9], v6, s[4:5] offset:2056
	global_load_u8 v12, v6, s[4:5] offset:4096
	s_wait_dscnt 0x0
	s_clause 0x2
	global_load_b64 v[4:5], v6, s[4:5] offset:4104
	global_load_u8 v1, v6, s[4:5] offset:6144
	global_load_b64 v[2:3], v6, s[4:5] offset:6152
	s_wait_loadcnt 0x6
	s_wait_xcnt 0x0
	v_and_b32_e32 v6, v14, v13
	s_delay_alu instid0(VALU_DEP_1) | instskip(NEXT) | instid1(VALU_DEP_1)
	v_and_b32_e32 v6, 1, v6
	v_cmp_eq_u32_e32 vcc_lo, 1, v6
                                        ; implicit-def: $vgpr6_vgpr7
	s_and_saveexec_b32 s2, vcc_lo
	s_delay_alu instid0(SALU_CYCLE_1)
	s_xor_b32 s2, exec_lo, s2
	s_cbranch_execz .LBB28_45
; %bb.44:
	s_wait_loadcnt 0x4
	v_min_i64 v[6:7], v[8:9], v[10:11]
                                        ; implicit-def: $vgpr13
                                        ; implicit-def: $vgpr14
                                        ; implicit-def: $vgpr8_vgpr9
                                        ; implicit-def: $vgpr10_vgpr11
.LBB28_45:
	s_or_saveexec_b32 s3, s2
	s_mov_b32 s7, -1
	s_xor_b32 exec_lo, exec_lo, s3
	s_cbranch_execz .LBB28_47
; %bb.46:
	v_and_b32_e32 v6, 1, v13
	v_bitop3_b16 v7, v14, 0xff, v13 bitop3:0xc8
	s_delay_alu instid0(VALU_DEP_2) | instskip(NEXT) | instid1(VALU_DEP_2)
	v_cmp_eq_u32_e32 vcc_lo, 1, v6
	v_cmp_ne_u16_e64 s2, 0, v7
	s_wait_loadcnt 0x4
	v_dual_cndmask_b32 v7, v9, v11 :: v_dual_cndmask_b32 v6, v8, v10
	s_or_not1_b32 s7, s2, exec_lo
.LBB28_47:
	s_or_b32 exec_lo, exec_lo, s3
	s_wait_loadcnt 0x3
	v_and_b32_e32 v8, 1, v12
	s_delay_alu instid0(VALU_DEP_1) | instskip(SKIP_1) | instid1(SALU_CYCLE_1)
	v_cmp_eq_u32_e32 vcc_lo, 1, v8
                                        ; implicit-def: $vgpr8_vgpr9
	s_and_b32 s2, s7, vcc_lo
	s_xor_b32 s3, s2, -1
                                        ; implicit-def: $sgpr2
	s_delay_alu instid0(SALU_CYCLE_1) | instskip(NEXT) | instid1(SALU_CYCLE_1)
	s_and_saveexec_b32 s8, s3
	s_xor_b32 s3, exec_lo, s8
	s_cbranch_execz .LBB28_49
; %bb.48:
	s_wait_loadcnt 0x2
	s_delay_alu instid0(VALU_DEP_3)
	v_dual_cndmask_b32 v9, v5, v7, s7 :: v_dual_cndmask_b32 v8, v4, v6, s7
	s_or_b32 s2, s7, vcc_lo
                                        ; implicit-def: $vgpr4_vgpr5
                                        ; implicit-def: $vgpr6_vgpr7
.LBB28_49:
	s_and_not1_saveexec_b32 s3, s3
	s_cbranch_execz .LBB28_51
; %bb.50:
	s_wait_loadcnt 0x2
	s_delay_alu instid0(VALU_DEP_3)
	v_min_i64 v[8:9], v[4:5], v[6:7]
	s_or_b32 s2, s2, exec_lo
.LBB28_51:
	s_or_b32 exec_lo, exec_lo, s3
	s_wait_loadcnt 0x0
	s_delay_alu instid0(VALU_DEP_1) | instskip(SKIP_2) | instid1(VALU_DEP_2)
	v_min_i64 v[4:5], v[2:3], v[8:9]
	v_and_b32_e32 v6, 1, v1
	v_cndmask_b32_e64 v1, v1, 1, s2
	v_cmp_eq_u32_e32 vcc_lo, 1, v6
	s_delay_alu instid0(VALU_DEP_4) | instskip(NEXT) | instid1(VALU_DEP_3)
	v_dual_cndmask_b32 v4, v8, v4 :: v_dual_cndmask_b32 v5, v9, v5
	v_and_b32_e32 v8, 0xff, v1
	s_delay_alu instid0(VALU_DEP_2) | instskip(NEXT) | instid1(VALU_DEP_2)
	v_dual_cndmask_b32 v2, v2, v4, s2 :: v_dual_bitop2_b32 v1, 1, v1 bitop3:0x40
	v_mov_b32_dpp v9, v8 quad_perm:[1,0,3,2] row_mask:0xf bank_mask:0xf
	s_delay_alu instid0(VALU_DEP_2) | instskip(NEXT) | instid1(VALU_DEP_3)
	v_cmp_eq_u32_e32 vcc_lo, 1, v1
	v_mov_b32_dpp v4, v2 quad_perm:[1,0,3,2] row_mask:0xf bank_mask:0xf
	v_cndmask_b32_e64 v3, v3, v5, s2
	s_mov_b32 s2, exec_lo
	s_delay_alu instid0(VALU_DEP_1) | instskip(NEXT) | instid1(VALU_DEP_1)
	v_mov_b32_dpp v5, v3 quad_perm:[1,0,3,2] row_mask:0xf bank_mask:0xf
	v_min_i64 v[6:7], v[2:3], v[4:5]
	s_delay_alu instid0(VALU_DEP_1) | instskip(NEXT) | instid1(VALU_DEP_2)
	v_dual_cndmask_b32 v4, v4, v6, vcc_lo :: v_dual_bitop2_b32 v1, 1, v9 bitop3:0x40
	v_cndmask_b32_e32 v5, v5, v7, vcc_lo
	s_delay_alu instid0(VALU_DEP_2) | instskip(NEXT) | instid1(VALU_DEP_3)
	v_cmp_eq_u32_e32 vcc_lo, 1, v1
	v_cndmask_b32_e32 v2, v2, v4, vcc_lo
	v_cndmask_b32_e64 v1, v8, 1, vcc_lo
	s_delay_alu instid0(VALU_DEP_2) | instskip(SKIP_1) | instid1(VALU_DEP_3)
	v_mov_b32_dpp v4, v2 quad_perm:[2,3,0,1] row_mask:0xf bank_mask:0xf
	v_cndmask_b32_e32 v3, v3, v5, vcc_lo
	v_mov_b32_dpp v9, v1 quad_perm:[2,3,0,1] row_mask:0xf bank_mask:0xf
	s_delay_alu instid0(VALU_DEP_2) | instskip(NEXT) | instid1(VALU_DEP_1)
	v_mov_b32_dpp v5, v3 quad_perm:[2,3,0,1] row_mask:0xf bank_mask:0xf
	v_min_i64 v[6:7], v[2:3], v[4:5]
	v_and_b32_e32 v8, 1, v1
	s_delay_alu instid0(VALU_DEP_1) | instskip(NEXT) | instid1(VALU_DEP_3)
	v_cmp_eq_u32_e32 vcc_lo, 1, v8
	v_dual_cndmask_b32 v4, v4, v6, vcc_lo :: v_dual_bitop2_b32 v8, 1, v9 bitop3:0x40
	s_delay_alu instid0(VALU_DEP_4) | instskip(NEXT) | instid1(VALU_DEP_2)
	v_cndmask_b32_e32 v5, v5, v7, vcc_lo
	v_cmp_eq_u32_e32 vcc_lo, 1, v8
	s_delay_alu instid0(VALU_DEP_3) | instskip(SKIP_1) | instid1(VALU_DEP_2)
	v_cndmask_b32_e32 v2, v2, v4, vcc_lo
	v_cndmask_b32_e64 v1, v1, 1, vcc_lo
	v_mov_b32_dpp v4, v2 row_ror:4 row_mask:0xf bank_mask:0xf
	v_cndmask_b32_e32 v3, v3, v5, vcc_lo
	s_delay_alu instid0(VALU_DEP_3) | instskip(NEXT) | instid1(VALU_DEP_2)
	v_mov_b32_dpp v9, v1 row_ror:4 row_mask:0xf bank_mask:0xf
	v_mov_b32_dpp v5, v3 row_ror:4 row_mask:0xf bank_mask:0xf
	s_delay_alu instid0(VALU_DEP_1) | instskip(SKIP_1) | instid1(VALU_DEP_1)
	v_min_i64 v[6:7], v[2:3], v[4:5]
	v_and_b32_e32 v8, 1, v1
	v_cmp_eq_u32_e32 vcc_lo, 1, v8
	s_delay_alu instid0(VALU_DEP_3) | instskip(NEXT) | instid1(VALU_DEP_4)
	v_dual_cndmask_b32 v4, v4, v6, vcc_lo :: v_dual_bitop2_b32 v8, 1, v9 bitop3:0x40
	v_cndmask_b32_e32 v5, v5, v7, vcc_lo
	s_delay_alu instid0(VALU_DEP_2) | instskip(NEXT) | instid1(VALU_DEP_3)
	v_cmp_eq_u32_e32 vcc_lo, 1, v8
	v_cndmask_b32_e32 v2, v2, v4, vcc_lo
	v_cndmask_b32_e64 v1, v1, 1, vcc_lo
	s_delay_alu instid0(VALU_DEP_2) | instskip(SKIP_1) | instid1(VALU_DEP_3)
	v_mov_b32_dpp v4, v2 row_ror:8 row_mask:0xf bank_mask:0xf
	v_cndmask_b32_e32 v3, v3, v5, vcc_lo
	v_mov_b32_dpp v9, v1 row_ror:8 row_mask:0xf bank_mask:0xf
	s_delay_alu instid0(VALU_DEP_2) | instskip(NEXT) | instid1(VALU_DEP_1)
	v_mov_b32_dpp v5, v3 row_ror:8 row_mask:0xf bank_mask:0xf
	v_min_i64 v[6:7], v[2:3], v[4:5]
	v_and_b32_e32 v8, 1, v1
	s_delay_alu instid0(VALU_DEP_1) | instskip(NEXT) | instid1(VALU_DEP_3)
	v_cmp_eq_u32_e32 vcc_lo, 1, v8
	v_dual_cndmask_b32 v4, v4, v6, vcc_lo :: v_dual_bitop2_b32 v8, 1, v9 bitop3:0x40
	s_delay_alu instid0(VALU_DEP_4) | instskip(NEXT) | instid1(VALU_DEP_2)
	v_cndmask_b32_e32 v5, v5, v7, vcc_lo
	v_cmp_eq_u32_e32 vcc_lo, 1, v8
	v_cndmask_b32_e64 v1, v1, 1, vcc_lo
	s_delay_alu instid0(VALU_DEP_4)
	v_cndmask_b32_e32 v2, v2, v4, vcc_lo
	ds_swizzle_b32 v8, v1 offset:swizzle(BROADCAST,32,15)
	v_cndmask_b32_e32 v3, v3, v5, vcc_lo
	ds_swizzle_b32 v4, v2 offset:swizzle(BROADCAST,32,15)
	s_wait_dscnt 0x1
	v_and_b32_e32 v8, 1, v8
	ds_swizzle_b32 v5, v3 offset:swizzle(BROADCAST,32,15)
	s_wait_dscnt 0x0
	v_min_i64 v[6:7], v[2:3], v[4:5]
	v_and_b32_e32 v9, 1, v1
	s_delay_alu instid0(VALU_DEP_1) | instskip(NEXT) | instid1(VALU_DEP_3)
	v_cmp_eq_u32_e32 vcc_lo, 1, v9
	v_dual_cndmask_b32 v4, v4, v6 :: v_dual_cndmask_b32 v5, v5, v7
	v_mov_b32_e32 v6, 0
	v_cmp_eq_u32_e32 vcc_lo, 1, v8
	v_mbcnt_lo_u32_b32 v8, -1, 0
	s_delay_alu instid0(VALU_DEP_4)
	v_dual_cndmask_b32 v3, v3, v5 :: v_dual_cndmask_b32 v2, v2, v4
	v_cndmask_b32_e64 v1, v1, 1, vcc_lo
	ds_bpermute_b32 v3, v6, v3 offset:124
	ds_bpermute_b32 v2, v6, v2 offset:124
	;; [unrolled: 1-line block ×3, first 2 shown]
	v_cmpx_eq_u32_e32 0, v8
	s_xor_b32 s2, exec_lo, s2
	s_cbranch_execz .LBB28_53
; %bb.52:
	v_lshrrev_b32_e32 v4, 1, v0
	s_delay_alu instid0(VALU_DEP_1)
	v_and_b32_e32 v4, 48, v4
	s_wait_dscnt 0x0
	ds_store_b8 v4, v1 offset:128
	ds_store_b64 v4, v[2:3] offset:136
.LBB28_53:
	s_or_b32 exec_lo, exec_lo, s2
	s_delay_alu instid0(SALU_CYCLE_1)
	s_mov_b32 s2, exec_lo
	s_wait_dscnt 0x0
	s_barrier_signal -1
	s_barrier_wait -1
	v_cmpx_gt_u32_e32 32, v0
	s_cbranch_execz .LBB28_59
; %bb.54:
	v_and_b32_e32 v2, 3, v8
	s_delay_alu instid0(VALU_DEP_1) | instskip(SKIP_2) | instid1(VALU_DEP_1)
	v_cmp_ne_u32_e32 vcc_lo, 3, v2
	v_lshlrev_b32_e32 v3, 4, v2
	v_add_co_ci_u32_e64 v2, null, 0, v8, vcc_lo
	v_lshlrev_b32_e32 v2, 2, v2
	ds_load_u8 v1, v3 offset:128
	ds_load_b64 v[4:5], v3 offset:136
	s_wait_dscnt 0x1
	v_and_b32_e32 v3, 0xff, v1
	s_wait_dscnt 0x0
	ds_bpermute_b32 v6, v2, v4
	ds_bpermute_b32 v7, v2, v5
	;; [unrolled: 1-line block ×3, first 2 shown]
	s_wait_dscnt 0x0
	v_and_b32_e32 v2, v1, v9
	s_delay_alu instid0(VALU_DEP_1) | instskip(NEXT) | instid1(VALU_DEP_1)
	v_and_b32_e32 v2, 1, v2
	v_cmp_eq_u32_e32 vcc_lo, 1, v2
                                        ; implicit-def: $vgpr2_vgpr3
	s_and_saveexec_b32 s3, vcc_lo
	s_delay_alu instid0(SALU_CYCLE_1)
	s_xor_b32 s3, exec_lo, s3
; %bb.55:
	v_min_i64 v[2:3], v[6:7], v[4:5]
                                        ; implicit-def: $vgpr1
                                        ; implicit-def: $vgpr6_vgpr7
                                        ; implicit-def: $vgpr4_vgpr5
                                        ; implicit-def: $vgpr9
; %bb.56:
	s_or_saveexec_b32 s3, s3
	v_dual_lshlrev_b32 v8, 2, v8 :: v_dual_mov_b32 v10, 1
	s_xor_b32 exec_lo, exec_lo, s3
; %bb.57:
	v_and_b32_e32 v1, 1, v1
	s_delay_alu instid0(VALU_DEP_1) | instskip(SKIP_2) | instid1(VALU_DEP_2)
	v_cmp_eq_u32_e32 vcc_lo, 1, v1
	v_and_b32_e32 v1, 0xff, v9
	v_dual_cndmask_b32 v3, v7, v5 :: v_dual_cndmask_b32 v2, v6, v4
	v_cndmask_b32_e64 v10, v1, 1, vcc_lo
; %bb.58:
	s_or_b32 exec_lo, exec_lo, s3
	v_or_b32_e32 v1, 8, v8
	ds_bpermute_b32 v4, v1, v2
	ds_bpermute_b32 v5, v1, v3
	v_and_b32_e32 v8, 1, v10
	s_delay_alu instid0(VALU_DEP_1)
	v_cmp_eq_u32_e32 vcc_lo, 1, v8
	s_wait_dscnt 0x0
	v_min_i64 v[6:7], v[4:5], v[2:3]
	v_cndmask_b32_e32 v2, v4, v2, vcc_lo
	ds_bpermute_b32 v1, v1, v10
	v_cndmask_b32_e32 v3, v5, v3, vcc_lo
	s_wait_dscnt 0x0
	v_bitop3_b32 v8, v10, 1, v1 bitop3:0x80
	v_cndmask_b32_e64 v1, v1, 1, vcc_lo
	s_delay_alu instid0(VALU_DEP_2) | instskip(NEXT) | instid1(VALU_DEP_2)
	v_cmp_eq_u32_e32 vcc_lo, 0, v8
	v_dual_cndmask_b32 v1, 1, v1, vcc_lo :: v_dual_cndmask_b32 v3, v7, v3, vcc_lo
	v_cndmask_b32_e32 v2, v6, v2, vcc_lo
.LBB28_59:
	s_or_b32 exec_lo, exec_lo, s2
	s_branch .LBB28_186
.LBB28_60:
                                        ; implicit-def: $sgpr10_sgpr11
                                        ; implicit-def: $vgpr2_vgpr3
                                        ; implicit-def: $vgpr1
	s_branch .LBB28_239
.LBB28_61:
                                        ; implicit-def: $vgpr2_vgpr3
                                        ; implicit-def: $vgpr1
	s_cbranch_execz .LBB28_37
; %bb.62:
	v_mov_b64_e32 v[16:17], 0
	v_mov_b64_e32 v[2:3], 0
	v_dual_mov_b32 v24, 0 :: v_dual_mov_b32 v1, 0
	s_sub_co_i32 s18, s14, s4
	s_mov_b32 s2, exec_lo
	v_cmpx_gt_u32_e64 s18, v0
	s_cbranch_execz .LBB28_64
; %bb.63:
	v_lshlrev_b32_e32 v4, 4, v0
	s_clause 0x1
	global_load_u8 v1, v4, s[8:9]
	global_load_b64 v[2:3], v4, s[8:9] offset:8
.LBB28_64:
	s_wait_xcnt 0x0
	s_or_b32 exec_lo, exec_lo, s2
	v_or_b32_e32 v4, 0x80, v0
	s_delay_alu instid0(VALU_DEP_1)
	v_cmp_gt_u32_e64 s7, s18, v4
	s_and_saveexec_b32 s2, s7
	s_cbranch_execz .LBB28_66
; %bb.65:
	v_lshlrev_b32_e32 v4, 4, v0
	s_clause 0x1
	global_load_u8 v24, v4, s[8:9] offset:2048
	global_load_b64 v[16:17], v4, s[8:9] offset:2056
.LBB28_66:
	s_wait_xcnt 0x0
	s_or_b32 exec_lo, exec_lo, s2
	v_or_b32_e32 v4, 0x100, v0
	v_mov_b64_e32 v[12:13], 0
	v_mov_b64_e32 v[14:15], 0
	v_dual_mov_b32 v22, 0 :: v_dual_mov_b32 v23, 0
	s_delay_alu instid0(VALU_DEP_4)
	v_cmp_gt_u32_e64 s6, s18, v4
	s_and_saveexec_b32 s2, s6
	s_cbranch_execz .LBB28_68
; %bb.67:
	v_lshlrev_b32_e32 v4, 4, v0
	s_clause 0x1
	global_load_u8 v23, v4, s[8:9] offset:4096
	global_load_b64 v[14:15], v4, s[8:9] offset:4104
.LBB28_68:
	s_wait_xcnt 0x0
	s_or_b32 exec_lo, exec_lo, s2
	v_or_b32_e32 v4, 0x180, v0
	s_delay_alu instid0(VALU_DEP_1)
	v_cmp_gt_u32_e64 s5, s18, v4
	s_and_saveexec_b32 s2, s5
	s_cbranch_execz .LBB28_70
; %bb.69:
	v_lshlrev_b32_e32 v4, 4, v0
	s_clause 0x1
	global_load_u8 v22, v4, s[8:9] offset:6144
	global_load_b64 v[12:13], v4, s[8:9] offset:6152
.LBB28_70:
	s_wait_xcnt 0x0
	s_or_b32 exec_lo, exec_lo, s2
	v_or_b32_e32 v4, 0x200, v0
	v_mov_b64_e32 v[8:9], 0
	v_mov_b64_e32 v[10:11], 0
	v_dual_mov_b32 v20, 0 :: v_dual_mov_b32 v21, 0
	s_delay_alu instid0(VALU_DEP_4)
	v_cmp_gt_u32_e64 s4, s18, v4
	s_and_saveexec_b32 s2, s4
	s_cbranch_execz .LBB28_72
; %bb.71:
	v_lshlrev_b32_e32 v4, 4, v0
	s_clause 0x1
	global_load_u8 v21, v4, s[8:9] offset:8192
	global_load_b64 v[10:11], v4, s[8:9] offset:8200
.LBB28_72:
	s_wait_xcnt 0x0
	s_or_b32 exec_lo, exec_lo, s2
	v_or_b32_e32 v4, 0x280, v0
	s_delay_alu instid0(VALU_DEP_1)
	v_cmp_gt_u32_e64 s3, s18, v4
	s_and_saveexec_b32 s2, s3
	s_cbranch_execz .LBB28_74
; %bb.73:
	v_lshlrev_b32_e32 v4, 4, v0
	s_clause 0x1
	global_load_u8 v20, v4, s[8:9] offset:10240
	global_load_b64 v[8:9], v4, s[8:9] offset:10248
.LBB28_74:
	s_wait_xcnt 0x0
	s_or_b32 exec_lo, exec_lo, s2
	v_or_b32_e32 v19, 0x300, v0
	v_mov_b64_e32 v[4:5], 0
	v_mov_b64_e32 v[6:7], 0
	v_mov_b32_e32 v18, 0
	s_delay_alu instid0(VALU_DEP_4)
	v_cmp_gt_u32_e64 s2, s18, v19
	v_mov_b32_e32 v19, 0
	s_and_saveexec_b32 s19, s2
	s_cbranch_execz .LBB28_76
; %bb.75:
	v_lshlrev_b32_e32 v25, 4, v0
	s_clause 0x1
	global_load_u8 v19, v25, s[8:9] offset:12288
	global_load_b64 v[6:7], v25, s[8:9] offset:12296
.LBB28_76:
	s_wait_xcnt 0x0
	s_or_b32 exec_lo, exec_lo, s19
	v_or_b32_e32 v25, 0x380, v0
	s_delay_alu instid0(VALU_DEP_1)
	v_cmp_gt_u32_e32 vcc_lo, s18, v25
	s_and_saveexec_b32 s19, vcc_lo
	s_cbranch_execnz .LBB28_95
; %bb.77:
	s_or_b32 exec_lo, exec_lo, s19
	s_and_saveexec_b32 s9, s7
	s_cbranch_execnz .LBB28_96
.LBB28_78:
	s_or_b32 exec_lo, exec_lo, s9
	s_and_saveexec_b32 s8, s6
	s_cbranch_execnz .LBB28_101
.LBB28_79:
	s_or_b32 exec_lo, exec_lo, s8
	s_and_saveexec_b32 s7, s5
	s_cbranch_execnz .LBB28_106
.LBB28_80:
	s_or_b32 exec_lo, exec_lo, s7
	s_and_saveexec_b32 s6, s4
	s_cbranch_execnz .LBB28_111
.LBB28_81:
	s_or_b32 exec_lo, exec_lo, s6
	s_and_saveexec_b32 s5, s3
	s_cbranch_execnz .LBB28_116
.LBB28_82:
	s_or_b32 exec_lo, exec_lo, s5
	s_and_saveexec_b32 s4, s2
	s_cbranch_execnz .LBB28_121
.LBB28_83:
	s_or_b32 exec_lo, exec_lo, s4
	s_and_saveexec_b32 s3, vcc_lo
	s_cbranch_execnz .LBB28_126
	s_branch .LBB28_131
.LBB28_84:
                                        ; implicit-def: $vgpr2_vgpr3
                                        ; implicit-def: $vgpr1
	s_cbranch_execz .LBB28_186
; %bb.85:
	v_mov_b64_e32 v[8:9], 0
	v_mov_b64_e32 v[2:3], 0
	v_dual_mov_b32 v12, 0 :: v_dual_mov_b32 v1, 0
	s_sub_co_i32 s6, s14, s6
	s_mov_b32 s2, exec_lo
	v_cmpx_gt_u32_e64 s6, v0
	s_cbranch_execz .LBB28_87
; %bb.86:
	s_wait_dscnt 0x1
	v_lshlrev_b32_e32 v4, 4, v0
	s_clause 0x1
	global_load_u8 v1, v4, s[4:5]
	global_load_b64 v[2:3], v4, s[4:5] offset:8
.LBB28_87:
	s_wait_xcnt 0x0
	s_or_b32 exec_lo, exec_lo, s2
	s_wait_dscnt 0x1
	v_or_b32_e32 v4, 0x80, v0
	s_delay_alu instid0(VALU_DEP_1)
	v_cmp_gt_u32_e64 s3, s6, v4
	s_and_saveexec_b32 s2, s3
	s_cbranch_execz .LBB28_89
; %bb.88:
	v_lshlrev_b32_e32 v4, 4, v0
	s_clause 0x1
	global_load_u8 v12, v4, s[4:5] offset:2048
	global_load_b64 v[8:9], v4, s[4:5] offset:2056
.LBB28_89:
	s_wait_xcnt 0x0
	s_or_b32 exec_lo, exec_lo, s2
	v_or_b32_e32 v11, 0x100, v0
	s_wait_dscnt 0x0
	v_mov_b64_e32 v[4:5], 0
	v_mov_b64_e32 v[6:7], 0
	v_mov_b32_e32 v10, 0
	v_cmp_gt_u32_e64 s2, s6, v11
	v_mov_b32_e32 v11, 0
	s_and_saveexec_b32 s7, s2
	s_cbranch_execz .LBB28_91
; %bb.90:
	v_lshlrev_b32_e32 v13, 4, v0
	s_clause 0x1
	global_load_u8 v11, v13, s[4:5] offset:4096
	global_load_b64 v[6:7], v13, s[4:5] offset:4104
.LBB28_91:
	s_wait_xcnt 0x0
	s_or_b32 exec_lo, exec_lo, s7
	v_or_b32_e32 v13, 0x180, v0
	s_delay_alu instid0(VALU_DEP_1)
	v_cmp_gt_u32_e32 vcc_lo, s6, v13
	s_and_saveexec_b32 s7, vcc_lo
	s_cbranch_execnz .LBB28_151
; %bb.92:
	s_or_b32 exec_lo, exec_lo, s7
	s_and_saveexec_b32 s5, s3
	s_cbranch_execnz .LBB28_152
.LBB28_93:
	s_or_b32 exec_lo, exec_lo, s5
	s_and_saveexec_b32 s4, s2
	s_cbranch_execnz .LBB28_157
.LBB28_94:
	s_or_b32 exec_lo, exec_lo, s4
	s_and_saveexec_b32 s3, vcc_lo
	s_cbranch_execnz .LBB28_162
	s_branch .LBB28_167
.LBB28_95:
	v_lshlrev_b32_e32 v25, 4, v0
	s_clause 0x1
	global_load_u8 v18, v25, s[8:9] offset:14336
	global_load_b64 v[4:5], v25, s[8:9] offset:14344
	s_wait_xcnt 0x0
	s_or_b32 exec_lo, exec_lo, s19
	s_and_saveexec_b32 s9, s7
	s_cbranch_execz .LBB28_78
.LBB28_96:
	s_wait_loadcnt 0x1
	v_and_b32_e32 v1, 1, v1
	v_and_b32_e32 v25, 1, v24
	s_delay_alu instid0(VALU_DEP_2) | instskip(NEXT) | instid1(VALU_DEP_2)
	v_cmp_eq_u32_e64 s7, 1, v1
	v_cmp_eq_u32_e64 s8, 1, v25
                                        ; implicit-def: $vgpr1
	s_and_b32 s8, s7, s8
	s_delay_alu instid0(SALU_CYCLE_1) | instskip(NEXT) | instid1(SALU_CYCLE_1)
	s_xor_b32 s8, s8, -1
	s_and_saveexec_b32 s19, s8
	s_delay_alu instid0(SALU_CYCLE_1)
	s_xor_b32 s8, exec_lo, s19
	s_cbranch_execz .LBB28_98
; %bb.97:
	v_and_b32_e32 v1, 0xff, v24
	s_wait_loadcnt 0x0
	v_dual_cndmask_b32 v3, v17, v3, s7 :: v_dual_cndmask_b32 v2, v16, v2, s7
                                        ; implicit-def: $vgpr16_vgpr17
	s_delay_alu instid0(VALU_DEP_2)
	v_cndmask_b32_e64 v1, v1, 1, s7
.LBB28_98:
	s_and_not1_saveexec_b32 s7, s8
	s_cbranch_execz .LBB28_100
; %bb.99:
	s_wait_loadcnt 0x0
	v_min_i64 v[2:3], v[16:17], v[2:3]
	v_mov_b32_e32 v1, 1
.LBB28_100:
	s_or_b32 exec_lo, exec_lo, s7
	s_delay_alu instid0(SALU_CYCLE_1)
	s_or_b32 exec_lo, exec_lo, s9
	s_and_saveexec_b32 s8, s6
	s_cbranch_execz .LBB28_79
.LBB28_101:
	s_wait_loadcnt 0x1
	v_and_b32_e32 v1, 1, v1
	s_wait_loadcnt 0x0
	v_and_b32_e32 v16, 1, v23
	s_delay_alu instid0(VALU_DEP_2) | instskip(NEXT) | instid1(VALU_DEP_2)
	v_cmp_eq_u32_e64 s6, 1, v1
	v_cmp_eq_u32_e64 s7, 1, v16
                                        ; implicit-def: $vgpr1
	s_and_b32 s7, s6, s7
	s_delay_alu instid0(SALU_CYCLE_1) | instskip(NEXT) | instid1(SALU_CYCLE_1)
	s_xor_b32 s7, s7, -1
	s_and_saveexec_b32 s9, s7
	s_delay_alu instid0(SALU_CYCLE_1)
	s_xor_b32 s7, exec_lo, s9
; %bb.102:
	v_and_b32_e32 v1, 0xff, v23
	v_dual_cndmask_b32 v3, v15, v3, s6 :: v_dual_cndmask_b32 v2, v14, v2, s6
                                        ; implicit-def: $vgpr14_vgpr15
	s_delay_alu instid0(VALU_DEP_2)
	v_cndmask_b32_e64 v1, v1, 1, s6
; %bb.103:
	s_and_not1_saveexec_b32 s6, s7
	s_cbranch_execz .LBB28_105
; %bb.104:
	s_delay_alu instid0(VALU_DEP_2)
	v_min_i64 v[2:3], v[14:15], v[2:3]
	v_mov_b32_e32 v1, 1
.LBB28_105:
	s_or_b32 exec_lo, exec_lo, s6
	s_delay_alu instid0(SALU_CYCLE_1)
	s_or_b32 exec_lo, exec_lo, s8
	s_and_saveexec_b32 s7, s5
	s_cbranch_execz .LBB28_80
.LBB28_106:
	s_wait_loadcnt 0x1
	v_and_b32_e32 v1, 1, v1
	s_wait_loadcnt 0x0
	v_and_b32_e32 v14, 1, v22
	s_delay_alu instid0(VALU_DEP_2) | instskip(NEXT) | instid1(VALU_DEP_2)
	v_cmp_eq_u32_e64 s5, 1, v1
	v_cmp_eq_u32_e64 s6, 1, v14
                                        ; implicit-def: $vgpr1
	s_and_b32 s6, s5, s6
	s_delay_alu instid0(SALU_CYCLE_1) | instskip(NEXT) | instid1(SALU_CYCLE_1)
	s_xor_b32 s6, s6, -1
	s_and_saveexec_b32 s8, s6
	s_delay_alu instid0(SALU_CYCLE_1)
	s_xor_b32 s6, exec_lo, s8
; %bb.107:
	v_and_b32_e32 v1, 0xff, v22
	v_dual_cndmask_b32 v3, v13, v3, s5 :: v_dual_cndmask_b32 v2, v12, v2, s5
                                        ; implicit-def: $vgpr12_vgpr13
	s_delay_alu instid0(VALU_DEP_2)
	v_cndmask_b32_e64 v1, v1, 1, s5
; %bb.108:
	s_and_not1_saveexec_b32 s5, s6
	s_cbranch_execz .LBB28_110
; %bb.109:
	s_delay_alu instid0(VALU_DEP_2)
	v_min_i64 v[2:3], v[12:13], v[2:3]
	v_mov_b32_e32 v1, 1
.LBB28_110:
	s_or_b32 exec_lo, exec_lo, s5
	s_delay_alu instid0(SALU_CYCLE_1)
	s_or_b32 exec_lo, exec_lo, s7
	s_and_saveexec_b32 s6, s4
	s_cbranch_execz .LBB28_81
.LBB28_111:
	s_wait_loadcnt 0x1
	v_and_b32_e32 v1, 1, v1
	s_wait_loadcnt 0x0
	v_and_b32_e32 v12, 1, v21
	s_delay_alu instid0(VALU_DEP_2) | instskip(NEXT) | instid1(VALU_DEP_2)
	v_cmp_eq_u32_e64 s4, 1, v1
	v_cmp_eq_u32_e64 s5, 1, v12
                                        ; implicit-def: $vgpr1
	s_and_b32 s5, s4, s5
	s_delay_alu instid0(SALU_CYCLE_1) | instskip(NEXT) | instid1(SALU_CYCLE_1)
	s_xor_b32 s5, s5, -1
	s_and_saveexec_b32 s7, s5
	s_delay_alu instid0(SALU_CYCLE_1)
	s_xor_b32 s5, exec_lo, s7
; %bb.112:
	v_and_b32_e32 v1, 0xff, v21
	v_dual_cndmask_b32 v3, v11, v3, s4 :: v_dual_cndmask_b32 v2, v10, v2, s4
                                        ; implicit-def: $vgpr10_vgpr11
	s_delay_alu instid0(VALU_DEP_2)
	v_cndmask_b32_e64 v1, v1, 1, s4
; %bb.113:
	s_and_not1_saveexec_b32 s4, s5
	s_cbranch_execz .LBB28_115
; %bb.114:
	s_delay_alu instid0(VALU_DEP_2)
	v_min_i64 v[2:3], v[10:11], v[2:3]
	v_mov_b32_e32 v1, 1
.LBB28_115:
	s_or_b32 exec_lo, exec_lo, s4
	s_delay_alu instid0(SALU_CYCLE_1)
	s_or_b32 exec_lo, exec_lo, s6
	s_and_saveexec_b32 s5, s3
	s_cbranch_execz .LBB28_82
.LBB28_116:
	s_wait_loadcnt 0x1
	v_and_b32_e32 v1, 1, v1
	s_wait_loadcnt 0x0
	v_and_b32_e32 v10, 1, v20
	s_delay_alu instid0(VALU_DEP_2) | instskip(NEXT) | instid1(VALU_DEP_2)
	v_cmp_eq_u32_e64 s3, 1, v1
	v_cmp_eq_u32_e64 s4, 1, v10
                                        ; implicit-def: $vgpr1
	s_and_b32 s4, s3, s4
	s_delay_alu instid0(SALU_CYCLE_1) | instskip(NEXT) | instid1(SALU_CYCLE_1)
	s_xor_b32 s4, s4, -1
	s_and_saveexec_b32 s6, s4
	s_delay_alu instid0(SALU_CYCLE_1)
	s_xor_b32 s4, exec_lo, s6
; %bb.117:
	v_and_b32_e32 v1, 0xff, v20
	v_dual_cndmask_b32 v3, v9, v3, s3 :: v_dual_cndmask_b32 v2, v8, v2, s3
                                        ; implicit-def: $vgpr8_vgpr9
	s_delay_alu instid0(VALU_DEP_2)
	v_cndmask_b32_e64 v1, v1, 1, s3
; %bb.118:
	s_and_not1_saveexec_b32 s3, s4
	s_cbranch_execz .LBB28_120
; %bb.119:
	s_delay_alu instid0(VALU_DEP_2)
	v_min_i64 v[2:3], v[8:9], v[2:3]
	v_mov_b32_e32 v1, 1
.LBB28_120:
	s_or_b32 exec_lo, exec_lo, s3
	s_delay_alu instid0(SALU_CYCLE_1)
	s_or_b32 exec_lo, exec_lo, s5
	s_and_saveexec_b32 s4, s2
	s_cbranch_execz .LBB28_83
.LBB28_121:
	s_wait_loadcnt 0x1
	v_and_b32_e32 v1, 1, v1
	s_wait_loadcnt 0x0
	v_and_b32_e32 v8, 1, v19
	s_delay_alu instid0(VALU_DEP_2) | instskip(NEXT) | instid1(VALU_DEP_2)
	v_cmp_eq_u32_e64 s2, 1, v1
	v_cmp_eq_u32_e64 s3, 1, v8
                                        ; implicit-def: $vgpr1
	s_and_b32 s3, s2, s3
	s_delay_alu instid0(SALU_CYCLE_1) | instskip(NEXT) | instid1(SALU_CYCLE_1)
	s_xor_b32 s3, s3, -1
	s_and_saveexec_b32 s5, s3
	s_delay_alu instid0(SALU_CYCLE_1)
	s_xor_b32 s3, exec_lo, s5
; %bb.122:
	v_and_b32_e32 v1, 0xff, v19
	v_dual_cndmask_b32 v3, v7, v3, s2 :: v_dual_cndmask_b32 v2, v6, v2, s2
                                        ; implicit-def: $vgpr6_vgpr7
	s_delay_alu instid0(VALU_DEP_2)
	v_cndmask_b32_e64 v1, v1, 1, s2
; %bb.123:
	s_and_not1_saveexec_b32 s2, s3
	s_cbranch_execz .LBB28_125
; %bb.124:
	s_delay_alu instid0(VALU_DEP_2)
	v_min_i64 v[2:3], v[6:7], v[2:3]
	v_mov_b32_e32 v1, 1
.LBB28_125:
	s_or_b32 exec_lo, exec_lo, s2
	s_delay_alu instid0(SALU_CYCLE_1)
	s_or_b32 exec_lo, exec_lo, s4
	s_and_saveexec_b32 s3, vcc_lo
	s_cbranch_execz .LBB28_131
.LBB28_126:
	s_wait_loadcnt 0x1
	v_and_b32_e32 v1, 1, v1
	s_wait_loadcnt 0x0
	v_and_b32_e32 v6, 1, v18
	s_delay_alu instid0(VALU_DEP_2) | instskip(NEXT) | instid1(VALU_DEP_2)
	v_cmp_eq_u32_e32 vcc_lo, 1, v1
	v_cmp_eq_u32_e64 s2, 1, v6
                                        ; implicit-def: $vgpr1
	s_and_b32 s2, vcc_lo, s2
	s_delay_alu instid0(SALU_CYCLE_1) | instskip(NEXT) | instid1(SALU_CYCLE_1)
	s_xor_b32 s2, s2, -1
	s_and_saveexec_b32 s4, s2
	s_delay_alu instid0(SALU_CYCLE_1)
	s_xor_b32 s2, exec_lo, s4
; %bb.127:
	v_and_b32_e32 v1, 0xff, v18
	v_dual_cndmask_b32 v3, v5, v3 :: v_dual_cndmask_b32 v2, v4, v2
                                        ; implicit-def: $vgpr4_vgpr5
	s_delay_alu instid0(VALU_DEP_2)
	v_cndmask_b32_e64 v1, v1, 1, vcc_lo
; %bb.128:
	s_and_not1_saveexec_b32 s2, s2
	s_cbranch_execz .LBB28_130
; %bb.129:
	s_delay_alu instid0(VALU_DEP_2)
	v_min_i64 v[2:3], v[4:5], v[2:3]
	v_mov_b32_e32 v1, 1
.LBB28_130:
	s_or_b32 exec_lo, exec_lo, s2
.LBB28_131:
	s_delay_alu instid0(SALU_CYCLE_1)
	s_or_b32 exec_lo, exec_lo, s3
	s_wait_loadcnt 0x0
	v_mbcnt_lo_u32_b32 v6, -1, 0
	v_and_b32_e32 v7, 0x60, v0
	s_min_u32 s3, s18, 0x80
	s_mov_b32 s2, exec_lo
	s_delay_alu instid0(VALU_DEP_2) | instskip(NEXT) | instid1(VALU_DEP_2)
	v_cmp_ne_u32_e32 vcc_lo, 31, v6
	v_sub_nc_u32_e64 v7, s3, v7 clamp
	v_add_nc_u32_e32 v9, 1, v6
	v_add_co_ci_u32_e64 v4, null, 0, v6, vcc_lo
	s_delay_alu instid0(VALU_DEP_1)
	v_lshlrev_b32_e32 v5, 2, v4
	ds_bpermute_b32 v8, v5, v1
	ds_bpermute_b32 v4, v5, v2
	;; [unrolled: 1-line block ×3, first 2 shown]
	v_cmpx_lt_u32_e64 v9, v7
	s_xor_b32 s4, exec_lo, s2
	s_cbranch_execz .LBB28_133
; %bb.132:
	s_wait_dscnt 0x0
	v_min_i64 v[10:11], v[4:5], v[2:3]
	v_and_b32_e32 v9, 1, v1
	s_delay_alu instid0(VALU_DEP_1) | instskip(SKIP_3) | instid1(VALU_DEP_3)
	v_cmp_eq_u32_e32 vcc_lo, 1, v9
	v_and_b32_e32 v1, v8, v1
	v_and_b32_e32 v8, 0xff, v8
	v_dual_cndmask_b32 v2, v4, v2 :: v_dual_cndmask_b32 v3, v5, v3
	v_cmp_eq_u32_e64 s2, 0, v1
	s_delay_alu instid0(VALU_DEP_3) | instskip(NEXT) | instid1(VALU_DEP_1)
	v_cndmask_b32_e64 v1, v8, 1, vcc_lo
	v_dual_cndmask_b32 v1, 1, v1, s2 :: v_dual_cndmask_b32 v3, v11, v3, s2
	s_delay_alu instid0(VALU_DEP_4)
	v_cndmask_b32_e64 v2, v10, v2, s2
.LBB28_133:
	s_or_b32 exec_lo, exec_lo, s4
	v_cmp_gt_u32_e32 vcc_lo, 30, v6
	v_add_nc_u32_e32 v9, 2, v6
	s_mov_b32 s4, exec_lo
	s_wait_dscnt 0x1
	v_cndmask_b32_e64 v4, 0, 2, vcc_lo
	s_wait_dscnt 0x0
	s_delay_alu instid0(VALU_DEP_1)
	v_add_lshl_u32 v5, v4, v6, 2
	ds_bpermute_b32 v8, v5, v1
	ds_bpermute_b32 v4, v5, v2
	ds_bpermute_b32 v5, v5, v3
	v_cmpx_lt_u32_e64 v9, v7
	s_cbranch_execz .LBB28_135
; %bb.134:
	s_wait_dscnt 0x0
	v_min_i64 v[10:11], v[4:5], v[2:3]
	v_and_b32_e32 v9, 1, v1
	v_bitop3_b32 v1, v1, 1, v8 bitop3:0x80
	v_and_b32_e32 v8, 0xff, v8
	s_delay_alu instid0(VALU_DEP_3) | instskip(NEXT) | instid1(VALU_DEP_3)
	v_cmp_eq_u32_e32 vcc_lo, 1, v9
	v_cmp_eq_u32_e64 s2, 0, v1
	v_dual_cndmask_b32 v2, v4, v2 :: v_dual_cndmask_b32 v3, v5, v3
	s_delay_alu instid0(VALU_DEP_4) | instskip(NEXT) | instid1(VALU_DEP_1)
	v_cndmask_b32_e64 v1, v8, 1, vcc_lo
	v_dual_cndmask_b32 v1, 1, v1, s2 :: v_dual_cndmask_b32 v2, v10, v2, s2
	s_delay_alu instid0(VALU_DEP_3)
	v_cndmask_b32_e64 v3, v11, v3, s2
.LBB28_135:
	s_or_b32 exec_lo, exec_lo, s4
	v_cmp_gt_u32_e32 vcc_lo, 28, v6
	v_add_nc_u32_e32 v9, 4, v6
	s_mov_b32 s4, exec_lo
	s_wait_dscnt 0x1
	v_cndmask_b32_e64 v4, 0, 4, vcc_lo
	s_wait_dscnt 0x0
	s_delay_alu instid0(VALU_DEP_1)
	v_add_lshl_u32 v5, v4, v6, 2
	ds_bpermute_b32 v8, v5, v1
	ds_bpermute_b32 v4, v5, v2
	ds_bpermute_b32 v5, v5, v3
	v_cmpx_lt_u32_e64 v9, v7
	s_cbranch_execz .LBB28_137
; %bb.136:
	s_wait_dscnt 0x0
	v_min_i64 v[10:11], v[4:5], v[2:3]
	v_and_b32_e32 v9, 1, v1
	v_bitop3_b32 v1, v1, 1, v8 bitop3:0x80
	v_and_b32_e32 v8, 0xff, v8
	s_delay_alu instid0(VALU_DEP_3) | instskip(NEXT) | instid1(VALU_DEP_3)
	v_cmp_eq_u32_e32 vcc_lo, 1, v9
	v_cmp_eq_u32_e64 s2, 0, v1
	v_dual_cndmask_b32 v2, v4, v2 :: v_dual_cndmask_b32 v3, v5, v3
	s_delay_alu instid0(VALU_DEP_4) | instskip(NEXT) | instid1(VALU_DEP_1)
	v_cndmask_b32_e64 v1, v8, 1, vcc_lo
	v_dual_cndmask_b32 v1, 1, v1, s2 :: v_dual_cndmask_b32 v2, v10, v2, s2
	s_delay_alu instid0(VALU_DEP_3)
	v_cndmask_b32_e64 v3, v11, v3, s2
.LBB28_137:
	;; [unrolled: 30-line block ×3, first 2 shown]
	s_or_b32 exec_lo, exec_lo, s4
	s_wait_dscnt 0x2
	v_dual_lshlrev_b32 v8, 2, v6 :: v_dual_add_nc_u32 v10, 16, v6
	s_wait_dscnt 0x0
	s_delay_alu instid0(VALU_DEP_1) | instskip(NEXT) | instid1(VALU_DEP_2)
	v_or_b32_e32 v5, 64, v8
	v_cmp_lt_u32_e32 vcc_lo, v10, v7
	v_mov_b32_e32 v7, v1
	ds_bpermute_b32 v9, v5, v1
	ds_bpermute_b32 v4, v5, v2
	;; [unrolled: 1-line block ×3, first 2 shown]
	s_and_saveexec_b32 s4, vcc_lo
	s_cbranch_execz .LBB28_141
; %bb.140:
	s_wait_dscnt 0x0
	v_min_i64 v[10:11], v[4:5], v[2:3]
	v_and_b32_e32 v7, 1, v1
	v_bitop3_b32 v1, v1, 1, v9 bitop3:0x80
	s_delay_alu instid0(VALU_DEP_2) | instskip(NEXT) | instid1(VALU_DEP_2)
	v_cmp_eq_u32_e32 vcc_lo, 1, v7
	v_cmp_eq_u32_e64 s2, 0, v1
	v_cndmask_b32_e64 v7, v9, 1, vcc_lo
	v_dual_cndmask_b32 v1, v5, v3 :: v_dual_cndmask_b32 v2, v4, v2
	s_delay_alu instid0(VALU_DEP_1) | instskip(NEXT) | instid1(VALU_DEP_2)
	v_dual_cndmask_b32 v7, 1, v7, s2 :: v_dual_cndmask_b32 v3, v11, v1, s2
	v_cndmask_b32_e64 v2, v10, v2, s2
	s_delay_alu instid0(VALU_DEP_2)
	v_and_b32_e32 v1, 0xff, v7
.LBB28_141:
	s_or_b32 exec_lo, exec_lo, s4
	s_delay_alu instid0(SALU_CYCLE_1)
	s_mov_b32 s2, exec_lo
	v_cmpx_eq_u32_e32 0, v6
	s_cbranch_execz .LBB28_143
; %bb.142:
	s_wait_dscnt 0x1
	v_lshrrev_b32_e32 v4, 1, v0
	s_delay_alu instid0(VALU_DEP_1)
	v_and_b32_e32 v4, 48, v4
	ds_store_b8 v4, v7 offset:256
	ds_store_b64 v4, v[2:3] offset:264
.LBB28_143:
	s_or_b32 exec_lo, exec_lo, s2
	s_delay_alu instid0(SALU_CYCLE_1)
	s_mov_b32 s4, exec_lo
	s_wait_dscnt 0x0
	s_barrier_signal -1
	s_barrier_wait -1
	v_cmpx_gt_u32_e32 4, v0
	s_cbranch_execz .LBB28_149
; %bb.144:
	v_dual_lshlrev_b32 v1, 4, v6 :: v_dual_bitop2_b32 v7, 3, v6 bitop3:0x40
	s_add_co_i32 s3, s3, 31
	s_mov_b32 s5, exec_lo
	s_lshr_b32 s3, s3, 5
	ds_load_u8 v9, v1 offset:256
	ds_load_b64 v[2:3], v1 offset:264
	v_cmp_ne_u32_e32 vcc_lo, 3, v7
	v_add_nc_u32_e32 v10, 1, v7
	v_add_co_ci_u32_e64 v1, null, 0, v6, vcc_lo
	s_delay_alu instid0(VALU_DEP_1)
	v_lshlrev_b32_e32 v5, 2, v1
	s_wait_dscnt 0x1
	v_and_b32_e32 v1, 0xff, v9
	s_wait_dscnt 0x0
	ds_bpermute_b32 v4, v5, v2
	ds_bpermute_b32 v6, v5, v1
	;; [unrolled: 1-line block ×3, first 2 shown]
	v_cmpx_gt_u32_e64 s3, v10
	s_cbranch_execz .LBB28_146
; %bb.145:
	s_wait_dscnt 0x0
	v_min_i64 v[10:11], v[4:5], v[2:3]
	v_and_b32_e32 v9, 1, v9
	v_bitop3_b32 v1, v1, 1, v6 bitop3:0x80
	v_and_b32_e32 v6, 0xff, v6
	s_delay_alu instid0(VALU_DEP_3) | instskip(NEXT) | instid1(VALU_DEP_3)
	v_cmp_eq_u32_e32 vcc_lo, 1, v9
	v_cmp_eq_u32_e64 s2, 0, v1
	v_dual_cndmask_b32 v2, v4, v2 :: v_dual_cndmask_b32 v3, v5, v3
	s_delay_alu instid0(VALU_DEP_4) | instskip(NEXT) | instid1(VALU_DEP_1)
	v_cndmask_b32_e64 v1, v6, 1, vcc_lo
	v_dual_cndmask_b32 v1, 1, v1, s2 :: v_dual_cndmask_b32 v2, v10, v2, s2
	s_delay_alu instid0(VALU_DEP_3)
	v_cndmask_b32_e64 v3, v11, v3, s2
.LBB28_146:
	s_or_b32 exec_lo, exec_lo, s5
	s_wait_dscnt 0x0
	v_dual_add_nc_u32 v7, 2, v7 :: v_dual_bitop2_b32 v5, 8, v8 bitop3:0x54
	ds_bpermute_b32 v6, v5, v1
	ds_bpermute_b32 v4, v5, v2
	;; [unrolled: 1-line block ×3, first 2 shown]
	v_cmp_gt_u32_e32 vcc_lo, s3, v7
	s_and_saveexec_b32 s3, vcc_lo
	s_cbranch_execz .LBB28_148
; %bb.147:
	s_wait_dscnt 0x0
	v_min_i64 v[8:9], v[4:5], v[2:3]
	v_and_b32_e32 v7, 1, v1
	v_bitop3_b32 v1, v1, 1, v6 bitop3:0x80
	s_delay_alu instid0(VALU_DEP_2) | instskip(NEXT) | instid1(VALU_DEP_2)
	v_cmp_eq_u32_e32 vcc_lo, 1, v7
	v_cmp_eq_u32_e64 s2, 0, v1
	v_dual_cndmask_b32 v2, v4, v2 :: v_dual_cndmask_b32 v3, v5, v3
	v_cndmask_b32_e64 v1, v6, 1, vcc_lo
	s_delay_alu instid0(VALU_DEP_1) | instskip(NEXT) | instid1(VALU_DEP_3)
	v_dual_cndmask_b32 v1, 1, v1, s2 :: v_dual_cndmask_b32 v2, v8, v2, s2
	v_cndmask_b32_e64 v3, v9, v3, s2
.LBB28_148:
	s_or_b32 exec_lo, exec_lo, s3
.LBB28_149:
	s_delay_alu instid0(SALU_CYCLE_1)
	s_or_b32 exec_lo, exec_lo, s4
	v_cmp_eq_u32_e64 s2, 0, v0
	s_and_b32 vcc_lo, exec_lo, s17
	s_cbranch_vccnz .LBB28_41
.LBB28_150:
	s_branch .LBB28_239
.LBB28_151:
	v_lshlrev_b32_e32 v13, 4, v0
	s_clause 0x1
	global_load_u8 v10, v13, s[4:5] offset:6144
	global_load_b64 v[4:5], v13, s[4:5] offset:6152
	s_wait_xcnt 0x0
	s_or_b32 exec_lo, exec_lo, s7
	s_and_saveexec_b32 s5, s3
	s_cbranch_execz .LBB28_93
.LBB28_152:
	s_wait_loadcnt 0x1
	v_and_b32_e32 v1, 1, v1
	v_and_b32_e32 v13, 1, v12
	s_delay_alu instid0(VALU_DEP_2) | instskip(NEXT) | instid1(VALU_DEP_2)
	v_cmp_eq_u32_e64 s3, 1, v1
	v_cmp_eq_u32_e64 s4, 1, v13
                                        ; implicit-def: $vgpr1
	s_and_b32 s4, s3, s4
	s_delay_alu instid0(SALU_CYCLE_1) | instskip(NEXT) | instid1(SALU_CYCLE_1)
	s_xor_b32 s4, s4, -1
	s_and_saveexec_b32 s7, s4
	s_delay_alu instid0(SALU_CYCLE_1)
	s_xor_b32 s4, exec_lo, s7
	s_cbranch_execz .LBB28_154
; %bb.153:
	v_and_b32_e32 v1, 0xff, v12
	s_wait_loadcnt 0x0
	v_dual_cndmask_b32 v3, v9, v3, s3 :: v_dual_cndmask_b32 v2, v8, v2, s3
                                        ; implicit-def: $vgpr8_vgpr9
	s_delay_alu instid0(VALU_DEP_2)
	v_cndmask_b32_e64 v1, v1, 1, s3
.LBB28_154:
	s_and_not1_saveexec_b32 s3, s4
	s_cbranch_execz .LBB28_156
; %bb.155:
	s_wait_loadcnt 0x0
	v_min_i64 v[2:3], v[8:9], v[2:3]
	v_mov_b32_e32 v1, 1
.LBB28_156:
	s_or_b32 exec_lo, exec_lo, s3
	s_delay_alu instid0(SALU_CYCLE_1)
	s_or_b32 exec_lo, exec_lo, s5
	s_and_saveexec_b32 s4, s2
	s_cbranch_execz .LBB28_94
.LBB28_157:
	s_wait_loadcnt 0x1
	v_and_b32_e32 v1, 1, v1
	s_wait_loadcnt 0x0
	v_and_b32_e32 v8, 1, v11
	s_delay_alu instid0(VALU_DEP_2) | instskip(NEXT) | instid1(VALU_DEP_2)
	v_cmp_eq_u32_e64 s2, 1, v1
	v_cmp_eq_u32_e64 s3, 1, v8
                                        ; implicit-def: $vgpr1
	s_and_b32 s3, s2, s3
	s_delay_alu instid0(SALU_CYCLE_1) | instskip(NEXT) | instid1(SALU_CYCLE_1)
	s_xor_b32 s3, s3, -1
	s_and_saveexec_b32 s5, s3
	s_delay_alu instid0(SALU_CYCLE_1)
	s_xor_b32 s3, exec_lo, s5
; %bb.158:
	v_and_b32_e32 v1, 0xff, v11
	v_dual_cndmask_b32 v3, v7, v3, s2 :: v_dual_cndmask_b32 v2, v6, v2, s2
                                        ; implicit-def: $vgpr6_vgpr7
	s_delay_alu instid0(VALU_DEP_2)
	v_cndmask_b32_e64 v1, v1, 1, s2
; %bb.159:
	s_and_not1_saveexec_b32 s2, s3
	s_cbranch_execz .LBB28_161
; %bb.160:
	s_delay_alu instid0(VALU_DEP_2)
	v_min_i64 v[2:3], v[6:7], v[2:3]
	v_mov_b32_e32 v1, 1
.LBB28_161:
	s_or_b32 exec_lo, exec_lo, s2
	s_delay_alu instid0(SALU_CYCLE_1)
	s_or_b32 exec_lo, exec_lo, s4
	s_and_saveexec_b32 s3, vcc_lo
	s_cbranch_execz .LBB28_167
.LBB28_162:
	s_wait_loadcnt 0x1
	v_and_b32_e32 v1, 1, v1
	s_wait_loadcnt 0x0
	v_and_b32_e32 v6, 1, v10
	s_delay_alu instid0(VALU_DEP_2) | instskip(NEXT) | instid1(VALU_DEP_2)
	v_cmp_eq_u32_e32 vcc_lo, 1, v1
	v_cmp_eq_u32_e64 s2, 1, v6
                                        ; implicit-def: $vgpr1
	s_and_b32 s2, vcc_lo, s2
	s_delay_alu instid0(SALU_CYCLE_1) | instskip(NEXT) | instid1(SALU_CYCLE_1)
	s_xor_b32 s2, s2, -1
	s_and_saveexec_b32 s4, s2
	s_delay_alu instid0(SALU_CYCLE_1)
	s_xor_b32 s2, exec_lo, s4
; %bb.163:
	v_and_b32_e32 v1, 0xff, v10
	v_dual_cndmask_b32 v3, v5, v3 :: v_dual_cndmask_b32 v2, v4, v2
                                        ; implicit-def: $vgpr4_vgpr5
	s_delay_alu instid0(VALU_DEP_2)
	v_cndmask_b32_e64 v1, v1, 1, vcc_lo
; %bb.164:
	s_and_not1_saveexec_b32 s2, s2
	s_cbranch_execz .LBB28_166
; %bb.165:
	s_delay_alu instid0(VALU_DEP_2)
	v_min_i64 v[2:3], v[4:5], v[2:3]
	v_mov_b32_e32 v1, 1
.LBB28_166:
	s_or_b32 exec_lo, exec_lo, s2
.LBB28_167:
	s_delay_alu instid0(SALU_CYCLE_1)
	s_or_b32 exec_lo, exec_lo, s3
	s_wait_loadcnt 0x0
	v_mbcnt_lo_u32_b32 v6, -1, 0
	v_and_b32_e32 v7, 0x60, v0
	s_min_u32 s3, s6, 0x80
	s_mov_b32 s2, exec_lo
	s_delay_alu instid0(VALU_DEP_2) | instskip(NEXT) | instid1(VALU_DEP_2)
	v_cmp_ne_u32_e32 vcc_lo, 31, v6
	v_sub_nc_u32_e64 v7, s3, v7 clamp
	v_add_nc_u32_e32 v9, 1, v6
	v_add_co_ci_u32_e64 v4, null, 0, v6, vcc_lo
	s_delay_alu instid0(VALU_DEP_1)
	v_lshlrev_b32_e32 v5, 2, v4
	ds_bpermute_b32 v8, v5, v1
	ds_bpermute_b32 v4, v5, v2
	;; [unrolled: 1-line block ×3, first 2 shown]
	v_cmpx_lt_u32_e64 v9, v7
	s_xor_b32 s4, exec_lo, s2
	s_cbranch_execz .LBB28_169
; %bb.168:
	s_wait_dscnt 0x0
	v_min_i64 v[10:11], v[4:5], v[2:3]
	v_and_b32_e32 v9, 1, v1
	s_delay_alu instid0(VALU_DEP_1) | instskip(SKIP_3) | instid1(VALU_DEP_3)
	v_cmp_eq_u32_e32 vcc_lo, 1, v9
	v_and_b32_e32 v1, v8, v1
	v_and_b32_e32 v8, 0xff, v8
	v_dual_cndmask_b32 v2, v4, v2 :: v_dual_cndmask_b32 v3, v5, v3
	v_cmp_eq_u32_e64 s2, 0, v1
	s_delay_alu instid0(VALU_DEP_3) | instskip(NEXT) | instid1(VALU_DEP_1)
	v_cndmask_b32_e64 v1, v8, 1, vcc_lo
	v_dual_cndmask_b32 v1, 1, v1, s2 :: v_dual_cndmask_b32 v3, v11, v3, s2
	s_delay_alu instid0(VALU_DEP_4)
	v_cndmask_b32_e64 v2, v10, v2, s2
.LBB28_169:
	s_or_b32 exec_lo, exec_lo, s4
	v_cmp_gt_u32_e32 vcc_lo, 30, v6
	v_add_nc_u32_e32 v9, 2, v6
	s_mov_b32 s4, exec_lo
	s_wait_dscnt 0x1
	v_cndmask_b32_e64 v4, 0, 2, vcc_lo
	s_wait_dscnt 0x0
	s_delay_alu instid0(VALU_DEP_1)
	v_add_lshl_u32 v5, v4, v6, 2
	ds_bpermute_b32 v8, v5, v1
	ds_bpermute_b32 v4, v5, v2
	ds_bpermute_b32 v5, v5, v3
	v_cmpx_lt_u32_e64 v9, v7
	s_cbranch_execz .LBB28_171
; %bb.170:
	s_wait_dscnt 0x0
	v_min_i64 v[10:11], v[4:5], v[2:3]
	v_and_b32_e32 v9, 1, v1
	v_bitop3_b32 v1, v1, 1, v8 bitop3:0x80
	v_and_b32_e32 v8, 0xff, v8
	s_delay_alu instid0(VALU_DEP_3) | instskip(NEXT) | instid1(VALU_DEP_3)
	v_cmp_eq_u32_e32 vcc_lo, 1, v9
	v_cmp_eq_u32_e64 s2, 0, v1
	v_dual_cndmask_b32 v2, v4, v2 :: v_dual_cndmask_b32 v3, v5, v3
	s_delay_alu instid0(VALU_DEP_4) | instskip(NEXT) | instid1(VALU_DEP_1)
	v_cndmask_b32_e64 v1, v8, 1, vcc_lo
	v_dual_cndmask_b32 v1, 1, v1, s2 :: v_dual_cndmask_b32 v2, v10, v2, s2
	s_delay_alu instid0(VALU_DEP_3)
	v_cndmask_b32_e64 v3, v11, v3, s2
.LBB28_171:
	s_or_b32 exec_lo, exec_lo, s4
	v_cmp_gt_u32_e32 vcc_lo, 28, v6
	v_add_nc_u32_e32 v9, 4, v6
	s_mov_b32 s4, exec_lo
	s_wait_dscnt 0x1
	v_cndmask_b32_e64 v4, 0, 4, vcc_lo
	s_wait_dscnt 0x0
	s_delay_alu instid0(VALU_DEP_1)
	v_add_lshl_u32 v5, v4, v6, 2
	ds_bpermute_b32 v8, v5, v1
	ds_bpermute_b32 v4, v5, v2
	ds_bpermute_b32 v5, v5, v3
	v_cmpx_lt_u32_e64 v9, v7
	s_cbranch_execz .LBB28_173
; %bb.172:
	s_wait_dscnt 0x0
	v_min_i64 v[10:11], v[4:5], v[2:3]
	v_and_b32_e32 v9, 1, v1
	v_bitop3_b32 v1, v1, 1, v8 bitop3:0x80
	v_and_b32_e32 v8, 0xff, v8
	s_delay_alu instid0(VALU_DEP_3) | instskip(NEXT) | instid1(VALU_DEP_3)
	v_cmp_eq_u32_e32 vcc_lo, 1, v9
	v_cmp_eq_u32_e64 s2, 0, v1
	v_dual_cndmask_b32 v2, v4, v2 :: v_dual_cndmask_b32 v3, v5, v3
	s_delay_alu instid0(VALU_DEP_4) | instskip(NEXT) | instid1(VALU_DEP_1)
	v_cndmask_b32_e64 v1, v8, 1, vcc_lo
	v_dual_cndmask_b32 v1, 1, v1, s2 :: v_dual_cndmask_b32 v2, v10, v2, s2
	s_delay_alu instid0(VALU_DEP_3)
	v_cndmask_b32_e64 v3, v11, v3, s2
.LBB28_173:
	;; [unrolled: 30-line block ×3, first 2 shown]
	s_or_b32 exec_lo, exec_lo, s4
	s_wait_dscnt 0x2
	v_dual_lshlrev_b32 v8, 2, v6 :: v_dual_add_nc_u32 v10, 16, v6
	s_wait_dscnt 0x0
	s_delay_alu instid0(VALU_DEP_1) | instskip(NEXT) | instid1(VALU_DEP_2)
	v_or_b32_e32 v5, 64, v8
	v_cmp_lt_u32_e32 vcc_lo, v10, v7
	v_mov_b32_e32 v7, v1
	ds_bpermute_b32 v9, v5, v1
	ds_bpermute_b32 v4, v5, v2
	;; [unrolled: 1-line block ×3, first 2 shown]
	s_and_saveexec_b32 s4, vcc_lo
	s_cbranch_execz .LBB28_177
; %bb.176:
	s_wait_dscnt 0x0
	v_min_i64 v[10:11], v[4:5], v[2:3]
	v_and_b32_e32 v7, 1, v1
	v_bitop3_b32 v1, v1, 1, v9 bitop3:0x80
	s_delay_alu instid0(VALU_DEP_2) | instskip(NEXT) | instid1(VALU_DEP_2)
	v_cmp_eq_u32_e32 vcc_lo, 1, v7
	v_cmp_eq_u32_e64 s2, 0, v1
	v_cndmask_b32_e64 v7, v9, 1, vcc_lo
	v_dual_cndmask_b32 v1, v5, v3 :: v_dual_cndmask_b32 v2, v4, v2
	s_delay_alu instid0(VALU_DEP_1) | instskip(NEXT) | instid1(VALU_DEP_2)
	v_dual_cndmask_b32 v7, 1, v7, s2 :: v_dual_cndmask_b32 v3, v11, v1, s2
	v_cndmask_b32_e64 v2, v10, v2, s2
	s_delay_alu instid0(VALU_DEP_2)
	v_and_b32_e32 v1, 0xff, v7
.LBB28_177:
	s_or_b32 exec_lo, exec_lo, s4
	s_delay_alu instid0(SALU_CYCLE_1)
	s_mov_b32 s2, exec_lo
	v_cmpx_eq_u32_e32 0, v6
	s_cbranch_execz .LBB28_179
; %bb.178:
	s_wait_dscnt 0x1
	v_lshrrev_b32_e32 v4, 1, v0
	s_delay_alu instid0(VALU_DEP_1)
	v_and_b32_e32 v4, 48, v4
	ds_store_b8 v4, v7 offset:256
	ds_store_b64 v4, v[2:3] offset:264
.LBB28_179:
	s_or_b32 exec_lo, exec_lo, s2
	s_delay_alu instid0(SALU_CYCLE_1)
	s_mov_b32 s4, exec_lo
	s_wait_dscnt 0x0
	s_barrier_signal -1
	s_barrier_wait -1
	v_cmpx_gt_u32_e32 4, v0
	s_cbranch_execz .LBB28_185
; %bb.180:
	v_dual_lshlrev_b32 v1, 4, v6 :: v_dual_bitop2_b32 v7, 3, v6 bitop3:0x40
	s_add_co_i32 s3, s3, 31
	s_mov_b32 s5, exec_lo
	s_lshr_b32 s3, s3, 5
	ds_load_u8 v9, v1 offset:256
	ds_load_b64 v[2:3], v1 offset:264
	v_cmp_ne_u32_e32 vcc_lo, 3, v7
	v_add_nc_u32_e32 v10, 1, v7
	v_add_co_ci_u32_e64 v1, null, 0, v6, vcc_lo
	s_delay_alu instid0(VALU_DEP_1)
	v_lshlrev_b32_e32 v5, 2, v1
	s_wait_dscnt 0x1
	v_and_b32_e32 v1, 0xff, v9
	s_wait_dscnt 0x0
	ds_bpermute_b32 v4, v5, v2
	ds_bpermute_b32 v6, v5, v1
	;; [unrolled: 1-line block ×3, first 2 shown]
	v_cmpx_gt_u32_e64 s3, v10
	s_cbranch_execz .LBB28_182
; %bb.181:
	s_wait_dscnt 0x0
	v_min_i64 v[10:11], v[4:5], v[2:3]
	v_and_b32_e32 v9, 1, v9
	v_bitop3_b32 v1, v1, 1, v6 bitop3:0x80
	v_and_b32_e32 v6, 0xff, v6
	s_delay_alu instid0(VALU_DEP_3) | instskip(NEXT) | instid1(VALU_DEP_3)
	v_cmp_eq_u32_e32 vcc_lo, 1, v9
	v_cmp_eq_u32_e64 s2, 0, v1
	v_dual_cndmask_b32 v2, v4, v2 :: v_dual_cndmask_b32 v3, v5, v3
	s_delay_alu instid0(VALU_DEP_4) | instskip(NEXT) | instid1(VALU_DEP_1)
	v_cndmask_b32_e64 v1, v6, 1, vcc_lo
	v_dual_cndmask_b32 v1, 1, v1, s2 :: v_dual_cndmask_b32 v2, v10, v2, s2
	s_delay_alu instid0(VALU_DEP_3)
	v_cndmask_b32_e64 v3, v11, v3, s2
.LBB28_182:
	s_or_b32 exec_lo, exec_lo, s5
	s_wait_dscnt 0x0
	v_dual_add_nc_u32 v7, 2, v7 :: v_dual_bitop2_b32 v5, 8, v8 bitop3:0x54
	ds_bpermute_b32 v6, v5, v1
	ds_bpermute_b32 v4, v5, v2
	;; [unrolled: 1-line block ×3, first 2 shown]
	v_cmp_gt_u32_e32 vcc_lo, s3, v7
	s_and_saveexec_b32 s3, vcc_lo
	s_cbranch_execz .LBB28_184
; %bb.183:
	s_wait_dscnt 0x0
	v_min_i64 v[8:9], v[4:5], v[2:3]
	v_and_b32_e32 v7, 1, v1
	v_bitop3_b32 v1, v1, 1, v6 bitop3:0x80
	s_delay_alu instid0(VALU_DEP_2) | instskip(NEXT) | instid1(VALU_DEP_2)
	v_cmp_eq_u32_e32 vcc_lo, 1, v7
	v_cmp_eq_u32_e64 s2, 0, v1
	v_dual_cndmask_b32 v2, v4, v2 :: v_dual_cndmask_b32 v3, v5, v3
	v_cndmask_b32_e64 v1, v6, 1, vcc_lo
	s_delay_alu instid0(VALU_DEP_1) | instskip(NEXT) | instid1(VALU_DEP_3)
	v_dual_cndmask_b32 v1, 1, v1, s2 :: v_dual_cndmask_b32 v2, v8, v2, s2
	v_cndmask_b32_e64 v3, v9, v3, s2
.LBB28_184:
	s_or_b32 exec_lo, exec_lo, s3
.LBB28_185:
	s_delay_alu instid0(SALU_CYCLE_1)
	s_or_b32 exec_lo, exec_lo, s4
.LBB28_186:
	v_cmp_eq_u32_e64 s2, 0, v0
	s_branch .LBB28_239
.LBB28_187:
	s_cmp_gt_i32 s16, 1
	s_cbranch_scc0 .LBB28_199
; %bb.188:
	s_cmp_eq_u32 s16, 2
	s_cbranch_scc0 .LBB28_200
; %bb.189:
	s_bfe_u32 s2, ttmp6, 0x4000c
	s_and_b32 s3, ttmp6, 15
	s_add_co_i32 s2, s2, 1
	s_getreg_b32 s4, hwreg(HW_REG_IB_STS2, 6, 4)
	s_mul_i32 s2, ttmp9, s2
	s_mov_b32 s11, 0
	s_add_co_i32 s3, s3, s2
	s_cmp_eq_u32 s4, 0
	s_mov_b32 s7, s11
	s_cselect_b32 s10, ttmp9, s3
	s_lshr_b64 s[2:3], s[14:15], 8
	s_lshl_b32 s6, s10, 8
	s_delay_alu instid0(SALU_CYCLE_1)
	s_lshl_b64 s[4:5], s[6:7], 4
	s_cmp_lg_u64 s[2:3], s[10:11]
	s_add_nc_u64 s[4:5], s[12:13], s[4:5]
	s_cbranch_scc0 .LBB28_201
; %bb.190:
	v_lshlrev_b32_e32 v1, 4, v0
	global_load_b64 v[2:3], v1, s[4:5] offset:8
	s_wait_dscnt 0x0
	s_clause 0x2
	global_load_b64 v[4:5], v1, s[4:5] offset:2056
	global_load_u8 v8, v1, s[4:5] offset:2048
	global_load_u8 v9, v1, s[4:5]
	s_wait_loadcnt 0x2
	v_min_i64 v[6:7], v[4:5], v[2:3]
	s_wait_loadcnt 0x1
	s_wait_xcnt 0x0
	v_and_b32_e32 v1, 1, v8
	s_wait_loadcnt 0x0
	v_and_b32_e32 v9, 1, v9
	s_delay_alu instid0(VALU_DEP_2) | instskip(NEXT) | instid1(VALU_DEP_2)
	v_cmp_eq_u32_e32 vcc_lo, 1, v1
	v_cmp_eq_u32_e64 s2, 1, v9
	s_delay_alu instid0(VALU_DEP_1) | instskip(SKIP_1) | instid1(VALU_DEP_1)
	v_cndmask_b32_e64 v8, v8, 1, s2
	v_dual_cndmask_b32 v3, v3, v7, vcc_lo :: v_dual_cndmask_b32 v1, v2, v6, vcc_lo
	v_dual_cndmask_b32 v3, v5, v3, s2 :: v_dual_cndmask_b32 v2, v4, v1, s2
	s_delay_alu instid0(VALU_DEP_3) | instskip(SKIP_1) | instid1(VALU_DEP_2)
	v_and_b32_e32 v1, 1, v8
	s_mov_b32 s2, exec_lo
	v_mov_b32_dpp v5, v3 quad_perm:[1,0,3,2] row_mask:0xf bank_mask:0xf
	s_delay_alu instid0(VALU_DEP_3) | instskip(NEXT) | instid1(VALU_DEP_3)
	v_mov_b32_dpp v4, v2 quad_perm:[1,0,3,2] row_mask:0xf bank_mask:0xf
	v_mov_b32_dpp v8, v1 quad_perm:[1,0,3,2] row_mask:0xf bank_mask:0xf
	v_cmp_eq_u32_e32 vcc_lo, 1, v1
	s_delay_alu instid0(VALU_DEP_3) | instskip(NEXT) | instid1(VALU_DEP_1)
	v_min_i64 v[6:7], v[2:3], v[4:5]
	v_dual_cndmask_b32 v4, v4, v6, vcc_lo :: v_dual_bitop2_b32 v8, 1, v8 bitop3:0x40
	s_delay_alu instid0(VALU_DEP_2) | instskip(NEXT) | instid1(VALU_DEP_2)
	v_cndmask_b32_e32 v5, v5, v7, vcc_lo
	v_cmp_eq_u32_e32 vcc_lo, 1, v8
	s_delay_alu instid0(VALU_DEP_3) | instskip(SKIP_1) | instid1(VALU_DEP_2)
	v_cndmask_b32_e32 v2, v2, v4, vcc_lo
	v_cndmask_b32_e64 v1, v1, 1, vcc_lo
	v_mov_b32_dpp v4, v2 quad_perm:[2,3,0,1] row_mask:0xf bank_mask:0xf
	v_cndmask_b32_e32 v3, v3, v5, vcc_lo
	s_delay_alu instid0(VALU_DEP_3) | instskip(NEXT) | instid1(VALU_DEP_2)
	v_mov_b32_dpp v9, v1 quad_perm:[2,3,0,1] row_mask:0xf bank_mask:0xf
	v_mov_b32_dpp v5, v3 quad_perm:[2,3,0,1] row_mask:0xf bank_mask:0xf
	s_delay_alu instid0(VALU_DEP_1) | instskip(SKIP_1) | instid1(VALU_DEP_1)
	v_min_i64 v[6:7], v[2:3], v[4:5]
	v_and_b32_e32 v8, 1, v1
	v_cmp_eq_u32_e32 vcc_lo, 1, v8
	s_delay_alu instid0(VALU_DEP_3) | instskip(NEXT) | instid1(VALU_DEP_4)
	v_dual_cndmask_b32 v4, v4, v6, vcc_lo :: v_dual_bitop2_b32 v8, 1, v9 bitop3:0x40
	v_cndmask_b32_e32 v5, v5, v7, vcc_lo
	s_delay_alu instid0(VALU_DEP_2) | instskip(NEXT) | instid1(VALU_DEP_3)
	v_cmp_eq_u32_e32 vcc_lo, 1, v8
	v_cndmask_b32_e32 v2, v2, v4, vcc_lo
	v_cndmask_b32_e64 v1, v1, 1, vcc_lo
	s_delay_alu instid0(VALU_DEP_2) | instskip(SKIP_1) | instid1(VALU_DEP_3)
	v_mov_b32_dpp v4, v2 row_ror:4 row_mask:0xf bank_mask:0xf
	v_cndmask_b32_e32 v3, v3, v5, vcc_lo
	v_mov_b32_dpp v9, v1 row_ror:4 row_mask:0xf bank_mask:0xf
	s_delay_alu instid0(VALU_DEP_2) | instskip(NEXT) | instid1(VALU_DEP_1)
	v_mov_b32_dpp v5, v3 row_ror:4 row_mask:0xf bank_mask:0xf
	v_min_i64 v[6:7], v[2:3], v[4:5]
	v_and_b32_e32 v8, 1, v1
	s_delay_alu instid0(VALU_DEP_1) | instskip(NEXT) | instid1(VALU_DEP_3)
	v_cmp_eq_u32_e32 vcc_lo, 1, v8
	v_dual_cndmask_b32 v4, v4, v6, vcc_lo :: v_dual_bitop2_b32 v8, 1, v9 bitop3:0x40
	s_delay_alu instid0(VALU_DEP_4) | instskip(NEXT) | instid1(VALU_DEP_2)
	v_cndmask_b32_e32 v5, v5, v7, vcc_lo
	v_cmp_eq_u32_e32 vcc_lo, 1, v8
	s_delay_alu instid0(VALU_DEP_3) | instskip(SKIP_1) | instid1(VALU_DEP_2)
	v_cndmask_b32_e32 v2, v2, v4, vcc_lo
	v_cndmask_b32_e64 v1, v1, 1, vcc_lo
	v_mov_b32_dpp v4, v2 row_ror:8 row_mask:0xf bank_mask:0xf
	v_cndmask_b32_e32 v3, v3, v5, vcc_lo
	s_delay_alu instid0(VALU_DEP_3) | instskip(NEXT) | instid1(VALU_DEP_2)
	v_mov_b32_dpp v9, v1 row_ror:8 row_mask:0xf bank_mask:0xf
	v_mov_b32_dpp v5, v3 row_ror:8 row_mask:0xf bank_mask:0xf
	s_delay_alu instid0(VALU_DEP_1) | instskip(SKIP_1) | instid1(VALU_DEP_1)
	v_min_i64 v[6:7], v[2:3], v[4:5]
	v_and_b32_e32 v8, 1, v1
	v_cmp_eq_u32_e32 vcc_lo, 1, v8
	s_delay_alu instid0(VALU_DEP_3) | instskip(NEXT) | instid1(VALU_DEP_4)
	v_dual_cndmask_b32 v4, v4, v6, vcc_lo :: v_dual_bitop2_b32 v8, 1, v9 bitop3:0x40
	v_cndmask_b32_e32 v5, v5, v7, vcc_lo
	s_delay_alu instid0(VALU_DEP_2) | instskip(SKIP_1) | instid1(VALU_DEP_4)
	v_cmp_eq_u32_e32 vcc_lo, 1, v8
	v_cndmask_b32_e64 v1, v1, 1, vcc_lo
	v_cndmask_b32_e32 v2, v2, v4, vcc_lo
	ds_swizzle_b32 v8, v1 offset:swizzle(BROADCAST,32,15)
	v_cndmask_b32_e32 v3, v3, v5, vcc_lo
	ds_swizzle_b32 v4, v2 offset:swizzle(BROADCAST,32,15)
	s_wait_dscnt 0x1
	v_and_b32_e32 v8, 1, v8
	ds_swizzle_b32 v5, v3 offset:swizzle(BROADCAST,32,15)
	s_wait_dscnt 0x0
	v_min_i64 v[6:7], v[2:3], v[4:5]
	v_and_b32_e32 v9, 1, v1
	s_delay_alu instid0(VALU_DEP_1) | instskip(NEXT) | instid1(VALU_DEP_3)
	v_cmp_eq_u32_e32 vcc_lo, 1, v9
	v_dual_cndmask_b32 v4, v4, v6 :: v_dual_cndmask_b32 v5, v5, v7
	v_mov_b32_e32 v6, 0
	v_cmp_eq_u32_e32 vcc_lo, 1, v8
	v_mbcnt_lo_u32_b32 v8, -1, 0
	s_delay_alu instid0(VALU_DEP_4)
	v_dual_cndmask_b32 v3, v3, v5 :: v_dual_cndmask_b32 v2, v2, v4
	v_cndmask_b32_e64 v1, v1, 1, vcc_lo
	ds_bpermute_b32 v3, v6, v3 offset:124
	ds_bpermute_b32 v2, v6, v2 offset:124
	ds_bpermute_b32 v1, v6, v1 offset:124
	v_cmpx_eq_u32_e32 0, v8
	s_cbranch_execz .LBB28_192
; %bb.191:
	v_lshrrev_b32_e32 v4, 1, v0
	s_delay_alu instid0(VALU_DEP_1)
	v_and_b32_e32 v4, 48, v4
	s_wait_dscnt 0x0
	ds_store_b8 v4, v1 offset:64
	ds_store_b64 v4, v[2:3] offset:72
.LBB28_192:
	s_or_b32 exec_lo, exec_lo, s2
	s_delay_alu instid0(SALU_CYCLE_1)
	s_mov_b32 s2, exec_lo
	s_wait_dscnt 0x0
	s_barrier_signal -1
	s_barrier_wait -1
	v_cmpx_gt_u32_e32 32, v0
	s_cbranch_execz .LBB28_198
; %bb.193:
	v_and_b32_e32 v2, 3, v8
	s_delay_alu instid0(VALU_DEP_1) | instskip(SKIP_2) | instid1(VALU_DEP_1)
	v_cmp_ne_u32_e32 vcc_lo, 3, v2
	v_lshlrev_b32_e32 v3, 4, v2
	v_add_co_ci_u32_e64 v2, null, 0, v8, vcc_lo
	v_lshlrev_b32_e32 v2, 2, v2
	ds_load_u8 v1, v3 offset:64
	ds_load_b64 v[4:5], v3 offset:72
	s_wait_dscnt 0x1
	v_and_b32_e32 v3, 0xff, v1
	s_wait_dscnt 0x0
	ds_bpermute_b32 v6, v2, v4
	ds_bpermute_b32 v7, v2, v5
	;; [unrolled: 1-line block ×3, first 2 shown]
	s_wait_dscnt 0x0
	v_and_b32_e32 v2, v1, v9
	s_delay_alu instid0(VALU_DEP_1) | instskip(NEXT) | instid1(VALU_DEP_1)
	v_and_b32_e32 v2, 1, v2
	v_cmp_eq_u32_e32 vcc_lo, 1, v2
                                        ; implicit-def: $vgpr2_vgpr3
	s_and_saveexec_b32 s3, vcc_lo
	s_delay_alu instid0(SALU_CYCLE_1)
	s_xor_b32 s3, exec_lo, s3
; %bb.194:
	v_min_i64 v[2:3], v[6:7], v[4:5]
                                        ; implicit-def: $vgpr1
                                        ; implicit-def: $vgpr6_vgpr7
                                        ; implicit-def: $vgpr4_vgpr5
                                        ; implicit-def: $vgpr9
; %bb.195:
	s_or_saveexec_b32 s3, s3
	v_dual_lshlrev_b32 v8, 2, v8 :: v_dual_mov_b32 v10, 1
	s_xor_b32 exec_lo, exec_lo, s3
; %bb.196:
	v_and_b32_e32 v1, 1, v1
	s_delay_alu instid0(VALU_DEP_1) | instskip(SKIP_2) | instid1(VALU_DEP_2)
	v_cmp_eq_u32_e32 vcc_lo, 1, v1
	v_and_b32_e32 v1, 0xff, v9
	v_dual_cndmask_b32 v3, v7, v5 :: v_dual_cndmask_b32 v2, v6, v4
	v_cndmask_b32_e64 v10, v1, 1, vcc_lo
; %bb.197:
	s_or_b32 exec_lo, exec_lo, s3
	v_or_b32_e32 v1, 8, v8
	ds_bpermute_b32 v4, v1, v2
	ds_bpermute_b32 v5, v1, v3
	v_and_b32_e32 v8, 1, v10
	s_delay_alu instid0(VALU_DEP_1)
	v_cmp_eq_u32_e32 vcc_lo, 1, v8
	s_wait_dscnt 0x0
	v_min_i64 v[6:7], v[4:5], v[2:3]
	v_cndmask_b32_e32 v2, v4, v2, vcc_lo
	ds_bpermute_b32 v1, v1, v10
	v_cndmask_b32_e32 v3, v5, v3, vcc_lo
	s_wait_dscnt 0x0
	v_bitop3_b32 v8, v10, 1, v1 bitop3:0x80
	v_cndmask_b32_e64 v1, v1, 1, vcc_lo
	s_delay_alu instid0(VALU_DEP_2) | instskip(NEXT) | instid1(VALU_DEP_2)
	v_cmp_eq_u32_e32 vcc_lo, 0, v8
	v_dual_cndmask_b32 v1, 1, v1, vcc_lo :: v_dual_cndmask_b32 v3, v7, v3, vcc_lo
	v_cndmask_b32_e32 v2, v6, v2, vcc_lo
.LBB28_198:
	s_or_b32 exec_lo, exec_lo, s2
	s_branch .LBB28_225
.LBB28_199:
                                        ; implicit-def: $sgpr10_sgpr11
                                        ; implicit-def: $vgpr2_vgpr3
                                        ; implicit-def: $vgpr1
	s_cbranch_execnz .LBB28_226
	s_branch .LBB28_239
.LBB28_200:
                                        ; implicit-def: $sgpr10_sgpr11
                                        ; implicit-def: $vgpr2_vgpr3
                                        ; implicit-def: $vgpr1
	s_branch .LBB28_239
.LBB28_201:
                                        ; implicit-def: $vgpr2_vgpr3
                                        ; implicit-def: $vgpr1
	s_cbranch_execz .LBB28_225
; %bb.202:
	s_wait_dscnt 0x0
	v_mov_b64_e32 v[4:5], 0
	v_mov_b64_e32 v[2:3], 0
	v_dual_mov_b32 v1, 0 :: v_dual_mov_b32 v6, 0
	s_sub_co_i32 s6, s14, s6
	s_mov_b32 s2, exec_lo
	v_cmpx_gt_u32_e64 s6, v0
	s_cbranch_execz .LBB28_204
; %bb.203:
	v_lshlrev_b32_e32 v7, 4, v0
	s_clause 0x1
	global_load_u8 v6, v7, s[4:5]
	global_load_b64 v[2:3], v7, s[4:5] offset:8
.LBB28_204:
	s_wait_xcnt 0x0
	s_or_b32 exec_lo, exec_lo, s2
	v_or_b32_e32 v7, 0x80, v0
	s_delay_alu instid0(VALU_DEP_1)
	v_cmp_gt_u32_e32 vcc_lo, s6, v7
	s_and_saveexec_b32 s2, vcc_lo
	s_cbranch_execz .LBB28_206
; %bb.205:
	v_lshlrev_b32_e32 v7, 4, v0
	s_clause 0x1
	global_load_u8 v1, v7, s[4:5] offset:2048
	global_load_b64 v[4:5], v7, s[4:5] offset:2056
.LBB28_206:
	s_wait_xcnt 0x0
	s_or_b32 exec_lo, exec_lo, s2
	s_wait_loadcnt 0x0
	v_min_i64 v[8:9], v[4:5], v[2:3]
	v_and_b32_e32 v7, 1, v1
	v_and_b32_e32 v10, 0xff, v6
	;; [unrolled: 1-line block ×3, first 2 shown]
	s_mov_b32 s4, exec_lo
	s_delay_alu instid0(VALU_DEP_3) | instskip(SKIP_2) | instid1(VALU_DEP_1)
	v_cmp_eq_u32_e64 s2, 1, v7
	v_and_b32_e32 v7, 1, v6
	v_mbcnt_lo_u32_b32 v6, -1, 0
	v_cmp_ne_u32_e64 s3, 31, v6
	s_delay_alu instid0(VALU_DEP_4) | instskip(NEXT) | instid1(VALU_DEP_4)
	v_dual_cndmask_b32 v9, v3, v9, s2 :: v_dual_cndmask_b32 v8, v2, v8, s2
	v_cmp_eq_u32_e64 s2, 1, v7
	s_delay_alu instid0(VALU_DEP_3) | instskip(SKIP_4) | instid1(VALU_DEP_3)
	v_add_co_ci_u32_e64 v7, null, 0, v6, s3
	s_min_u32 s3, s6, 0x80
	v_cndmask_b32_e64 v1, v1, 1, s2
	v_dual_cndmask_b32 v4, v4, v8, s2 :: v_dual_cndmask_b32 v5, v5, v9, s2
	v_dual_lshlrev_b32 v7, 2, v7 :: v_dual_add_nc_u32 v9, 1, v6
	v_cndmask_b32_e32 v1, v10, v1, vcc_lo
	s_delay_alu instid0(VALU_DEP_3) | instskip(SKIP_4) | instid1(VALU_DEP_1)
	v_dual_cndmask_b32 v2, v2, v4 :: v_dual_cndmask_b32 v3, v3, v5
	ds_bpermute_b32 v8, v7, v1
	ds_bpermute_b32 v4, v7, v2
	;; [unrolled: 1-line block ×3, first 2 shown]
	v_and_b32_e32 v7, 0x60, v0
	v_sub_nc_u32_e64 v7, s3, v7 clamp
	s_delay_alu instid0(VALU_DEP_1)
	v_cmpx_lt_u32_e64 v9, v7
	s_cbranch_execz .LBB28_208
; %bb.207:
	s_wait_dscnt 0x0
	v_min_i64 v[10:11], v[4:5], v[2:3]
	v_and_b32_e32 v9, 1, v1
	s_delay_alu instid0(VALU_DEP_1) | instskip(SKIP_3) | instid1(VALU_DEP_2)
	v_cmp_eq_u32_e32 vcc_lo, 1, v9
	v_dual_cndmask_b32 v2, v4, v2 :: v_dual_cndmask_b32 v3, v5, v3
	v_and_b32_e32 v1, v1, v8
	v_and_b32_e32 v8, 0xff, v8
	v_cmp_eq_u32_e64 s2, 0, v1
	s_delay_alu instid0(VALU_DEP_2) | instskip(NEXT) | instid1(VALU_DEP_1)
	v_cndmask_b32_e64 v1, v8, 1, vcc_lo
	v_dual_cndmask_b32 v1, 1, v1, s2 :: v_dual_cndmask_b32 v2, v10, v2, s2
	v_cndmask_b32_e64 v3, v11, v3, s2
.LBB28_208:
	s_or_b32 exec_lo, exec_lo, s4
	v_cmp_gt_u32_e32 vcc_lo, 30, v6
	v_add_nc_u32_e32 v9, 2, v6
	s_mov_b32 s4, exec_lo
	s_wait_dscnt 0x1
	v_cndmask_b32_e64 v4, 0, 2, vcc_lo
	s_wait_dscnt 0x0
	s_delay_alu instid0(VALU_DEP_1)
	v_add_lshl_u32 v5, v4, v6, 2
	ds_bpermute_b32 v8, v5, v1
	ds_bpermute_b32 v4, v5, v2
	ds_bpermute_b32 v5, v5, v3
	v_cmpx_lt_u32_e64 v9, v7
	s_cbranch_execz .LBB28_210
; %bb.209:
	s_wait_dscnt 0x0
	v_min_i64 v[10:11], v[4:5], v[2:3]
	v_and_b32_e32 v9, 1, v1
	v_bitop3_b32 v1, v1, 1, v8 bitop3:0x80
	v_and_b32_e32 v8, 0xff, v8
	s_delay_alu instid0(VALU_DEP_3) | instskip(NEXT) | instid1(VALU_DEP_3)
	v_cmp_eq_u32_e32 vcc_lo, 1, v9
	v_cmp_eq_u32_e64 s2, 0, v1
	v_dual_cndmask_b32 v2, v4, v2 :: v_dual_cndmask_b32 v3, v5, v3
	s_delay_alu instid0(VALU_DEP_4) | instskip(NEXT) | instid1(VALU_DEP_1)
	v_cndmask_b32_e64 v1, v8, 1, vcc_lo
	v_dual_cndmask_b32 v1, 1, v1, s2 :: v_dual_cndmask_b32 v2, v10, v2, s2
	s_delay_alu instid0(VALU_DEP_3)
	v_cndmask_b32_e64 v3, v11, v3, s2
.LBB28_210:
	s_or_b32 exec_lo, exec_lo, s4
	v_cmp_gt_u32_e32 vcc_lo, 28, v6
	v_add_nc_u32_e32 v9, 4, v6
	s_mov_b32 s4, exec_lo
	s_wait_dscnt 0x1
	v_cndmask_b32_e64 v4, 0, 4, vcc_lo
	s_wait_dscnt 0x0
	s_delay_alu instid0(VALU_DEP_1)
	v_add_lshl_u32 v5, v4, v6, 2
	ds_bpermute_b32 v8, v5, v1
	ds_bpermute_b32 v4, v5, v2
	ds_bpermute_b32 v5, v5, v3
	v_cmpx_lt_u32_e64 v9, v7
	s_cbranch_execz .LBB28_212
; %bb.211:
	s_wait_dscnt 0x0
	v_min_i64 v[10:11], v[4:5], v[2:3]
	v_and_b32_e32 v9, 1, v1
	v_bitop3_b32 v1, v1, 1, v8 bitop3:0x80
	v_and_b32_e32 v8, 0xff, v8
	s_delay_alu instid0(VALU_DEP_3) | instskip(NEXT) | instid1(VALU_DEP_3)
	v_cmp_eq_u32_e32 vcc_lo, 1, v9
	v_cmp_eq_u32_e64 s2, 0, v1
	v_dual_cndmask_b32 v2, v4, v2 :: v_dual_cndmask_b32 v3, v5, v3
	s_delay_alu instid0(VALU_DEP_4) | instskip(NEXT) | instid1(VALU_DEP_1)
	v_cndmask_b32_e64 v1, v8, 1, vcc_lo
	v_dual_cndmask_b32 v1, 1, v1, s2 :: v_dual_cndmask_b32 v2, v10, v2, s2
	s_delay_alu instid0(VALU_DEP_3)
	v_cndmask_b32_e64 v3, v11, v3, s2
.LBB28_212:
	;; [unrolled: 30-line block ×3, first 2 shown]
	s_or_b32 exec_lo, exec_lo, s4
	s_wait_dscnt 0x2
	v_dual_lshlrev_b32 v8, 2, v6 :: v_dual_add_nc_u32 v10, 16, v6
	s_wait_dscnt 0x0
	s_delay_alu instid0(VALU_DEP_1) | instskip(NEXT) | instid1(VALU_DEP_2)
	v_or_b32_e32 v5, 64, v8
	v_cmp_lt_u32_e32 vcc_lo, v10, v7
	v_mov_b32_e32 v7, v1
	ds_bpermute_b32 v9, v5, v1
	ds_bpermute_b32 v4, v5, v2
	;; [unrolled: 1-line block ×3, first 2 shown]
	s_and_saveexec_b32 s4, vcc_lo
	s_cbranch_execz .LBB28_216
; %bb.215:
	s_wait_dscnt 0x0
	v_min_i64 v[10:11], v[4:5], v[2:3]
	v_and_b32_e32 v7, 1, v1
	v_bitop3_b32 v1, v1, 1, v9 bitop3:0x80
	s_delay_alu instid0(VALU_DEP_2) | instskip(NEXT) | instid1(VALU_DEP_2)
	v_cmp_eq_u32_e32 vcc_lo, 1, v7
	v_cmp_eq_u32_e64 s2, 0, v1
	v_cndmask_b32_e64 v7, v9, 1, vcc_lo
	v_dual_cndmask_b32 v1, v5, v3 :: v_dual_cndmask_b32 v2, v4, v2
	s_delay_alu instid0(VALU_DEP_1) | instskip(NEXT) | instid1(VALU_DEP_2)
	v_dual_cndmask_b32 v7, 1, v7, s2 :: v_dual_cndmask_b32 v3, v11, v1, s2
	v_cndmask_b32_e64 v2, v10, v2, s2
	s_delay_alu instid0(VALU_DEP_2)
	v_and_b32_e32 v1, 0xff, v7
.LBB28_216:
	s_or_b32 exec_lo, exec_lo, s4
	s_delay_alu instid0(SALU_CYCLE_1)
	s_mov_b32 s2, exec_lo
	v_cmpx_eq_u32_e32 0, v6
	s_cbranch_execz .LBB28_218
; %bb.217:
	s_wait_dscnt 0x1
	v_lshrrev_b32_e32 v4, 1, v0
	s_delay_alu instid0(VALU_DEP_1)
	v_and_b32_e32 v4, 48, v4
	ds_store_b8 v4, v7 offset:256
	ds_store_b64 v4, v[2:3] offset:264
.LBB28_218:
	s_or_b32 exec_lo, exec_lo, s2
	s_delay_alu instid0(SALU_CYCLE_1)
	s_mov_b32 s4, exec_lo
	s_wait_dscnt 0x0
	s_barrier_signal -1
	s_barrier_wait -1
	v_cmpx_gt_u32_e32 4, v0
	s_cbranch_execz .LBB28_224
; %bb.219:
	v_dual_lshlrev_b32 v1, 4, v6 :: v_dual_bitop2_b32 v7, 3, v6 bitop3:0x40
	s_add_co_i32 s3, s3, 31
	s_mov_b32 s5, exec_lo
	s_lshr_b32 s3, s3, 5
	ds_load_u8 v9, v1 offset:256
	ds_load_b64 v[2:3], v1 offset:264
	v_cmp_ne_u32_e32 vcc_lo, 3, v7
	v_add_nc_u32_e32 v10, 1, v7
	v_add_co_ci_u32_e64 v1, null, 0, v6, vcc_lo
	s_delay_alu instid0(VALU_DEP_1)
	v_lshlrev_b32_e32 v5, 2, v1
	s_wait_dscnt 0x1
	v_and_b32_e32 v1, 0xff, v9
	s_wait_dscnt 0x0
	ds_bpermute_b32 v4, v5, v2
	ds_bpermute_b32 v6, v5, v1
	ds_bpermute_b32 v5, v5, v3
	v_cmpx_gt_u32_e64 s3, v10
	s_cbranch_execz .LBB28_221
; %bb.220:
	s_wait_dscnt 0x0
	v_min_i64 v[10:11], v[4:5], v[2:3]
	v_and_b32_e32 v9, 1, v9
	v_bitop3_b32 v1, v1, 1, v6 bitop3:0x80
	v_and_b32_e32 v6, 0xff, v6
	s_delay_alu instid0(VALU_DEP_3) | instskip(NEXT) | instid1(VALU_DEP_3)
	v_cmp_eq_u32_e32 vcc_lo, 1, v9
	v_cmp_eq_u32_e64 s2, 0, v1
	v_dual_cndmask_b32 v2, v4, v2 :: v_dual_cndmask_b32 v3, v5, v3
	s_delay_alu instid0(VALU_DEP_4) | instskip(NEXT) | instid1(VALU_DEP_1)
	v_cndmask_b32_e64 v1, v6, 1, vcc_lo
	v_dual_cndmask_b32 v1, 1, v1, s2 :: v_dual_cndmask_b32 v2, v10, v2, s2
	s_delay_alu instid0(VALU_DEP_3)
	v_cndmask_b32_e64 v3, v11, v3, s2
.LBB28_221:
	s_or_b32 exec_lo, exec_lo, s5
	s_wait_dscnt 0x0
	v_dual_add_nc_u32 v7, 2, v7 :: v_dual_bitop2_b32 v5, 8, v8 bitop3:0x54
	ds_bpermute_b32 v6, v5, v1
	ds_bpermute_b32 v4, v5, v2
	ds_bpermute_b32 v5, v5, v3
	v_cmp_gt_u32_e32 vcc_lo, s3, v7
	s_and_saveexec_b32 s3, vcc_lo
	s_cbranch_execz .LBB28_223
; %bb.222:
	s_wait_dscnt 0x0
	v_min_i64 v[8:9], v[4:5], v[2:3]
	v_and_b32_e32 v7, 1, v1
	v_bitop3_b32 v1, v1, 1, v6 bitop3:0x80
	s_delay_alu instid0(VALU_DEP_2) | instskip(NEXT) | instid1(VALU_DEP_2)
	v_cmp_eq_u32_e32 vcc_lo, 1, v7
	v_cmp_eq_u32_e64 s2, 0, v1
	v_dual_cndmask_b32 v2, v4, v2 :: v_dual_cndmask_b32 v3, v5, v3
	v_cndmask_b32_e64 v1, v6, 1, vcc_lo
	s_delay_alu instid0(VALU_DEP_1) | instskip(NEXT) | instid1(VALU_DEP_3)
	v_dual_cndmask_b32 v1, 1, v1, s2 :: v_dual_cndmask_b32 v2, v8, v2, s2
	v_cndmask_b32_e64 v3, v9, v3, s2
.LBB28_223:
	s_or_b32 exec_lo, exec_lo, s3
.LBB28_224:
	s_delay_alu instid0(SALU_CYCLE_1)
	s_or_b32 exec_lo, exec_lo, s4
.LBB28_225:
	v_cmp_eq_u32_e64 s2, 0, v0
	s_branch .LBB28_239
.LBB28_226:
	s_cmp_eq_u32 s16, 1
	s_cbranch_scc0 .LBB28_238
; %bb.227:
	s_bfe_u32 s2, ttmp6, 0x4000c
	s_and_b32 s4, ttmp6, 15
	s_add_co_i32 s2, s2, 1
	s_getreg_b32 s5, hwreg(HW_REG_IB_STS2, 6, 4)
	s_mul_i32 s2, ttmp9, s2
	s_mov_b32 s3, 0
	s_add_co_i32 s4, s4, s2
	s_cmp_eq_u32 s5, 0
	v_mbcnt_lo_u32_b32 v8, -1, 0
	s_cselect_b32 s10, ttmp9, s4
	s_mov_b32 s11, s3
	s_lshr_b64 s[4:5], s[14:15], 7
	s_lshl_b32 s2, s10, 7
	s_cmp_lg_u64 s[4:5], s[10:11]
	s_cbranch_scc0 .LBB28_242
; %bb.228:
	v_lshlrev_b32_e32 v1, 4, v0
	s_lshl_b64 s[4:5], s[2:3], 4
	s_delay_alu instid0(SALU_CYCLE_1)
	s_add_nc_u64 s[4:5], s[12:13], s[4:5]
	s_clause 0x1
	global_load_b64 v[2:3], v1, s[4:5] offset:8
	global_load_u8 v9, v1, s[4:5]
	s_wait_xcnt 0x0
	s_mov_b32 s4, exec_lo
	s_wait_loadcnt_dscnt 0x101
	v_mov_b32_dpp v4, v2 quad_perm:[1,0,3,2] row_mask:0xf bank_mask:0xf
	s_wait_dscnt 0x0
	v_mov_b32_dpp v5, v3 quad_perm:[1,0,3,2] row_mask:0xf bank_mask:0xf
	s_delay_alu instid0(VALU_DEP_1) | instskip(SKIP_2) | instid1(VALU_DEP_1)
	v_min_i64 v[6:7], v[2:3], v[4:5]
	s_wait_loadcnt 0x0
	v_and_b32_e32 v1, 1, v9
	v_cmp_eq_u32_e32 vcc_lo, 1, v1
	s_delay_alu instid0(VALU_DEP_3) | instskip(SKIP_1) | instid1(VALU_DEP_1)
	v_cndmask_b32_e32 v4, v4, v6, vcc_lo
	v_mov_b32_dpp v9, v1 quad_perm:[1,0,3,2] row_mask:0xf bank_mask:0xf
	v_dual_cndmask_b32 v5, v5, v7, vcc_lo :: v_dual_bitop2_b32 v9, 1, v9 bitop3:0x40
	s_delay_alu instid0(VALU_DEP_1) | instskip(NEXT) | instid1(VALU_DEP_4)
	v_cmp_eq_u32_e32 vcc_lo, 1, v9
	v_cndmask_b32_e32 v2, v2, v4, vcc_lo
	v_cndmask_b32_e64 v1, v1, 1, vcc_lo
	s_delay_alu instid0(VALU_DEP_2) | instskip(NEXT) | instid1(VALU_DEP_2)
	v_mov_b32_dpp v4, v2 quad_perm:[2,3,0,1] row_mask:0xf bank_mask:0xf
	v_and_b32_e32 v9, 1, v1
	v_mov_b32_dpp v10, v1 quad_perm:[2,3,0,1] row_mask:0xf bank_mask:0xf
	v_cndmask_b32_e32 v3, v3, v5, vcc_lo
	s_delay_alu instid0(VALU_DEP_3) | instskip(NEXT) | instid1(VALU_DEP_3)
	v_cmp_eq_u32_e32 vcc_lo, 1, v9
	v_and_b32_e32 v9, 1, v10
	s_delay_alu instid0(VALU_DEP_3) | instskip(NEXT) | instid1(VALU_DEP_1)
	v_mov_b32_dpp v5, v3 quad_perm:[2,3,0,1] row_mask:0xf bank_mask:0xf
	v_min_i64 v[6:7], v[2:3], v[4:5]
	s_delay_alu instid0(VALU_DEP_1) | instskip(NEXT) | instid1(VALU_DEP_4)
	v_dual_cndmask_b32 v4, v4, v6 :: v_dual_cndmask_b32 v5, v5, v7
	v_cmp_eq_u32_e32 vcc_lo, 1, v9
	s_delay_alu instid0(VALU_DEP_2) | instskip(SKIP_1) | instid1(VALU_DEP_2)
	v_cndmask_b32_e32 v2, v2, v4, vcc_lo
	v_cndmask_b32_e64 v1, v1, 1, vcc_lo
	v_mov_b32_dpp v4, v2 row_ror:4 row_mask:0xf bank_mask:0xf
	s_delay_alu instid0(VALU_DEP_2) | instskip(SKIP_2) | instid1(VALU_DEP_3)
	v_and_b32_e32 v9, 1, v1
	v_mov_b32_dpp v10, v1 row_ror:4 row_mask:0xf bank_mask:0xf
	v_cndmask_b32_e32 v3, v3, v5, vcc_lo
	v_cmp_eq_u32_e32 vcc_lo, 1, v9
	s_delay_alu instid0(VALU_DEP_3) | instskip(NEXT) | instid1(VALU_DEP_3)
	v_and_b32_e32 v9, 1, v10
	v_mov_b32_dpp v5, v3 row_ror:4 row_mask:0xf bank_mask:0xf
	s_delay_alu instid0(VALU_DEP_1) | instskip(NEXT) | instid1(VALU_DEP_1)
	v_min_i64 v[6:7], v[2:3], v[4:5]
	v_dual_cndmask_b32 v4, v4, v6 :: v_dual_cndmask_b32 v5, v5, v7
	s_delay_alu instid0(VALU_DEP_4) | instskip(NEXT) | instid1(VALU_DEP_2)
	v_cmp_eq_u32_e32 vcc_lo, 1, v9
	v_cndmask_b32_e32 v2, v2, v4, vcc_lo
	v_cndmask_b32_e64 v1, v1, 1, vcc_lo
	s_delay_alu instid0(VALU_DEP_2) | instskip(NEXT) | instid1(VALU_DEP_2)
	v_mov_b32_dpp v4, v2 row_ror:8 row_mask:0xf bank_mask:0xf
	v_and_b32_e32 v9, 1, v1
	v_mov_b32_dpp v10, v1 row_ror:8 row_mask:0xf bank_mask:0xf
	v_cndmask_b32_e32 v3, v3, v5, vcc_lo
	s_delay_alu instid0(VALU_DEP_3) | instskip(NEXT) | instid1(VALU_DEP_3)
	v_cmp_eq_u32_e32 vcc_lo, 1, v9
	v_and_b32_e32 v9, 1, v10
	s_delay_alu instid0(VALU_DEP_3) | instskip(NEXT) | instid1(VALU_DEP_1)
	v_mov_b32_dpp v5, v3 row_ror:8 row_mask:0xf bank_mask:0xf
	v_min_i64 v[6:7], v[2:3], v[4:5]
	s_delay_alu instid0(VALU_DEP_1) | instskip(NEXT) | instid1(VALU_DEP_4)
	v_dual_cndmask_b32 v4, v4, v6 :: v_dual_cndmask_b32 v5, v5, v7
	v_cmp_eq_u32_e32 vcc_lo, 1, v9
	s_delay_alu instid0(VALU_DEP_2)
	v_cndmask_b32_e32 v2, v2, v4, vcc_lo
	v_cndmask_b32_e64 v1, v1, 1, vcc_lo
	ds_swizzle_b32 v4, v2 offset:swizzle(BROADCAST,32,15)
	v_cndmask_b32_e32 v3, v3, v5, vcc_lo
	ds_swizzle_b32 v9, v1 offset:swizzle(BROADCAST,32,15)
	ds_swizzle_b32 v5, v3 offset:swizzle(BROADCAST,32,15)
	s_wait_dscnt 0x1
	v_and_b32_e32 v9, 1, v9
	s_wait_dscnt 0x0
	v_min_i64 v[6:7], v[2:3], v[4:5]
	v_and_b32_e32 v10, 1, v1
	s_delay_alu instid0(VALU_DEP_1) | instskip(NEXT) | instid1(VALU_DEP_3)
	v_cmp_eq_u32_e32 vcc_lo, 1, v10
	v_dual_cndmask_b32 v4, v4, v6 :: v_dual_cndmask_b32 v5, v5, v7
	v_mov_b32_e32 v6, 0
	v_cmp_eq_u32_e32 vcc_lo, 1, v9
	s_delay_alu instid0(VALU_DEP_3)
	v_dual_cndmask_b32 v3, v3, v5 :: v_dual_cndmask_b32 v2, v2, v4
	v_cndmask_b32_e64 v1, v1, 1, vcc_lo
	ds_bpermute_b32 v3, v6, v3 offset:124
	ds_bpermute_b32 v2, v6, v2 offset:124
	;; [unrolled: 1-line block ×3, first 2 shown]
	v_cmpx_eq_u32_e32 0, v8
	s_cbranch_execz .LBB28_230
; %bb.229:
	v_lshrrev_b32_e32 v4, 1, v0
	s_delay_alu instid0(VALU_DEP_1)
	v_and_b32_e32 v4, 48, v4
	s_wait_dscnt 0x0
	ds_store_b8 v4, v1
	ds_store_b64 v4, v[2:3] offset:8
.LBB28_230:
	s_or_b32 exec_lo, exec_lo, s4
	s_delay_alu instid0(SALU_CYCLE_1)
	s_mov_b32 s4, exec_lo
	s_wait_dscnt 0x0
	s_barrier_signal -1
	s_barrier_wait -1
	v_cmpx_gt_u32_e32 32, v0
	s_cbranch_execz .LBB28_236
; %bb.231:
	v_and_b32_e32 v2, 3, v8
	s_delay_alu instid0(VALU_DEP_1) | instskip(SKIP_2) | instid1(VALU_DEP_1)
	v_cmp_ne_u32_e32 vcc_lo, 3, v2
	v_lshlrev_b32_e32 v3, 4, v2
	v_add_co_ci_u32_e64 v2, null, 0, v8, vcc_lo
	v_lshlrev_b32_e32 v2, 2, v2
	ds_load_u8 v1, v3
	ds_load_b64 v[4:5], v3 offset:8
	s_wait_dscnt 0x1
	v_and_b32_e32 v3, 0xff, v1
	s_wait_dscnt 0x0
	ds_bpermute_b32 v6, v2, v4
	ds_bpermute_b32 v7, v2, v5
	;; [unrolled: 1-line block ×3, first 2 shown]
	s_wait_dscnt 0x0
	v_and_b32_e32 v2, v1, v9
	s_delay_alu instid0(VALU_DEP_1) | instskip(NEXT) | instid1(VALU_DEP_1)
	v_and_b32_e32 v2, 1, v2
	v_cmp_eq_u32_e32 vcc_lo, 1, v2
                                        ; implicit-def: $vgpr2_vgpr3
	s_and_saveexec_b32 s5, vcc_lo
	s_delay_alu instid0(SALU_CYCLE_1)
	s_xor_b32 s5, exec_lo, s5
; %bb.232:
	v_min_i64 v[2:3], v[6:7], v[4:5]
                                        ; implicit-def: $vgpr1
                                        ; implicit-def: $vgpr6_vgpr7
                                        ; implicit-def: $vgpr4_vgpr5
                                        ; implicit-def: $vgpr9
; %bb.233:
	s_or_saveexec_b32 s5, s5
	v_dual_mov_b32 v11, 1 :: v_dual_lshlrev_b32 v10, 2, v8
	s_xor_b32 exec_lo, exec_lo, s5
; %bb.234:
	v_and_b32_e32 v1, 1, v1
	s_delay_alu instid0(VALU_DEP_1) | instskip(SKIP_2) | instid1(VALU_DEP_2)
	v_cmp_eq_u32_e32 vcc_lo, 1, v1
	v_and_b32_e32 v1, 0xff, v9
	v_dual_cndmask_b32 v3, v7, v5 :: v_dual_cndmask_b32 v2, v6, v4
	v_cndmask_b32_e64 v11, v1, 1, vcc_lo
; %bb.235:
	s_or_b32 exec_lo, exec_lo, s5
	s_delay_alu instid0(VALU_DEP_1) | instskip(NEXT) | instid1(VALU_DEP_1)
	v_and_b32_e32 v9, 1, v11
	v_cmp_eq_u32_e32 vcc_lo, 1, v9
	v_or_b32_e32 v1, 8, v10
	ds_bpermute_b32 v4, v1, v2
	ds_bpermute_b32 v5, v1, v3
	s_wait_dscnt 0x0
	v_min_i64 v[6:7], v[4:5], v[2:3]
	v_cndmask_b32_e32 v3, v5, v3, vcc_lo
	ds_bpermute_b32 v1, v1, v11
	v_cndmask_b32_e32 v2, v4, v2, vcc_lo
	s_wait_dscnt 0x0
	v_bitop3_b32 v9, v11, 1, v1 bitop3:0x80
	v_cndmask_b32_e64 v1, v1, 1, vcc_lo
	s_delay_alu instid0(VALU_DEP_2) | instskip(NEXT) | instid1(VALU_DEP_2)
	v_cmp_eq_u32_e32 vcc_lo, 0, v9
	v_dual_cndmask_b32 v1, 1, v1, vcc_lo :: v_dual_cndmask_b32 v3, v7, v3, vcc_lo
	v_cndmask_b32_e32 v2, v6, v2, vcc_lo
.LBB28_236:
	s_or_b32 exec_lo, exec_lo, s4
.LBB28_237:
	v_cmp_eq_u32_e64 s2, 0, v0
	s_and_saveexec_b32 s3, s2
	s_cbranch_execnz .LBB28_240
	s_branch .LBB28_241
.LBB28_238:
                                        ; implicit-def: $sgpr10_sgpr11
                                        ; implicit-def: $vgpr2_vgpr3
                                        ; implicit-def: $vgpr1
.LBB28_239:
	s_delay_alu instid0(VALU_DEP_1)
	s_and_saveexec_b32 s3, s2
	s_cbranch_execz .LBB28_241
.LBB28_240:
	s_clause 0x1
	s_load_b64 s[2:3], s[0:1], 0x28
	s_load_b96 s[4:6], s[0:1], 0x18
	s_cmp_eq_u64 s[14:15], 0
	s_wait_xcnt 0x0
	s_cselect_b32 s0, -1, 0
	s_wait_dscnt 0x0
	s_wait_kmcnt 0x0
	v_min_i64 v[4:5], v[2:3], s[2:3]
	v_and_b32_e32 v0, 1, v1
	s_bitcmp1_b32 s6, 0
	s_delay_alu instid0(VALU_DEP_1) | instskip(NEXT) | instid1(VALU_DEP_3)
	v_cmp_eq_u32_e32 vcc_lo, 1, v0
	v_cndmask_b32_e32 v0, s3, v5, vcc_lo
	s_delay_alu instid0(VALU_DEP_4) | instskip(SKIP_1) | instid1(SALU_CYCLE_1)
	v_cndmask_b32_e32 v4, s2, v4, vcc_lo
	s_cselect_b32 vcc_lo, -1, 0
	v_cndmask_b32_e64 v5, v1, 1, vcc_lo
	s_delay_alu instid0(VALU_DEP_3) | instskip(NEXT) | instid1(VALU_DEP_3)
	v_cndmask_b32_e32 v0, v3, v0, vcc_lo
	v_dual_cndmask_b32 v2, v2, v4 :: v_dual_mov_b32 v3, 0
	s_delay_alu instid0(VALU_DEP_2) | instskip(NEXT) | instid1(VALU_DEP_2)
	v_cndmask_b32_e64 v1, v0, s3, s0
	v_cndmask_b32_e64 v0, v2, s2, s0
	;; [unrolled: 1-line block ×3, first 2 shown]
	s_lshl_b64 s[0:1], s[10:11], 4
	s_delay_alu instid0(SALU_CYCLE_1)
	s_add_nc_u64 s[0:1], s[4:5], s[0:1]
	s_clause 0x1
	global_store_b8 v3, v2, s[0:1]
	global_store_b64 v3, v[0:1], s[0:1] offset:8
.LBB28_241:
	s_endpgm
.LBB28_242:
                                        ; implicit-def: $vgpr2_vgpr3
                                        ; implicit-def: $vgpr1
	s_cbranch_execz .LBB28_237
; %bb.243:
	v_mov_b64_e32 v[2:3], 0
	v_mov_b32_e32 v7, 0
	s_sub_co_i32 s4, s14, s2
	s_mov_b32 s5, exec_lo
	v_cmpx_gt_u32_e64 s4, v0
	s_cbranch_execz .LBB28_245
; %bb.244:
	v_lshlrev_b32_e32 v1, 4, v0
	s_lshl_b64 s[2:3], s[2:3], 4
	s_delay_alu instid0(SALU_CYCLE_1)
	s_add_nc_u64 s[2:3], s[12:13], s[2:3]
	s_clause 0x1
	global_load_u8 v7, v1, s[2:3]
	global_load_b64 v[2:3], v1, s[2:3] offset:8
.LBB28_245:
	s_wait_xcnt 0x0
	s_or_b32 exec_lo, exec_lo, s5
	v_cmp_ne_u32_e32 vcc_lo, 31, v8
	s_wait_loadcnt 0x1
	v_and_b32_e32 v1, 0xff, v7
	s_wait_dscnt 0x2
	v_and_b32_e32 v6, 0x60, v0
	s_min_u32 s3, s4, 0x80
	v_add_nc_u32_e32 v10, 1, v8
	s_wait_dscnt 0x1
	v_add_co_ci_u32_e64 v4, null, 0, v8, vcc_lo
	v_sub_nc_u32_e64 v6, s3, v6 clamp
	s_mov_b32 s4, exec_lo
	s_wait_dscnt 0x0
	s_delay_alu instid0(VALU_DEP_2)
	v_lshlrev_b32_e32 v5, 2, v4
	ds_bpermute_b32 v9, v5, v1
	s_wait_loadcnt 0x0
	ds_bpermute_b32 v4, v5, v2
	ds_bpermute_b32 v5, v5, v3
	v_cmpx_lt_u32_e64 v10, v6
	s_cbranch_execz .LBB28_247
; %bb.246:
	s_wait_dscnt 0x0
	v_min_i64 v[10:11], v[4:5], v[2:3]
	v_and_b32_e32 v7, 1, v7
	s_delay_alu instid0(VALU_DEP_1) | instskip(SKIP_3) | instid1(VALU_DEP_1)
	v_cmp_eq_u32_e32 vcc_lo, 1, v7
	v_and_b32_e32 v7, 0xff, v9
	v_dual_cndmask_b32 v2, v4, v2 :: v_dual_cndmask_b32 v3, v5, v3
	v_and_b32_e32 v1, v9, v1
	v_cmp_eq_u32_e64 s2, 0, v1
	s_delay_alu instid0(VALU_DEP_4) | instskip(NEXT) | instid1(VALU_DEP_1)
	v_cndmask_b32_e64 v1, v7, 1, vcc_lo
	v_dual_cndmask_b32 v1, 1, v1, s2 :: v_dual_cndmask_b32 v2, v10, v2, s2
	v_cndmask_b32_e64 v3, v11, v3, s2
.LBB28_247:
	s_or_b32 exec_lo, exec_lo, s4
	v_cmp_gt_u32_e32 vcc_lo, 30, v8
	s_wait_dscnt 0x2
	v_add_nc_u32_e32 v9, 2, v8
	s_mov_b32 s4, exec_lo
	s_wait_dscnt 0x1
	v_cndmask_b32_e64 v4, 0, 2, vcc_lo
	s_wait_dscnt 0x0
	s_delay_alu instid0(VALU_DEP_1)
	v_add_lshl_u32 v5, v4, v8, 2
	ds_bpermute_b32 v7, v5, v1
	ds_bpermute_b32 v4, v5, v2
	ds_bpermute_b32 v5, v5, v3
	v_cmpx_lt_u32_e64 v9, v6
	s_cbranch_execz .LBB28_249
; %bb.248:
	s_wait_dscnt 0x0
	v_min_i64 v[10:11], v[4:5], v[2:3]
	v_and_b32_e32 v9, 1, v1
	v_bitop3_b32 v1, v1, 1, v7 bitop3:0x80
	v_and_b32_e32 v7, 0xff, v7
	s_delay_alu instid0(VALU_DEP_3) | instskip(NEXT) | instid1(VALU_DEP_3)
	v_cmp_eq_u32_e32 vcc_lo, 1, v9
	v_cmp_eq_u32_e64 s2, 0, v1
	v_dual_cndmask_b32 v2, v4, v2 :: v_dual_cndmask_b32 v3, v5, v3
	s_delay_alu instid0(VALU_DEP_4) | instskip(NEXT) | instid1(VALU_DEP_1)
	v_cndmask_b32_e64 v1, v7, 1, vcc_lo
	v_dual_cndmask_b32 v1, 1, v1, s2 :: v_dual_cndmask_b32 v2, v10, v2, s2
	s_delay_alu instid0(VALU_DEP_3)
	v_cndmask_b32_e64 v3, v11, v3, s2
.LBB28_249:
	s_or_b32 exec_lo, exec_lo, s4
	v_cmp_gt_u32_e32 vcc_lo, 28, v8
	v_add_nc_u32_e32 v9, 4, v8
	s_mov_b32 s4, exec_lo
	s_wait_dscnt 0x1
	v_cndmask_b32_e64 v4, 0, 4, vcc_lo
	s_wait_dscnt 0x0
	s_delay_alu instid0(VALU_DEP_1)
	v_add_lshl_u32 v5, v4, v8, 2
	ds_bpermute_b32 v7, v5, v1
	ds_bpermute_b32 v4, v5, v2
	;; [unrolled: 1-line block ×3, first 2 shown]
	v_cmpx_lt_u32_e64 v9, v6
	s_cbranch_execz .LBB28_251
; %bb.250:
	s_wait_dscnt 0x0
	v_min_i64 v[10:11], v[4:5], v[2:3]
	v_and_b32_e32 v9, 1, v1
	v_bitop3_b32 v1, v1, 1, v7 bitop3:0x80
	v_and_b32_e32 v7, 0xff, v7
	s_delay_alu instid0(VALU_DEP_3) | instskip(NEXT) | instid1(VALU_DEP_3)
	v_cmp_eq_u32_e32 vcc_lo, 1, v9
	v_cmp_eq_u32_e64 s2, 0, v1
	v_dual_cndmask_b32 v2, v4, v2 :: v_dual_cndmask_b32 v3, v5, v3
	s_delay_alu instid0(VALU_DEP_4) | instskip(NEXT) | instid1(VALU_DEP_1)
	v_cndmask_b32_e64 v1, v7, 1, vcc_lo
	v_dual_cndmask_b32 v1, 1, v1, s2 :: v_dual_cndmask_b32 v2, v10, v2, s2
	s_delay_alu instid0(VALU_DEP_3)
	v_cndmask_b32_e64 v3, v11, v3, s2
.LBB28_251:
	s_or_b32 exec_lo, exec_lo, s4
	v_cmp_gt_u32_e32 vcc_lo, 24, v8
	v_add_nc_u32_e32 v9, 8, v8
	s_mov_b32 s4, exec_lo
	s_wait_dscnt 0x1
	v_cndmask_b32_e64 v4, 0, 8, vcc_lo
	s_wait_dscnt 0x0
	s_delay_alu instid0(VALU_DEP_1)
	v_add_lshl_u32 v5, v4, v8, 2
	ds_bpermute_b32 v7, v5, v1
	ds_bpermute_b32 v4, v5, v2
	;; [unrolled: 1-line block ×3, first 2 shown]
	v_cmpx_lt_u32_e64 v9, v6
	s_cbranch_execz .LBB28_253
; %bb.252:
	s_wait_dscnt 0x0
	v_min_i64 v[10:11], v[4:5], v[2:3]
	v_and_b32_e32 v9, 1, v1
	v_bitop3_b32 v1, v1, 1, v7 bitop3:0x80
	v_and_b32_e32 v7, 0xff, v7
	s_delay_alu instid0(VALU_DEP_3) | instskip(NEXT) | instid1(VALU_DEP_3)
	v_cmp_eq_u32_e32 vcc_lo, 1, v9
	v_cmp_eq_u32_e64 s2, 0, v1
	v_dual_cndmask_b32 v2, v4, v2 :: v_dual_cndmask_b32 v3, v5, v3
	s_delay_alu instid0(VALU_DEP_4) | instskip(NEXT) | instid1(VALU_DEP_1)
	v_cndmask_b32_e64 v1, v7, 1, vcc_lo
	v_dual_cndmask_b32 v1, 1, v1, s2 :: v_dual_cndmask_b32 v2, v10, v2, s2
	s_delay_alu instid0(VALU_DEP_3)
	v_cndmask_b32_e64 v3, v11, v3, s2
.LBB28_253:
	s_or_b32 exec_lo, exec_lo, s4
	s_wait_dscnt 0x2
	v_dual_lshlrev_b32 v7, 2, v8 :: v_dual_add_nc_u32 v10, 16, v8
	s_wait_dscnt 0x0
	s_delay_alu instid0(VALU_DEP_1) | instskip(NEXT) | instid1(VALU_DEP_2)
	v_or_b32_e32 v5, 64, v7
	v_cmp_lt_u32_e32 vcc_lo, v10, v6
	v_mov_b32_e32 v6, v1
	ds_bpermute_b32 v9, v5, v1
	ds_bpermute_b32 v4, v5, v2
	;; [unrolled: 1-line block ×3, first 2 shown]
	s_and_saveexec_b32 s4, vcc_lo
	s_cbranch_execz .LBB28_255
; %bb.254:
	s_wait_dscnt 0x0
	v_min_i64 v[10:11], v[4:5], v[2:3]
	v_and_b32_e32 v6, 1, v1
	v_bitop3_b32 v1, v1, 1, v9 bitop3:0x80
	s_delay_alu instid0(VALU_DEP_2) | instskip(NEXT) | instid1(VALU_DEP_2)
	v_cmp_eq_u32_e32 vcc_lo, 1, v6
	v_cmp_eq_u32_e64 s2, 0, v1
	v_cndmask_b32_e64 v6, v9, 1, vcc_lo
	v_dual_cndmask_b32 v1, v5, v3 :: v_dual_cndmask_b32 v2, v4, v2
	s_delay_alu instid0(VALU_DEP_1) | instskip(NEXT) | instid1(VALU_DEP_2)
	v_dual_cndmask_b32 v6, 1, v6, s2 :: v_dual_cndmask_b32 v3, v11, v1, s2
	v_cndmask_b32_e64 v2, v10, v2, s2
	s_delay_alu instid0(VALU_DEP_2)
	v_and_b32_e32 v1, 0xff, v6
.LBB28_255:
	s_or_b32 exec_lo, exec_lo, s4
	s_delay_alu instid0(SALU_CYCLE_1)
	s_mov_b32 s2, exec_lo
	v_cmpx_eq_u32_e32 0, v8
	s_cbranch_execz .LBB28_257
; %bb.256:
	s_wait_dscnt 0x1
	v_lshrrev_b32_e32 v4, 1, v0
	s_delay_alu instid0(VALU_DEP_1)
	v_and_b32_e32 v4, 48, v4
	ds_store_b8 v4, v6 offset:256
	ds_store_b64 v4, v[2:3] offset:264
.LBB28_257:
	s_or_b32 exec_lo, exec_lo, s2
	s_delay_alu instid0(SALU_CYCLE_1)
	s_mov_b32 s4, exec_lo
	s_wait_dscnt 0x0
	s_barrier_signal -1
	s_barrier_wait -1
	v_cmpx_gt_u32_e32 4, v0
	s_cbranch_execz .LBB28_263
; %bb.258:
	v_dual_lshlrev_b32 v1, 4, v8 :: v_dual_bitop2_b32 v6, 3, v8 bitop3:0x40
	s_add_co_i32 s3, s3, 31
	s_mov_b32 s5, exec_lo
	s_lshr_b32 s3, s3, 5
	ds_load_u8 v9, v1 offset:256
	ds_load_b64 v[2:3], v1 offset:264
	v_cmp_ne_u32_e32 vcc_lo, 3, v6
	v_add_nc_u32_e32 v10, 1, v6
	v_add_co_ci_u32_e64 v1, null, 0, v8, vcc_lo
	s_delay_alu instid0(VALU_DEP_1)
	v_lshlrev_b32_e32 v5, 2, v1
	s_wait_dscnt 0x1
	v_and_b32_e32 v1, 0xff, v9
	s_wait_dscnt 0x0
	ds_bpermute_b32 v4, v5, v2
	ds_bpermute_b32 v8, v5, v1
	;; [unrolled: 1-line block ×3, first 2 shown]
	v_cmpx_gt_u32_e64 s3, v10
	s_cbranch_execz .LBB28_260
; %bb.259:
	s_wait_dscnt 0x0
	v_min_i64 v[10:11], v[4:5], v[2:3]
	v_and_b32_e32 v9, 1, v9
	v_bitop3_b32 v1, v1, 1, v8 bitop3:0x80
	v_and_b32_e32 v8, 0xff, v8
	s_delay_alu instid0(VALU_DEP_3) | instskip(NEXT) | instid1(VALU_DEP_3)
	v_cmp_eq_u32_e32 vcc_lo, 1, v9
	v_cmp_eq_u32_e64 s2, 0, v1
	v_dual_cndmask_b32 v2, v4, v2 :: v_dual_cndmask_b32 v3, v5, v3
	s_delay_alu instid0(VALU_DEP_4) | instskip(NEXT) | instid1(VALU_DEP_1)
	v_cndmask_b32_e64 v1, v8, 1, vcc_lo
	v_dual_cndmask_b32 v1, 1, v1, s2 :: v_dual_cndmask_b32 v2, v10, v2, s2
	s_delay_alu instid0(VALU_DEP_3)
	v_cndmask_b32_e64 v3, v11, v3, s2
.LBB28_260:
	s_or_b32 exec_lo, exec_lo, s5
	s_wait_dscnt 0x0
	v_dual_add_nc_u32 v6, 2, v6 :: v_dual_bitop2_b32 v5, 8, v7 bitop3:0x54
	ds_bpermute_b32 v7, v5, v1
	ds_bpermute_b32 v4, v5, v2
	;; [unrolled: 1-line block ×3, first 2 shown]
	v_cmp_gt_u32_e32 vcc_lo, s3, v6
	s_and_saveexec_b32 s3, vcc_lo
	s_cbranch_execz .LBB28_262
; %bb.261:
	s_wait_dscnt 0x0
	v_min_i64 v[8:9], v[4:5], v[2:3]
	v_and_b32_e32 v6, 1, v1
	v_bitop3_b32 v1, v1, 1, v7 bitop3:0x80
	s_delay_alu instid0(VALU_DEP_2) | instskip(NEXT) | instid1(VALU_DEP_2)
	v_cmp_eq_u32_e32 vcc_lo, 1, v6
	v_cmp_eq_u32_e64 s2, 0, v1
	v_dual_cndmask_b32 v2, v4, v2 :: v_dual_cndmask_b32 v3, v5, v3
	v_cndmask_b32_e64 v1, v7, 1, vcc_lo
	s_delay_alu instid0(VALU_DEP_1) | instskip(NEXT) | instid1(VALU_DEP_3)
	v_dual_cndmask_b32 v1, 1, v1, s2 :: v_dual_cndmask_b32 v2, v8, v2, s2
	v_cndmask_b32_e64 v3, v9, v3, s2
.LBB28_262:
	s_or_b32 exec_lo, exec_lo, s3
.LBB28_263:
	s_delay_alu instid0(SALU_CYCLE_1)
	s_or_b32 exec_lo, exec_lo, s4
	v_cmp_eq_u32_e64 s2, 0, v0
	s_and_saveexec_b32 s3, s2
	s_cbranch_execnz .LBB28_240
	s_branch .LBB28_241
	.section	.rodata,"a",@progbits
	.p2align	6, 0x0
	.amdhsa_kernel _ZN7rocprim17ROCPRIM_400000_NS6detail17trampoline_kernelINS0_14default_configENS1_22reduce_config_selectorIN6thrust23THRUST_200600_302600_NS5tupleIblNS6_9null_typeES8_S8_S8_S8_S8_S8_S8_EEEEZNS1_11reduce_implILb1ES3_PS9_SC_S9_NS6_11hip_rocprim9__find_if7functorIS9_EEEE10hipError_tPvRmT1_T2_T3_mT4_P12ihipStream_tbEUlT_E1_NS1_11comp_targetILNS1_3genE0ELNS1_11target_archE4294967295ELNS1_3gpuE0ELNS1_3repE0EEENS1_30default_config_static_selectorELNS0_4arch9wavefront6targetE0EEEvSK_
		.amdhsa_group_segment_fixed_size 320
		.amdhsa_private_segment_fixed_size 0
		.amdhsa_kernarg_size 56
		.amdhsa_user_sgpr_count 2
		.amdhsa_user_sgpr_dispatch_ptr 0
		.amdhsa_user_sgpr_queue_ptr 0
		.amdhsa_user_sgpr_kernarg_segment_ptr 1
		.amdhsa_user_sgpr_dispatch_id 0
		.amdhsa_user_sgpr_kernarg_preload_length 0
		.amdhsa_user_sgpr_kernarg_preload_offset 0
		.amdhsa_user_sgpr_private_segment_size 0
		.amdhsa_wavefront_size32 1
		.amdhsa_uses_dynamic_stack 0
		.amdhsa_enable_private_segment 0
		.amdhsa_system_sgpr_workgroup_id_x 1
		.amdhsa_system_sgpr_workgroup_id_y 0
		.amdhsa_system_sgpr_workgroup_id_z 0
		.amdhsa_system_sgpr_workgroup_info 0
		.amdhsa_system_vgpr_workitem_id 0
		.amdhsa_next_free_vgpr 27
		.amdhsa_next_free_sgpr 20
		.amdhsa_named_barrier_count 0
		.amdhsa_reserve_vcc 1
		.amdhsa_float_round_mode_32 0
		.amdhsa_float_round_mode_16_64 0
		.amdhsa_float_denorm_mode_32 3
		.amdhsa_float_denorm_mode_16_64 3
		.amdhsa_fp16_overflow 0
		.amdhsa_memory_ordered 1
		.amdhsa_forward_progress 1
		.amdhsa_inst_pref_size 107
		.amdhsa_round_robin_scheduling 0
		.amdhsa_exception_fp_ieee_invalid_op 0
		.amdhsa_exception_fp_denorm_src 0
		.amdhsa_exception_fp_ieee_div_zero 0
		.amdhsa_exception_fp_ieee_overflow 0
		.amdhsa_exception_fp_ieee_underflow 0
		.amdhsa_exception_fp_ieee_inexact 0
		.amdhsa_exception_int_div_zero 0
	.end_amdhsa_kernel
	.section	.text._ZN7rocprim17ROCPRIM_400000_NS6detail17trampoline_kernelINS0_14default_configENS1_22reduce_config_selectorIN6thrust23THRUST_200600_302600_NS5tupleIblNS6_9null_typeES8_S8_S8_S8_S8_S8_S8_EEEEZNS1_11reduce_implILb1ES3_PS9_SC_S9_NS6_11hip_rocprim9__find_if7functorIS9_EEEE10hipError_tPvRmT1_T2_T3_mT4_P12ihipStream_tbEUlT_E1_NS1_11comp_targetILNS1_3genE0ELNS1_11target_archE4294967295ELNS1_3gpuE0ELNS1_3repE0EEENS1_30default_config_static_selectorELNS0_4arch9wavefront6targetE0EEEvSK_,"axG",@progbits,_ZN7rocprim17ROCPRIM_400000_NS6detail17trampoline_kernelINS0_14default_configENS1_22reduce_config_selectorIN6thrust23THRUST_200600_302600_NS5tupleIblNS6_9null_typeES8_S8_S8_S8_S8_S8_S8_EEEEZNS1_11reduce_implILb1ES3_PS9_SC_S9_NS6_11hip_rocprim9__find_if7functorIS9_EEEE10hipError_tPvRmT1_T2_T3_mT4_P12ihipStream_tbEUlT_E1_NS1_11comp_targetILNS1_3genE0ELNS1_11target_archE4294967295ELNS1_3gpuE0ELNS1_3repE0EEENS1_30default_config_static_selectorELNS0_4arch9wavefront6targetE0EEEvSK_,comdat
.Lfunc_end28:
	.size	_ZN7rocprim17ROCPRIM_400000_NS6detail17trampoline_kernelINS0_14default_configENS1_22reduce_config_selectorIN6thrust23THRUST_200600_302600_NS5tupleIblNS6_9null_typeES8_S8_S8_S8_S8_S8_S8_EEEEZNS1_11reduce_implILb1ES3_PS9_SC_S9_NS6_11hip_rocprim9__find_if7functorIS9_EEEE10hipError_tPvRmT1_T2_T3_mT4_P12ihipStream_tbEUlT_E1_NS1_11comp_targetILNS1_3genE0ELNS1_11target_archE4294967295ELNS1_3gpuE0ELNS1_3repE0EEENS1_30default_config_static_selectorELNS0_4arch9wavefront6targetE0EEEvSK_, .Lfunc_end28-_ZN7rocprim17ROCPRIM_400000_NS6detail17trampoline_kernelINS0_14default_configENS1_22reduce_config_selectorIN6thrust23THRUST_200600_302600_NS5tupleIblNS6_9null_typeES8_S8_S8_S8_S8_S8_S8_EEEEZNS1_11reduce_implILb1ES3_PS9_SC_S9_NS6_11hip_rocprim9__find_if7functorIS9_EEEE10hipError_tPvRmT1_T2_T3_mT4_P12ihipStream_tbEUlT_E1_NS1_11comp_targetILNS1_3genE0ELNS1_11target_archE4294967295ELNS1_3gpuE0ELNS1_3repE0EEENS1_30default_config_static_selectorELNS0_4arch9wavefront6targetE0EEEvSK_
                                        ; -- End function
	.set _ZN7rocprim17ROCPRIM_400000_NS6detail17trampoline_kernelINS0_14default_configENS1_22reduce_config_selectorIN6thrust23THRUST_200600_302600_NS5tupleIblNS6_9null_typeES8_S8_S8_S8_S8_S8_S8_EEEEZNS1_11reduce_implILb1ES3_PS9_SC_S9_NS6_11hip_rocprim9__find_if7functorIS9_EEEE10hipError_tPvRmT1_T2_T3_mT4_P12ihipStream_tbEUlT_E1_NS1_11comp_targetILNS1_3genE0ELNS1_11target_archE4294967295ELNS1_3gpuE0ELNS1_3repE0EEENS1_30default_config_static_selectorELNS0_4arch9wavefront6targetE0EEEvSK_.num_vgpr, 27
	.set _ZN7rocprim17ROCPRIM_400000_NS6detail17trampoline_kernelINS0_14default_configENS1_22reduce_config_selectorIN6thrust23THRUST_200600_302600_NS5tupleIblNS6_9null_typeES8_S8_S8_S8_S8_S8_S8_EEEEZNS1_11reduce_implILb1ES3_PS9_SC_S9_NS6_11hip_rocprim9__find_if7functorIS9_EEEE10hipError_tPvRmT1_T2_T3_mT4_P12ihipStream_tbEUlT_E1_NS1_11comp_targetILNS1_3genE0ELNS1_11target_archE4294967295ELNS1_3gpuE0ELNS1_3repE0EEENS1_30default_config_static_selectorELNS0_4arch9wavefront6targetE0EEEvSK_.num_agpr, 0
	.set _ZN7rocprim17ROCPRIM_400000_NS6detail17trampoline_kernelINS0_14default_configENS1_22reduce_config_selectorIN6thrust23THRUST_200600_302600_NS5tupleIblNS6_9null_typeES8_S8_S8_S8_S8_S8_S8_EEEEZNS1_11reduce_implILb1ES3_PS9_SC_S9_NS6_11hip_rocprim9__find_if7functorIS9_EEEE10hipError_tPvRmT1_T2_T3_mT4_P12ihipStream_tbEUlT_E1_NS1_11comp_targetILNS1_3genE0ELNS1_11target_archE4294967295ELNS1_3gpuE0ELNS1_3repE0EEENS1_30default_config_static_selectorELNS0_4arch9wavefront6targetE0EEEvSK_.numbered_sgpr, 20
	.set _ZN7rocprim17ROCPRIM_400000_NS6detail17trampoline_kernelINS0_14default_configENS1_22reduce_config_selectorIN6thrust23THRUST_200600_302600_NS5tupleIblNS6_9null_typeES8_S8_S8_S8_S8_S8_S8_EEEEZNS1_11reduce_implILb1ES3_PS9_SC_S9_NS6_11hip_rocprim9__find_if7functorIS9_EEEE10hipError_tPvRmT1_T2_T3_mT4_P12ihipStream_tbEUlT_E1_NS1_11comp_targetILNS1_3genE0ELNS1_11target_archE4294967295ELNS1_3gpuE0ELNS1_3repE0EEENS1_30default_config_static_selectorELNS0_4arch9wavefront6targetE0EEEvSK_.num_named_barrier, 0
	.set _ZN7rocprim17ROCPRIM_400000_NS6detail17trampoline_kernelINS0_14default_configENS1_22reduce_config_selectorIN6thrust23THRUST_200600_302600_NS5tupleIblNS6_9null_typeES8_S8_S8_S8_S8_S8_S8_EEEEZNS1_11reduce_implILb1ES3_PS9_SC_S9_NS6_11hip_rocprim9__find_if7functorIS9_EEEE10hipError_tPvRmT1_T2_T3_mT4_P12ihipStream_tbEUlT_E1_NS1_11comp_targetILNS1_3genE0ELNS1_11target_archE4294967295ELNS1_3gpuE0ELNS1_3repE0EEENS1_30default_config_static_selectorELNS0_4arch9wavefront6targetE0EEEvSK_.private_seg_size, 0
	.set _ZN7rocprim17ROCPRIM_400000_NS6detail17trampoline_kernelINS0_14default_configENS1_22reduce_config_selectorIN6thrust23THRUST_200600_302600_NS5tupleIblNS6_9null_typeES8_S8_S8_S8_S8_S8_S8_EEEEZNS1_11reduce_implILb1ES3_PS9_SC_S9_NS6_11hip_rocprim9__find_if7functorIS9_EEEE10hipError_tPvRmT1_T2_T3_mT4_P12ihipStream_tbEUlT_E1_NS1_11comp_targetILNS1_3genE0ELNS1_11target_archE4294967295ELNS1_3gpuE0ELNS1_3repE0EEENS1_30default_config_static_selectorELNS0_4arch9wavefront6targetE0EEEvSK_.uses_vcc, 1
	.set _ZN7rocprim17ROCPRIM_400000_NS6detail17trampoline_kernelINS0_14default_configENS1_22reduce_config_selectorIN6thrust23THRUST_200600_302600_NS5tupleIblNS6_9null_typeES8_S8_S8_S8_S8_S8_S8_EEEEZNS1_11reduce_implILb1ES3_PS9_SC_S9_NS6_11hip_rocprim9__find_if7functorIS9_EEEE10hipError_tPvRmT1_T2_T3_mT4_P12ihipStream_tbEUlT_E1_NS1_11comp_targetILNS1_3genE0ELNS1_11target_archE4294967295ELNS1_3gpuE0ELNS1_3repE0EEENS1_30default_config_static_selectorELNS0_4arch9wavefront6targetE0EEEvSK_.uses_flat_scratch, 0
	.set _ZN7rocprim17ROCPRIM_400000_NS6detail17trampoline_kernelINS0_14default_configENS1_22reduce_config_selectorIN6thrust23THRUST_200600_302600_NS5tupleIblNS6_9null_typeES8_S8_S8_S8_S8_S8_S8_EEEEZNS1_11reduce_implILb1ES3_PS9_SC_S9_NS6_11hip_rocprim9__find_if7functorIS9_EEEE10hipError_tPvRmT1_T2_T3_mT4_P12ihipStream_tbEUlT_E1_NS1_11comp_targetILNS1_3genE0ELNS1_11target_archE4294967295ELNS1_3gpuE0ELNS1_3repE0EEENS1_30default_config_static_selectorELNS0_4arch9wavefront6targetE0EEEvSK_.has_dyn_sized_stack, 0
	.set _ZN7rocprim17ROCPRIM_400000_NS6detail17trampoline_kernelINS0_14default_configENS1_22reduce_config_selectorIN6thrust23THRUST_200600_302600_NS5tupleIblNS6_9null_typeES8_S8_S8_S8_S8_S8_S8_EEEEZNS1_11reduce_implILb1ES3_PS9_SC_S9_NS6_11hip_rocprim9__find_if7functorIS9_EEEE10hipError_tPvRmT1_T2_T3_mT4_P12ihipStream_tbEUlT_E1_NS1_11comp_targetILNS1_3genE0ELNS1_11target_archE4294967295ELNS1_3gpuE0ELNS1_3repE0EEENS1_30default_config_static_selectorELNS0_4arch9wavefront6targetE0EEEvSK_.has_recursion, 0
	.set _ZN7rocprim17ROCPRIM_400000_NS6detail17trampoline_kernelINS0_14default_configENS1_22reduce_config_selectorIN6thrust23THRUST_200600_302600_NS5tupleIblNS6_9null_typeES8_S8_S8_S8_S8_S8_S8_EEEEZNS1_11reduce_implILb1ES3_PS9_SC_S9_NS6_11hip_rocprim9__find_if7functorIS9_EEEE10hipError_tPvRmT1_T2_T3_mT4_P12ihipStream_tbEUlT_E1_NS1_11comp_targetILNS1_3genE0ELNS1_11target_archE4294967295ELNS1_3gpuE0ELNS1_3repE0EEENS1_30default_config_static_selectorELNS0_4arch9wavefront6targetE0EEEvSK_.has_indirect_call, 0
	.section	.AMDGPU.csdata,"",@progbits
; Kernel info:
; codeLenInByte = 13636
; TotalNumSgprs: 22
; NumVgprs: 27
; ScratchSize: 0
; MemoryBound: 0
; FloatMode: 240
; IeeeMode: 1
; LDSByteSize: 320 bytes/workgroup (compile time only)
; SGPRBlocks: 0
; VGPRBlocks: 1
; NumSGPRsForWavesPerEU: 22
; NumVGPRsForWavesPerEU: 27
; NamedBarCnt: 0
; Occupancy: 16
; WaveLimiterHint : 1
; COMPUTE_PGM_RSRC2:SCRATCH_EN: 0
; COMPUTE_PGM_RSRC2:USER_SGPR: 2
; COMPUTE_PGM_RSRC2:TRAP_HANDLER: 0
; COMPUTE_PGM_RSRC2:TGID_X_EN: 1
; COMPUTE_PGM_RSRC2:TGID_Y_EN: 0
; COMPUTE_PGM_RSRC2:TGID_Z_EN: 0
; COMPUTE_PGM_RSRC2:TIDIG_COMP_CNT: 0
	.section	.text._ZN7rocprim17ROCPRIM_400000_NS6detail17trampoline_kernelINS0_14default_configENS1_22reduce_config_selectorIN6thrust23THRUST_200600_302600_NS5tupleIblNS6_9null_typeES8_S8_S8_S8_S8_S8_S8_EEEEZNS1_11reduce_implILb1ES3_PS9_SC_S9_NS6_11hip_rocprim9__find_if7functorIS9_EEEE10hipError_tPvRmT1_T2_T3_mT4_P12ihipStream_tbEUlT_E1_NS1_11comp_targetILNS1_3genE5ELNS1_11target_archE942ELNS1_3gpuE9ELNS1_3repE0EEENS1_30default_config_static_selectorELNS0_4arch9wavefront6targetE0EEEvSK_,"axG",@progbits,_ZN7rocprim17ROCPRIM_400000_NS6detail17trampoline_kernelINS0_14default_configENS1_22reduce_config_selectorIN6thrust23THRUST_200600_302600_NS5tupleIblNS6_9null_typeES8_S8_S8_S8_S8_S8_S8_EEEEZNS1_11reduce_implILb1ES3_PS9_SC_S9_NS6_11hip_rocprim9__find_if7functorIS9_EEEE10hipError_tPvRmT1_T2_T3_mT4_P12ihipStream_tbEUlT_E1_NS1_11comp_targetILNS1_3genE5ELNS1_11target_archE942ELNS1_3gpuE9ELNS1_3repE0EEENS1_30default_config_static_selectorELNS0_4arch9wavefront6targetE0EEEvSK_,comdat
	.protected	_ZN7rocprim17ROCPRIM_400000_NS6detail17trampoline_kernelINS0_14default_configENS1_22reduce_config_selectorIN6thrust23THRUST_200600_302600_NS5tupleIblNS6_9null_typeES8_S8_S8_S8_S8_S8_S8_EEEEZNS1_11reduce_implILb1ES3_PS9_SC_S9_NS6_11hip_rocprim9__find_if7functorIS9_EEEE10hipError_tPvRmT1_T2_T3_mT4_P12ihipStream_tbEUlT_E1_NS1_11comp_targetILNS1_3genE5ELNS1_11target_archE942ELNS1_3gpuE9ELNS1_3repE0EEENS1_30default_config_static_selectorELNS0_4arch9wavefront6targetE0EEEvSK_ ; -- Begin function _ZN7rocprim17ROCPRIM_400000_NS6detail17trampoline_kernelINS0_14default_configENS1_22reduce_config_selectorIN6thrust23THRUST_200600_302600_NS5tupleIblNS6_9null_typeES8_S8_S8_S8_S8_S8_S8_EEEEZNS1_11reduce_implILb1ES3_PS9_SC_S9_NS6_11hip_rocprim9__find_if7functorIS9_EEEE10hipError_tPvRmT1_T2_T3_mT4_P12ihipStream_tbEUlT_E1_NS1_11comp_targetILNS1_3genE5ELNS1_11target_archE942ELNS1_3gpuE9ELNS1_3repE0EEENS1_30default_config_static_selectorELNS0_4arch9wavefront6targetE0EEEvSK_
	.globl	_ZN7rocprim17ROCPRIM_400000_NS6detail17trampoline_kernelINS0_14default_configENS1_22reduce_config_selectorIN6thrust23THRUST_200600_302600_NS5tupleIblNS6_9null_typeES8_S8_S8_S8_S8_S8_S8_EEEEZNS1_11reduce_implILb1ES3_PS9_SC_S9_NS6_11hip_rocprim9__find_if7functorIS9_EEEE10hipError_tPvRmT1_T2_T3_mT4_P12ihipStream_tbEUlT_E1_NS1_11comp_targetILNS1_3genE5ELNS1_11target_archE942ELNS1_3gpuE9ELNS1_3repE0EEENS1_30default_config_static_selectorELNS0_4arch9wavefront6targetE0EEEvSK_
	.p2align	8
	.type	_ZN7rocprim17ROCPRIM_400000_NS6detail17trampoline_kernelINS0_14default_configENS1_22reduce_config_selectorIN6thrust23THRUST_200600_302600_NS5tupleIblNS6_9null_typeES8_S8_S8_S8_S8_S8_S8_EEEEZNS1_11reduce_implILb1ES3_PS9_SC_S9_NS6_11hip_rocprim9__find_if7functorIS9_EEEE10hipError_tPvRmT1_T2_T3_mT4_P12ihipStream_tbEUlT_E1_NS1_11comp_targetILNS1_3genE5ELNS1_11target_archE942ELNS1_3gpuE9ELNS1_3repE0EEENS1_30default_config_static_selectorELNS0_4arch9wavefront6targetE0EEEvSK_,@function
_ZN7rocprim17ROCPRIM_400000_NS6detail17trampoline_kernelINS0_14default_configENS1_22reduce_config_selectorIN6thrust23THRUST_200600_302600_NS5tupleIblNS6_9null_typeES8_S8_S8_S8_S8_S8_S8_EEEEZNS1_11reduce_implILb1ES3_PS9_SC_S9_NS6_11hip_rocprim9__find_if7functorIS9_EEEE10hipError_tPvRmT1_T2_T3_mT4_P12ihipStream_tbEUlT_E1_NS1_11comp_targetILNS1_3genE5ELNS1_11target_archE942ELNS1_3gpuE9ELNS1_3repE0EEENS1_30default_config_static_selectorELNS0_4arch9wavefront6targetE0EEEvSK_: ; @_ZN7rocprim17ROCPRIM_400000_NS6detail17trampoline_kernelINS0_14default_configENS1_22reduce_config_selectorIN6thrust23THRUST_200600_302600_NS5tupleIblNS6_9null_typeES8_S8_S8_S8_S8_S8_S8_EEEEZNS1_11reduce_implILb1ES3_PS9_SC_S9_NS6_11hip_rocprim9__find_if7functorIS9_EEEE10hipError_tPvRmT1_T2_T3_mT4_P12ihipStream_tbEUlT_E1_NS1_11comp_targetILNS1_3genE5ELNS1_11target_archE942ELNS1_3gpuE9ELNS1_3repE0EEENS1_30default_config_static_selectorELNS0_4arch9wavefront6targetE0EEEvSK_
; %bb.0:
	.section	.rodata,"a",@progbits
	.p2align	6, 0x0
	.amdhsa_kernel _ZN7rocprim17ROCPRIM_400000_NS6detail17trampoline_kernelINS0_14default_configENS1_22reduce_config_selectorIN6thrust23THRUST_200600_302600_NS5tupleIblNS6_9null_typeES8_S8_S8_S8_S8_S8_S8_EEEEZNS1_11reduce_implILb1ES3_PS9_SC_S9_NS6_11hip_rocprim9__find_if7functorIS9_EEEE10hipError_tPvRmT1_T2_T3_mT4_P12ihipStream_tbEUlT_E1_NS1_11comp_targetILNS1_3genE5ELNS1_11target_archE942ELNS1_3gpuE9ELNS1_3repE0EEENS1_30default_config_static_selectorELNS0_4arch9wavefront6targetE0EEEvSK_
		.amdhsa_group_segment_fixed_size 0
		.amdhsa_private_segment_fixed_size 0
		.amdhsa_kernarg_size 56
		.amdhsa_user_sgpr_count 2
		.amdhsa_user_sgpr_dispatch_ptr 0
		.amdhsa_user_sgpr_queue_ptr 0
		.amdhsa_user_sgpr_kernarg_segment_ptr 1
		.amdhsa_user_sgpr_dispatch_id 0
		.amdhsa_user_sgpr_kernarg_preload_length 0
		.amdhsa_user_sgpr_kernarg_preload_offset 0
		.amdhsa_user_sgpr_private_segment_size 0
		.amdhsa_wavefront_size32 1
		.amdhsa_uses_dynamic_stack 0
		.amdhsa_enable_private_segment 0
		.amdhsa_system_sgpr_workgroup_id_x 1
		.amdhsa_system_sgpr_workgroup_id_y 0
		.amdhsa_system_sgpr_workgroup_id_z 0
		.amdhsa_system_sgpr_workgroup_info 0
		.amdhsa_system_vgpr_workitem_id 0
		.amdhsa_next_free_vgpr 1
		.amdhsa_next_free_sgpr 1
		.amdhsa_named_barrier_count 0
		.amdhsa_reserve_vcc 0
		.amdhsa_float_round_mode_32 0
		.amdhsa_float_round_mode_16_64 0
		.amdhsa_float_denorm_mode_32 3
		.amdhsa_float_denorm_mode_16_64 3
		.amdhsa_fp16_overflow 0
		.amdhsa_memory_ordered 1
		.amdhsa_forward_progress 1
		.amdhsa_inst_pref_size 0
		.amdhsa_round_robin_scheduling 0
		.amdhsa_exception_fp_ieee_invalid_op 0
		.amdhsa_exception_fp_denorm_src 0
		.amdhsa_exception_fp_ieee_div_zero 0
		.amdhsa_exception_fp_ieee_overflow 0
		.amdhsa_exception_fp_ieee_underflow 0
		.amdhsa_exception_fp_ieee_inexact 0
		.amdhsa_exception_int_div_zero 0
	.end_amdhsa_kernel
	.section	.text._ZN7rocprim17ROCPRIM_400000_NS6detail17trampoline_kernelINS0_14default_configENS1_22reduce_config_selectorIN6thrust23THRUST_200600_302600_NS5tupleIblNS6_9null_typeES8_S8_S8_S8_S8_S8_S8_EEEEZNS1_11reduce_implILb1ES3_PS9_SC_S9_NS6_11hip_rocprim9__find_if7functorIS9_EEEE10hipError_tPvRmT1_T2_T3_mT4_P12ihipStream_tbEUlT_E1_NS1_11comp_targetILNS1_3genE5ELNS1_11target_archE942ELNS1_3gpuE9ELNS1_3repE0EEENS1_30default_config_static_selectorELNS0_4arch9wavefront6targetE0EEEvSK_,"axG",@progbits,_ZN7rocprim17ROCPRIM_400000_NS6detail17trampoline_kernelINS0_14default_configENS1_22reduce_config_selectorIN6thrust23THRUST_200600_302600_NS5tupleIblNS6_9null_typeES8_S8_S8_S8_S8_S8_S8_EEEEZNS1_11reduce_implILb1ES3_PS9_SC_S9_NS6_11hip_rocprim9__find_if7functorIS9_EEEE10hipError_tPvRmT1_T2_T3_mT4_P12ihipStream_tbEUlT_E1_NS1_11comp_targetILNS1_3genE5ELNS1_11target_archE942ELNS1_3gpuE9ELNS1_3repE0EEENS1_30default_config_static_selectorELNS0_4arch9wavefront6targetE0EEEvSK_,comdat
.Lfunc_end29:
	.size	_ZN7rocprim17ROCPRIM_400000_NS6detail17trampoline_kernelINS0_14default_configENS1_22reduce_config_selectorIN6thrust23THRUST_200600_302600_NS5tupleIblNS6_9null_typeES8_S8_S8_S8_S8_S8_S8_EEEEZNS1_11reduce_implILb1ES3_PS9_SC_S9_NS6_11hip_rocprim9__find_if7functorIS9_EEEE10hipError_tPvRmT1_T2_T3_mT4_P12ihipStream_tbEUlT_E1_NS1_11comp_targetILNS1_3genE5ELNS1_11target_archE942ELNS1_3gpuE9ELNS1_3repE0EEENS1_30default_config_static_selectorELNS0_4arch9wavefront6targetE0EEEvSK_, .Lfunc_end29-_ZN7rocprim17ROCPRIM_400000_NS6detail17trampoline_kernelINS0_14default_configENS1_22reduce_config_selectorIN6thrust23THRUST_200600_302600_NS5tupleIblNS6_9null_typeES8_S8_S8_S8_S8_S8_S8_EEEEZNS1_11reduce_implILb1ES3_PS9_SC_S9_NS6_11hip_rocprim9__find_if7functorIS9_EEEE10hipError_tPvRmT1_T2_T3_mT4_P12ihipStream_tbEUlT_E1_NS1_11comp_targetILNS1_3genE5ELNS1_11target_archE942ELNS1_3gpuE9ELNS1_3repE0EEENS1_30default_config_static_selectorELNS0_4arch9wavefront6targetE0EEEvSK_
                                        ; -- End function
	.set _ZN7rocprim17ROCPRIM_400000_NS6detail17trampoline_kernelINS0_14default_configENS1_22reduce_config_selectorIN6thrust23THRUST_200600_302600_NS5tupleIblNS6_9null_typeES8_S8_S8_S8_S8_S8_S8_EEEEZNS1_11reduce_implILb1ES3_PS9_SC_S9_NS6_11hip_rocprim9__find_if7functorIS9_EEEE10hipError_tPvRmT1_T2_T3_mT4_P12ihipStream_tbEUlT_E1_NS1_11comp_targetILNS1_3genE5ELNS1_11target_archE942ELNS1_3gpuE9ELNS1_3repE0EEENS1_30default_config_static_selectorELNS0_4arch9wavefront6targetE0EEEvSK_.num_vgpr, 0
	.set _ZN7rocprim17ROCPRIM_400000_NS6detail17trampoline_kernelINS0_14default_configENS1_22reduce_config_selectorIN6thrust23THRUST_200600_302600_NS5tupleIblNS6_9null_typeES8_S8_S8_S8_S8_S8_S8_EEEEZNS1_11reduce_implILb1ES3_PS9_SC_S9_NS6_11hip_rocprim9__find_if7functorIS9_EEEE10hipError_tPvRmT1_T2_T3_mT4_P12ihipStream_tbEUlT_E1_NS1_11comp_targetILNS1_3genE5ELNS1_11target_archE942ELNS1_3gpuE9ELNS1_3repE0EEENS1_30default_config_static_selectorELNS0_4arch9wavefront6targetE0EEEvSK_.num_agpr, 0
	.set _ZN7rocprim17ROCPRIM_400000_NS6detail17trampoline_kernelINS0_14default_configENS1_22reduce_config_selectorIN6thrust23THRUST_200600_302600_NS5tupleIblNS6_9null_typeES8_S8_S8_S8_S8_S8_S8_EEEEZNS1_11reduce_implILb1ES3_PS9_SC_S9_NS6_11hip_rocprim9__find_if7functorIS9_EEEE10hipError_tPvRmT1_T2_T3_mT4_P12ihipStream_tbEUlT_E1_NS1_11comp_targetILNS1_3genE5ELNS1_11target_archE942ELNS1_3gpuE9ELNS1_3repE0EEENS1_30default_config_static_selectorELNS0_4arch9wavefront6targetE0EEEvSK_.numbered_sgpr, 0
	.set _ZN7rocprim17ROCPRIM_400000_NS6detail17trampoline_kernelINS0_14default_configENS1_22reduce_config_selectorIN6thrust23THRUST_200600_302600_NS5tupleIblNS6_9null_typeES8_S8_S8_S8_S8_S8_S8_EEEEZNS1_11reduce_implILb1ES3_PS9_SC_S9_NS6_11hip_rocprim9__find_if7functorIS9_EEEE10hipError_tPvRmT1_T2_T3_mT4_P12ihipStream_tbEUlT_E1_NS1_11comp_targetILNS1_3genE5ELNS1_11target_archE942ELNS1_3gpuE9ELNS1_3repE0EEENS1_30default_config_static_selectorELNS0_4arch9wavefront6targetE0EEEvSK_.num_named_barrier, 0
	.set _ZN7rocprim17ROCPRIM_400000_NS6detail17trampoline_kernelINS0_14default_configENS1_22reduce_config_selectorIN6thrust23THRUST_200600_302600_NS5tupleIblNS6_9null_typeES8_S8_S8_S8_S8_S8_S8_EEEEZNS1_11reduce_implILb1ES3_PS9_SC_S9_NS6_11hip_rocprim9__find_if7functorIS9_EEEE10hipError_tPvRmT1_T2_T3_mT4_P12ihipStream_tbEUlT_E1_NS1_11comp_targetILNS1_3genE5ELNS1_11target_archE942ELNS1_3gpuE9ELNS1_3repE0EEENS1_30default_config_static_selectorELNS0_4arch9wavefront6targetE0EEEvSK_.private_seg_size, 0
	.set _ZN7rocprim17ROCPRIM_400000_NS6detail17trampoline_kernelINS0_14default_configENS1_22reduce_config_selectorIN6thrust23THRUST_200600_302600_NS5tupleIblNS6_9null_typeES8_S8_S8_S8_S8_S8_S8_EEEEZNS1_11reduce_implILb1ES3_PS9_SC_S9_NS6_11hip_rocprim9__find_if7functorIS9_EEEE10hipError_tPvRmT1_T2_T3_mT4_P12ihipStream_tbEUlT_E1_NS1_11comp_targetILNS1_3genE5ELNS1_11target_archE942ELNS1_3gpuE9ELNS1_3repE0EEENS1_30default_config_static_selectorELNS0_4arch9wavefront6targetE0EEEvSK_.uses_vcc, 0
	.set _ZN7rocprim17ROCPRIM_400000_NS6detail17trampoline_kernelINS0_14default_configENS1_22reduce_config_selectorIN6thrust23THRUST_200600_302600_NS5tupleIblNS6_9null_typeES8_S8_S8_S8_S8_S8_S8_EEEEZNS1_11reduce_implILb1ES3_PS9_SC_S9_NS6_11hip_rocprim9__find_if7functorIS9_EEEE10hipError_tPvRmT1_T2_T3_mT4_P12ihipStream_tbEUlT_E1_NS1_11comp_targetILNS1_3genE5ELNS1_11target_archE942ELNS1_3gpuE9ELNS1_3repE0EEENS1_30default_config_static_selectorELNS0_4arch9wavefront6targetE0EEEvSK_.uses_flat_scratch, 0
	.set _ZN7rocprim17ROCPRIM_400000_NS6detail17trampoline_kernelINS0_14default_configENS1_22reduce_config_selectorIN6thrust23THRUST_200600_302600_NS5tupleIblNS6_9null_typeES8_S8_S8_S8_S8_S8_S8_EEEEZNS1_11reduce_implILb1ES3_PS9_SC_S9_NS6_11hip_rocprim9__find_if7functorIS9_EEEE10hipError_tPvRmT1_T2_T3_mT4_P12ihipStream_tbEUlT_E1_NS1_11comp_targetILNS1_3genE5ELNS1_11target_archE942ELNS1_3gpuE9ELNS1_3repE0EEENS1_30default_config_static_selectorELNS0_4arch9wavefront6targetE0EEEvSK_.has_dyn_sized_stack, 0
	.set _ZN7rocprim17ROCPRIM_400000_NS6detail17trampoline_kernelINS0_14default_configENS1_22reduce_config_selectorIN6thrust23THRUST_200600_302600_NS5tupleIblNS6_9null_typeES8_S8_S8_S8_S8_S8_S8_EEEEZNS1_11reduce_implILb1ES3_PS9_SC_S9_NS6_11hip_rocprim9__find_if7functorIS9_EEEE10hipError_tPvRmT1_T2_T3_mT4_P12ihipStream_tbEUlT_E1_NS1_11comp_targetILNS1_3genE5ELNS1_11target_archE942ELNS1_3gpuE9ELNS1_3repE0EEENS1_30default_config_static_selectorELNS0_4arch9wavefront6targetE0EEEvSK_.has_recursion, 0
	.set _ZN7rocprim17ROCPRIM_400000_NS6detail17trampoline_kernelINS0_14default_configENS1_22reduce_config_selectorIN6thrust23THRUST_200600_302600_NS5tupleIblNS6_9null_typeES8_S8_S8_S8_S8_S8_S8_EEEEZNS1_11reduce_implILb1ES3_PS9_SC_S9_NS6_11hip_rocprim9__find_if7functorIS9_EEEE10hipError_tPvRmT1_T2_T3_mT4_P12ihipStream_tbEUlT_E1_NS1_11comp_targetILNS1_3genE5ELNS1_11target_archE942ELNS1_3gpuE9ELNS1_3repE0EEENS1_30default_config_static_selectorELNS0_4arch9wavefront6targetE0EEEvSK_.has_indirect_call, 0
	.section	.AMDGPU.csdata,"",@progbits
; Kernel info:
; codeLenInByte = 0
; TotalNumSgprs: 0
; NumVgprs: 0
; ScratchSize: 0
; MemoryBound: 0
; FloatMode: 240
; IeeeMode: 1
; LDSByteSize: 0 bytes/workgroup (compile time only)
; SGPRBlocks: 0
; VGPRBlocks: 0
; NumSGPRsForWavesPerEU: 1
; NumVGPRsForWavesPerEU: 1
; NamedBarCnt: 0
; Occupancy: 16
; WaveLimiterHint : 0
; COMPUTE_PGM_RSRC2:SCRATCH_EN: 0
; COMPUTE_PGM_RSRC2:USER_SGPR: 2
; COMPUTE_PGM_RSRC2:TRAP_HANDLER: 0
; COMPUTE_PGM_RSRC2:TGID_X_EN: 1
; COMPUTE_PGM_RSRC2:TGID_Y_EN: 0
; COMPUTE_PGM_RSRC2:TGID_Z_EN: 0
; COMPUTE_PGM_RSRC2:TIDIG_COMP_CNT: 0
	.section	.text._ZN7rocprim17ROCPRIM_400000_NS6detail17trampoline_kernelINS0_14default_configENS1_22reduce_config_selectorIN6thrust23THRUST_200600_302600_NS5tupleIblNS6_9null_typeES8_S8_S8_S8_S8_S8_S8_EEEEZNS1_11reduce_implILb1ES3_PS9_SC_S9_NS6_11hip_rocprim9__find_if7functorIS9_EEEE10hipError_tPvRmT1_T2_T3_mT4_P12ihipStream_tbEUlT_E1_NS1_11comp_targetILNS1_3genE4ELNS1_11target_archE910ELNS1_3gpuE8ELNS1_3repE0EEENS1_30default_config_static_selectorELNS0_4arch9wavefront6targetE0EEEvSK_,"axG",@progbits,_ZN7rocprim17ROCPRIM_400000_NS6detail17trampoline_kernelINS0_14default_configENS1_22reduce_config_selectorIN6thrust23THRUST_200600_302600_NS5tupleIblNS6_9null_typeES8_S8_S8_S8_S8_S8_S8_EEEEZNS1_11reduce_implILb1ES3_PS9_SC_S9_NS6_11hip_rocprim9__find_if7functorIS9_EEEE10hipError_tPvRmT1_T2_T3_mT4_P12ihipStream_tbEUlT_E1_NS1_11comp_targetILNS1_3genE4ELNS1_11target_archE910ELNS1_3gpuE8ELNS1_3repE0EEENS1_30default_config_static_selectorELNS0_4arch9wavefront6targetE0EEEvSK_,comdat
	.protected	_ZN7rocprim17ROCPRIM_400000_NS6detail17trampoline_kernelINS0_14default_configENS1_22reduce_config_selectorIN6thrust23THRUST_200600_302600_NS5tupleIblNS6_9null_typeES8_S8_S8_S8_S8_S8_S8_EEEEZNS1_11reduce_implILb1ES3_PS9_SC_S9_NS6_11hip_rocprim9__find_if7functorIS9_EEEE10hipError_tPvRmT1_T2_T3_mT4_P12ihipStream_tbEUlT_E1_NS1_11comp_targetILNS1_3genE4ELNS1_11target_archE910ELNS1_3gpuE8ELNS1_3repE0EEENS1_30default_config_static_selectorELNS0_4arch9wavefront6targetE0EEEvSK_ ; -- Begin function _ZN7rocprim17ROCPRIM_400000_NS6detail17trampoline_kernelINS0_14default_configENS1_22reduce_config_selectorIN6thrust23THRUST_200600_302600_NS5tupleIblNS6_9null_typeES8_S8_S8_S8_S8_S8_S8_EEEEZNS1_11reduce_implILb1ES3_PS9_SC_S9_NS6_11hip_rocprim9__find_if7functorIS9_EEEE10hipError_tPvRmT1_T2_T3_mT4_P12ihipStream_tbEUlT_E1_NS1_11comp_targetILNS1_3genE4ELNS1_11target_archE910ELNS1_3gpuE8ELNS1_3repE0EEENS1_30default_config_static_selectorELNS0_4arch9wavefront6targetE0EEEvSK_
	.globl	_ZN7rocprim17ROCPRIM_400000_NS6detail17trampoline_kernelINS0_14default_configENS1_22reduce_config_selectorIN6thrust23THRUST_200600_302600_NS5tupleIblNS6_9null_typeES8_S8_S8_S8_S8_S8_S8_EEEEZNS1_11reduce_implILb1ES3_PS9_SC_S9_NS6_11hip_rocprim9__find_if7functorIS9_EEEE10hipError_tPvRmT1_T2_T3_mT4_P12ihipStream_tbEUlT_E1_NS1_11comp_targetILNS1_3genE4ELNS1_11target_archE910ELNS1_3gpuE8ELNS1_3repE0EEENS1_30default_config_static_selectorELNS0_4arch9wavefront6targetE0EEEvSK_
	.p2align	8
	.type	_ZN7rocprim17ROCPRIM_400000_NS6detail17trampoline_kernelINS0_14default_configENS1_22reduce_config_selectorIN6thrust23THRUST_200600_302600_NS5tupleIblNS6_9null_typeES8_S8_S8_S8_S8_S8_S8_EEEEZNS1_11reduce_implILb1ES3_PS9_SC_S9_NS6_11hip_rocprim9__find_if7functorIS9_EEEE10hipError_tPvRmT1_T2_T3_mT4_P12ihipStream_tbEUlT_E1_NS1_11comp_targetILNS1_3genE4ELNS1_11target_archE910ELNS1_3gpuE8ELNS1_3repE0EEENS1_30default_config_static_selectorELNS0_4arch9wavefront6targetE0EEEvSK_,@function
_ZN7rocprim17ROCPRIM_400000_NS6detail17trampoline_kernelINS0_14default_configENS1_22reduce_config_selectorIN6thrust23THRUST_200600_302600_NS5tupleIblNS6_9null_typeES8_S8_S8_S8_S8_S8_S8_EEEEZNS1_11reduce_implILb1ES3_PS9_SC_S9_NS6_11hip_rocprim9__find_if7functorIS9_EEEE10hipError_tPvRmT1_T2_T3_mT4_P12ihipStream_tbEUlT_E1_NS1_11comp_targetILNS1_3genE4ELNS1_11target_archE910ELNS1_3gpuE8ELNS1_3repE0EEENS1_30default_config_static_selectorELNS0_4arch9wavefront6targetE0EEEvSK_: ; @_ZN7rocprim17ROCPRIM_400000_NS6detail17trampoline_kernelINS0_14default_configENS1_22reduce_config_selectorIN6thrust23THRUST_200600_302600_NS5tupleIblNS6_9null_typeES8_S8_S8_S8_S8_S8_S8_EEEEZNS1_11reduce_implILb1ES3_PS9_SC_S9_NS6_11hip_rocprim9__find_if7functorIS9_EEEE10hipError_tPvRmT1_T2_T3_mT4_P12ihipStream_tbEUlT_E1_NS1_11comp_targetILNS1_3genE4ELNS1_11target_archE910ELNS1_3gpuE8ELNS1_3repE0EEENS1_30default_config_static_selectorELNS0_4arch9wavefront6targetE0EEEvSK_
; %bb.0:
	.section	.rodata,"a",@progbits
	.p2align	6, 0x0
	.amdhsa_kernel _ZN7rocprim17ROCPRIM_400000_NS6detail17trampoline_kernelINS0_14default_configENS1_22reduce_config_selectorIN6thrust23THRUST_200600_302600_NS5tupleIblNS6_9null_typeES8_S8_S8_S8_S8_S8_S8_EEEEZNS1_11reduce_implILb1ES3_PS9_SC_S9_NS6_11hip_rocprim9__find_if7functorIS9_EEEE10hipError_tPvRmT1_T2_T3_mT4_P12ihipStream_tbEUlT_E1_NS1_11comp_targetILNS1_3genE4ELNS1_11target_archE910ELNS1_3gpuE8ELNS1_3repE0EEENS1_30default_config_static_selectorELNS0_4arch9wavefront6targetE0EEEvSK_
		.amdhsa_group_segment_fixed_size 0
		.amdhsa_private_segment_fixed_size 0
		.amdhsa_kernarg_size 56
		.amdhsa_user_sgpr_count 2
		.amdhsa_user_sgpr_dispatch_ptr 0
		.amdhsa_user_sgpr_queue_ptr 0
		.amdhsa_user_sgpr_kernarg_segment_ptr 1
		.amdhsa_user_sgpr_dispatch_id 0
		.amdhsa_user_sgpr_kernarg_preload_length 0
		.amdhsa_user_sgpr_kernarg_preload_offset 0
		.amdhsa_user_sgpr_private_segment_size 0
		.amdhsa_wavefront_size32 1
		.amdhsa_uses_dynamic_stack 0
		.amdhsa_enable_private_segment 0
		.amdhsa_system_sgpr_workgroup_id_x 1
		.amdhsa_system_sgpr_workgroup_id_y 0
		.amdhsa_system_sgpr_workgroup_id_z 0
		.amdhsa_system_sgpr_workgroup_info 0
		.amdhsa_system_vgpr_workitem_id 0
		.amdhsa_next_free_vgpr 1
		.amdhsa_next_free_sgpr 1
		.amdhsa_named_barrier_count 0
		.amdhsa_reserve_vcc 0
		.amdhsa_float_round_mode_32 0
		.amdhsa_float_round_mode_16_64 0
		.amdhsa_float_denorm_mode_32 3
		.amdhsa_float_denorm_mode_16_64 3
		.amdhsa_fp16_overflow 0
		.amdhsa_memory_ordered 1
		.amdhsa_forward_progress 1
		.amdhsa_inst_pref_size 0
		.amdhsa_round_robin_scheduling 0
		.amdhsa_exception_fp_ieee_invalid_op 0
		.amdhsa_exception_fp_denorm_src 0
		.amdhsa_exception_fp_ieee_div_zero 0
		.amdhsa_exception_fp_ieee_overflow 0
		.amdhsa_exception_fp_ieee_underflow 0
		.amdhsa_exception_fp_ieee_inexact 0
		.amdhsa_exception_int_div_zero 0
	.end_amdhsa_kernel
	.section	.text._ZN7rocprim17ROCPRIM_400000_NS6detail17trampoline_kernelINS0_14default_configENS1_22reduce_config_selectorIN6thrust23THRUST_200600_302600_NS5tupleIblNS6_9null_typeES8_S8_S8_S8_S8_S8_S8_EEEEZNS1_11reduce_implILb1ES3_PS9_SC_S9_NS6_11hip_rocprim9__find_if7functorIS9_EEEE10hipError_tPvRmT1_T2_T3_mT4_P12ihipStream_tbEUlT_E1_NS1_11comp_targetILNS1_3genE4ELNS1_11target_archE910ELNS1_3gpuE8ELNS1_3repE0EEENS1_30default_config_static_selectorELNS0_4arch9wavefront6targetE0EEEvSK_,"axG",@progbits,_ZN7rocprim17ROCPRIM_400000_NS6detail17trampoline_kernelINS0_14default_configENS1_22reduce_config_selectorIN6thrust23THRUST_200600_302600_NS5tupleIblNS6_9null_typeES8_S8_S8_S8_S8_S8_S8_EEEEZNS1_11reduce_implILb1ES3_PS9_SC_S9_NS6_11hip_rocprim9__find_if7functorIS9_EEEE10hipError_tPvRmT1_T2_T3_mT4_P12ihipStream_tbEUlT_E1_NS1_11comp_targetILNS1_3genE4ELNS1_11target_archE910ELNS1_3gpuE8ELNS1_3repE0EEENS1_30default_config_static_selectorELNS0_4arch9wavefront6targetE0EEEvSK_,comdat
.Lfunc_end30:
	.size	_ZN7rocprim17ROCPRIM_400000_NS6detail17trampoline_kernelINS0_14default_configENS1_22reduce_config_selectorIN6thrust23THRUST_200600_302600_NS5tupleIblNS6_9null_typeES8_S8_S8_S8_S8_S8_S8_EEEEZNS1_11reduce_implILb1ES3_PS9_SC_S9_NS6_11hip_rocprim9__find_if7functorIS9_EEEE10hipError_tPvRmT1_T2_T3_mT4_P12ihipStream_tbEUlT_E1_NS1_11comp_targetILNS1_3genE4ELNS1_11target_archE910ELNS1_3gpuE8ELNS1_3repE0EEENS1_30default_config_static_selectorELNS0_4arch9wavefront6targetE0EEEvSK_, .Lfunc_end30-_ZN7rocprim17ROCPRIM_400000_NS6detail17trampoline_kernelINS0_14default_configENS1_22reduce_config_selectorIN6thrust23THRUST_200600_302600_NS5tupleIblNS6_9null_typeES8_S8_S8_S8_S8_S8_S8_EEEEZNS1_11reduce_implILb1ES3_PS9_SC_S9_NS6_11hip_rocprim9__find_if7functorIS9_EEEE10hipError_tPvRmT1_T2_T3_mT4_P12ihipStream_tbEUlT_E1_NS1_11comp_targetILNS1_3genE4ELNS1_11target_archE910ELNS1_3gpuE8ELNS1_3repE0EEENS1_30default_config_static_selectorELNS0_4arch9wavefront6targetE0EEEvSK_
                                        ; -- End function
	.set _ZN7rocprim17ROCPRIM_400000_NS6detail17trampoline_kernelINS0_14default_configENS1_22reduce_config_selectorIN6thrust23THRUST_200600_302600_NS5tupleIblNS6_9null_typeES8_S8_S8_S8_S8_S8_S8_EEEEZNS1_11reduce_implILb1ES3_PS9_SC_S9_NS6_11hip_rocprim9__find_if7functorIS9_EEEE10hipError_tPvRmT1_T2_T3_mT4_P12ihipStream_tbEUlT_E1_NS1_11comp_targetILNS1_3genE4ELNS1_11target_archE910ELNS1_3gpuE8ELNS1_3repE0EEENS1_30default_config_static_selectorELNS0_4arch9wavefront6targetE0EEEvSK_.num_vgpr, 0
	.set _ZN7rocprim17ROCPRIM_400000_NS6detail17trampoline_kernelINS0_14default_configENS1_22reduce_config_selectorIN6thrust23THRUST_200600_302600_NS5tupleIblNS6_9null_typeES8_S8_S8_S8_S8_S8_S8_EEEEZNS1_11reduce_implILb1ES3_PS9_SC_S9_NS6_11hip_rocprim9__find_if7functorIS9_EEEE10hipError_tPvRmT1_T2_T3_mT4_P12ihipStream_tbEUlT_E1_NS1_11comp_targetILNS1_3genE4ELNS1_11target_archE910ELNS1_3gpuE8ELNS1_3repE0EEENS1_30default_config_static_selectorELNS0_4arch9wavefront6targetE0EEEvSK_.num_agpr, 0
	.set _ZN7rocprim17ROCPRIM_400000_NS6detail17trampoline_kernelINS0_14default_configENS1_22reduce_config_selectorIN6thrust23THRUST_200600_302600_NS5tupleIblNS6_9null_typeES8_S8_S8_S8_S8_S8_S8_EEEEZNS1_11reduce_implILb1ES3_PS9_SC_S9_NS6_11hip_rocprim9__find_if7functorIS9_EEEE10hipError_tPvRmT1_T2_T3_mT4_P12ihipStream_tbEUlT_E1_NS1_11comp_targetILNS1_3genE4ELNS1_11target_archE910ELNS1_3gpuE8ELNS1_3repE0EEENS1_30default_config_static_selectorELNS0_4arch9wavefront6targetE0EEEvSK_.numbered_sgpr, 0
	.set _ZN7rocprim17ROCPRIM_400000_NS6detail17trampoline_kernelINS0_14default_configENS1_22reduce_config_selectorIN6thrust23THRUST_200600_302600_NS5tupleIblNS6_9null_typeES8_S8_S8_S8_S8_S8_S8_EEEEZNS1_11reduce_implILb1ES3_PS9_SC_S9_NS6_11hip_rocprim9__find_if7functorIS9_EEEE10hipError_tPvRmT1_T2_T3_mT4_P12ihipStream_tbEUlT_E1_NS1_11comp_targetILNS1_3genE4ELNS1_11target_archE910ELNS1_3gpuE8ELNS1_3repE0EEENS1_30default_config_static_selectorELNS0_4arch9wavefront6targetE0EEEvSK_.num_named_barrier, 0
	.set _ZN7rocprim17ROCPRIM_400000_NS6detail17trampoline_kernelINS0_14default_configENS1_22reduce_config_selectorIN6thrust23THRUST_200600_302600_NS5tupleIblNS6_9null_typeES8_S8_S8_S8_S8_S8_S8_EEEEZNS1_11reduce_implILb1ES3_PS9_SC_S9_NS6_11hip_rocprim9__find_if7functorIS9_EEEE10hipError_tPvRmT1_T2_T3_mT4_P12ihipStream_tbEUlT_E1_NS1_11comp_targetILNS1_3genE4ELNS1_11target_archE910ELNS1_3gpuE8ELNS1_3repE0EEENS1_30default_config_static_selectorELNS0_4arch9wavefront6targetE0EEEvSK_.private_seg_size, 0
	.set _ZN7rocprim17ROCPRIM_400000_NS6detail17trampoline_kernelINS0_14default_configENS1_22reduce_config_selectorIN6thrust23THRUST_200600_302600_NS5tupleIblNS6_9null_typeES8_S8_S8_S8_S8_S8_S8_EEEEZNS1_11reduce_implILb1ES3_PS9_SC_S9_NS6_11hip_rocprim9__find_if7functorIS9_EEEE10hipError_tPvRmT1_T2_T3_mT4_P12ihipStream_tbEUlT_E1_NS1_11comp_targetILNS1_3genE4ELNS1_11target_archE910ELNS1_3gpuE8ELNS1_3repE0EEENS1_30default_config_static_selectorELNS0_4arch9wavefront6targetE0EEEvSK_.uses_vcc, 0
	.set _ZN7rocprim17ROCPRIM_400000_NS6detail17trampoline_kernelINS0_14default_configENS1_22reduce_config_selectorIN6thrust23THRUST_200600_302600_NS5tupleIblNS6_9null_typeES8_S8_S8_S8_S8_S8_S8_EEEEZNS1_11reduce_implILb1ES3_PS9_SC_S9_NS6_11hip_rocprim9__find_if7functorIS9_EEEE10hipError_tPvRmT1_T2_T3_mT4_P12ihipStream_tbEUlT_E1_NS1_11comp_targetILNS1_3genE4ELNS1_11target_archE910ELNS1_3gpuE8ELNS1_3repE0EEENS1_30default_config_static_selectorELNS0_4arch9wavefront6targetE0EEEvSK_.uses_flat_scratch, 0
	.set _ZN7rocprim17ROCPRIM_400000_NS6detail17trampoline_kernelINS0_14default_configENS1_22reduce_config_selectorIN6thrust23THRUST_200600_302600_NS5tupleIblNS6_9null_typeES8_S8_S8_S8_S8_S8_S8_EEEEZNS1_11reduce_implILb1ES3_PS9_SC_S9_NS6_11hip_rocprim9__find_if7functorIS9_EEEE10hipError_tPvRmT1_T2_T3_mT4_P12ihipStream_tbEUlT_E1_NS1_11comp_targetILNS1_3genE4ELNS1_11target_archE910ELNS1_3gpuE8ELNS1_3repE0EEENS1_30default_config_static_selectorELNS0_4arch9wavefront6targetE0EEEvSK_.has_dyn_sized_stack, 0
	.set _ZN7rocprim17ROCPRIM_400000_NS6detail17trampoline_kernelINS0_14default_configENS1_22reduce_config_selectorIN6thrust23THRUST_200600_302600_NS5tupleIblNS6_9null_typeES8_S8_S8_S8_S8_S8_S8_EEEEZNS1_11reduce_implILb1ES3_PS9_SC_S9_NS6_11hip_rocprim9__find_if7functorIS9_EEEE10hipError_tPvRmT1_T2_T3_mT4_P12ihipStream_tbEUlT_E1_NS1_11comp_targetILNS1_3genE4ELNS1_11target_archE910ELNS1_3gpuE8ELNS1_3repE0EEENS1_30default_config_static_selectorELNS0_4arch9wavefront6targetE0EEEvSK_.has_recursion, 0
	.set _ZN7rocprim17ROCPRIM_400000_NS6detail17trampoline_kernelINS0_14default_configENS1_22reduce_config_selectorIN6thrust23THRUST_200600_302600_NS5tupleIblNS6_9null_typeES8_S8_S8_S8_S8_S8_S8_EEEEZNS1_11reduce_implILb1ES3_PS9_SC_S9_NS6_11hip_rocprim9__find_if7functorIS9_EEEE10hipError_tPvRmT1_T2_T3_mT4_P12ihipStream_tbEUlT_E1_NS1_11comp_targetILNS1_3genE4ELNS1_11target_archE910ELNS1_3gpuE8ELNS1_3repE0EEENS1_30default_config_static_selectorELNS0_4arch9wavefront6targetE0EEEvSK_.has_indirect_call, 0
	.section	.AMDGPU.csdata,"",@progbits
; Kernel info:
; codeLenInByte = 0
; TotalNumSgprs: 0
; NumVgprs: 0
; ScratchSize: 0
; MemoryBound: 0
; FloatMode: 240
; IeeeMode: 1
; LDSByteSize: 0 bytes/workgroup (compile time only)
; SGPRBlocks: 0
; VGPRBlocks: 0
; NumSGPRsForWavesPerEU: 1
; NumVGPRsForWavesPerEU: 1
; NamedBarCnt: 0
; Occupancy: 16
; WaveLimiterHint : 0
; COMPUTE_PGM_RSRC2:SCRATCH_EN: 0
; COMPUTE_PGM_RSRC2:USER_SGPR: 2
; COMPUTE_PGM_RSRC2:TRAP_HANDLER: 0
; COMPUTE_PGM_RSRC2:TGID_X_EN: 1
; COMPUTE_PGM_RSRC2:TGID_Y_EN: 0
; COMPUTE_PGM_RSRC2:TGID_Z_EN: 0
; COMPUTE_PGM_RSRC2:TIDIG_COMP_CNT: 0
	.section	.text._ZN7rocprim17ROCPRIM_400000_NS6detail17trampoline_kernelINS0_14default_configENS1_22reduce_config_selectorIN6thrust23THRUST_200600_302600_NS5tupleIblNS6_9null_typeES8_S8_S8_S8_S8_S8_S8_EEEEZNS1_11reduce_implILb1ES3_PS9_SC_S9_NS6_11hip_rocprim9__find_if7functorIS9_EEEE10hipError_tPvRmT1_T2_T3_mT4_P12ihipStream_tbEUlT_E1_NS1_11comp_targetILNS1_3genE3ELNS1_11target_archE908ELNS1_3gpuE7ELNS1_3repE0EEENS1_30default_config_static_selectorELNS0_4arch9wavefront6targetE0EEEvSK_,"axG",@progbits,_ZN7rocprim17ROCPRIM_400000_NS6detail17trampoline_kernelINS0_14default_configENS1_22reduce_config_selectorIN6thrust23THRUST_200600_302600_NS5tupleIblNS6_9null_typeES8_S8_S8_S8_S8_S8_S8_EEEEZNS1_11reduce_implILb1ES3_PS9_SC_S9_NS6_11hip_rocprim9__find_if7functorIS9_EEEE10hipError_tPvRmT1_T2_T3_mT4_P12ihipStream_tbEUlT_E1_NS1_11comp_targetILNS1_3genE3ELNS1_11target_archE908ELNS1_3gpuE7ELNS1_3repE0EEENS1_30default_config_static_selectorELNS0_4arch9wavefront6targetE0EEEvSK_,comdat
	.protected	_ZN7rocprim17ROCPRIM_400000_NS6detail17trampoline_kernelINS0_14default_configENS1_22reduce_config_selectorIN6thrust23THRUST_200600_302600_NS5tupleIblNS6_9null_typeES8_S8_S8_S8_S8_S8_S8_EEEEZNS1_11reduce_implILb1ES3_PS9_SC_S9_NS6_11hip_rocprim9__find_if7functorIS9_EEEE10hipError_tPvRmT1_T2_T3_mT4_P12ihipStream_tbEUlT_E1_NS1_11comp_targetILNS1_3genE3ELNS1_11target_archE908ELNS1_3gpuE7ELNS1_3repE0EEENS1_30default_config_static_selectorELNS0_4arch9wavefront6targetE0EEEvSK_ ; -- Begin function _ZN7rocprim17ROCPRIM_400000_NS6detail17trampoline_kernelINS0_14default_configENS1_22reduce_config_selectorIN6thrust23THRUST_200600_302600_NS5tupleIblNS6_9null_typeES8_S8_S8_S8_S8_S8_S8_EEEEZNS1_11reduce_implILb1ES3_PS9_SC_S9_NS6_11hip_rocprim9__find_if7functorIS9_EEEE10hipError_tPvRmT1_T2_T3_mT4_P12ihipStream_tbEUlT_E1_NS1_11comp_targetILNS1_3genE3ELNS1_11target_archE908ELNS1_3gpuE7ELNS1_3repE0EEENS1_30default_config_static_selectorELNS0_4arch9wavefront6targetE0EEEvSK_
	.globl	_ZN7rocprim17ROCPRIM_400000_NS6detail17trampoline_kernelINS0_14default_configENS1_22reduce_config_selectorIN6thrust23THRUST_200600_302600_NS5tupleIblNS6_9null_typeES8_S8_S8_S8_S8_S8_S8_EEEEZNS1_11reduce_implILb1ES3_PS9_SC_S9_NS6_11hip_rocprim9__find_if7functorIS9_EEEE10hipError_tPvRmT1_T2_T3_mT4_P12ihipStream_tbEUlT_E1_NS1_11comp_targetILNS1_3genE3ELNS1_11target_archE908ELNS1_3gpuE7ELNS1_3repE0EEENS1_30default_config_static_selectorELNS0_4arch9wavefront6targetE0EEEvSK_
	.p2align	8
	.type	_ZN7rocprim17ROCPRIM_400000_NS6detail17trampoline_kernelINS0_14default_configENS1_22reduce_config_selectorIN6thrust23THRUST_200600_302600_NS5tupleIblNS6_9null_typeES8_S8_S8_S8_S8_S8_S8_EEEEZNS1_11reduce_implILb1ES3_PS9_SC_S9_NS6_11hip_rocprim9__find_if7functorIS9_EEEE10hipError_tPvRmT1_T2_T3_mT4_P12ihipStream_tbEUlT_E1_NS1_11comp_targetILNS1_3genE3ELNS1_11target_archE908ELNS1_3gpuE7ELNS1_3repE0EEENS1_30default_config_static_selectorELNS0_4arch9wavefront6targetE0EEEvSK_,@function
_ZN7rocprim17ROCPRIM_400000_NS6detail17trampoline_kernelINS0_14default_configENS1_22reduce_config_selectorIN6thrust23THRUST_200600_302600_NS5tupleIblNS6_9null_typeES8_S8_S8_S8_S8_S8_S8_EEEEZNS1_11reduce_implILb1ES3_PS9_SC_S9_NS6_11hip_rocprim9__find_if7functorIS9_EEEE10hipError_tPvRmT1_T2_T3_mT4_P12ihipStream_tbEUlT_E1_NS1_11comp_targetILNS1_3genE3ELNS1_11target_archE908ELNS1_3gpuE7ELNS1_3repE0EEENS1_30default_config_static_selectorELNS0_4arch9wavefront6targetE0EEEvSK_: ; @_ZN7rocprim17ROCPRIM_400000_NS6detail17trampoline_kernelINS0_14default_configENS1_22reduce_config_selectorIN6thrust23THRUST_200600_302600_NS5tupleIblNS6_9null_typeES8_S8_S8_S8_S8_S8_S8_EEEEZNS1_11reduce_implILb1ES3_PS9_SC_S9_NS6_11hip_rocprim9__find_if7functorIS9_EEEE10hipError_tPvRmT1_T2_T3_mT4_P12ihipStream_tbEUlT_E1_NS1_11comp_targetILNS1_3genE3ELNS1_11target_archE908ELNS1_3gpuE7ELNS1_3repE0EEENS1_30default_config_static_selectorELNS0_4arch9wavefront6targetE0EEEvSK_
; %bb.0:
	.section	.rodata,"a",@progbits
	.p2align	6, 0x0
	.amdhsa_kernel _ZN7rocprim17ROCPRIM_400000_NS6detail17trampoline_kernelINS0_14default_configENS1_22reduce_config_selectorIN6thrust23THRUST_200600_302600_NS5tupleIblNS6_9null_typeES8_S8_S8_S8_S8_S8_S8_EEEEZNS1_11reduce_implILb1ES3_PS9_SC_S9_NS6_11hip_rocprim9__find_if7functorIS9_EEEE10hipError_tPvRmT1_T2_T3_mT4_P12ihipStream_tbEUlT_E1_NS1_11comp_targetILNS1_3genE3ELNS1_11target_archE908ELNS1_3gpuE7ELNS1_3repE0EEENS1_30default_config_static_selectorELNS0_4arch9wavefront6targetE0EEEvSK_
		.amdhsa_group_segment_fixed_size 0
		.amdhsa_private_segment_fixed_size 0
		.amdhsa_kernarg_size 56
		.amdhsa_user_sgpr_count 2
		.amdhsa_user_sgpr_dispatch_ptr 0
		.amdhsa_user_sgpr_queue_ptr 0
		.amdhsa_user_sgpr_kernarg_segment_ptr 1
		.amdhsa_user_sgpr_dispatch_id 0
		.amdhsa_user_sgpr_kernarg_preload_length 0
		.amdhsa_user_sgpr_kernarg_preload_offset 0
		.amdhsa_user_sgpr_private_segment_size 0
		.amdhsa_wavefront_size32 1
		.amdhsa_uses_dynamic_stack 0
		.amdhsa_enable_private_segment 0
		.amdhsa_system_sgpr_workgroup_id_x 1
		.amdhsa_system_sgpr_workgroup_id_y 0
		.amdhsa_system_sgpr_workgroup_id_z 0
		.amdhsa_system_sgpr_workgroup_info 0
		.amdhsa_system_vgpr_workitem_id 0
		.amdhsa_next_free_vgpr 1
		.amdhsa_next_free_sgpr 1
		.amdhsa_named_barrier_count 0
		.amdhsa_reserve_vcc 0
		.amdhsa_float_round_mode_32 0
		.amdhsa_float_round_mode_16_64 0
		.amdhsa_float_denorm_mode_32 3
		.amdhsa_float_denorm_mode_16_64 3
		.amdhsa_fp16_overflow 0
		.amdhsa_memory_ordered 1
		.amdhsa_forward_progress 1
		.amdhsa_inst_pref_size 0
		.amdhsa_round_robin_scheduling 0
		.amdhsa_exception_fp_ieee_invalid_op 0
		.amdhsa_exception_fp_denorm_src 0
		.amdhsa_exception_fp_ieee_div_zero 0
		.amdhsa_exception_fp_ieee_overflow 0
		.amdhsa_exception_fp_ieee_underflow 0
		.amdhsa_exception_fp_ieee_inexact 0
		.amdhsa_exception_int_div_zero 0
	.end_amdhsa_kernel
	.section	.text._ZN7rocprim17ROCPRIM_400000_NS6detail17trampoline_kernelINS0_14default_configENS1_22reduce_config_selectorIN6thrust23THRUST_200600_302600_NS5tupleIblNS6_9null_typeES8_S8_S8_S8_S8_S8_S8_EEEEZNS1_11reduce_implILb1ES3_PS9_SC_S9_NS6_11hip_rocprim9__find_if7functorIS9_EEEE10hipError_tPvRmT1_T2_T3_mT4_P12ihipStream_tbEUlT_E1_NS1_11comp_targetILNS1_3genE3ELNS1_11target_archE908ELNS1_3gpuE7ELNS1_3repE0EEENS1_30default_config_static_selectorELNS0_4arch9wavefront6targetE0EEEvSK_,"axG",@progbits,_ZN7rocprim17ROCPRIM_400000_NS6detail17trampoline_kernelINS0_14default_configENS1_22reduce_config_selectorIN6thrust23THRUST_200600_302600_NS5tupleIblNS6_9null_typeES8_S8_S8_S8_S8_S8_S8_EEEEZNS1_11reduce_implILb1ES3_PS9_SC_S9_NS6_11hip_rocprim9__find_if7functorIS9_EEEE10hipError_tPvRmT1_T2_T3_mT4_P12ihipStream_tbEUlT_E1_NS1_11comp_targetILNS1_3genE3ELNS1_11target_archE908ELNS1_3gpuE7ELNS1_3repE0EEENS1_30default_config_static_selectorELNS0_4arch9wavefront6targetE0EEEvSK_,comdat
.Lfunc_end31:
	.size	_ZN7rocprim17ROCPRIM_400000_NS6detail17trampoline_kernelINS0_14default_configENS1_22reduce_config_selectorIN6thrust23THRUST_200600_302600_NS5tupleIblNS6_9null_typeES8_S8_S8_S8_S8_S8_S8_EEEEZNS1_11reduce_implILb1ES3_PS9_SC_S9_NS6_11hip_rocprim9__find_if7functorIS9_EEEE10hipError_tPvRmT1_T2_T3_mT4_P12ihipStream_tbEUlT_E1_NS1_11comp_targetILNS1_3genE3ELNS1_11target_archE908ELNS1_3gpuE7ELNS1_3repE0EEENS1_30default_config_static_selectorELNS0_4arch9wavefront6targetE0EEEvSK_, .Lfunc_end31-_ZN7rocprim17ROCPRIM_400000_NS6detail17trampoline_kernelINS0_14default_configENS1_22reduce_config_selectorIN6thrust23THRUST_200600_302600_NS5tupleIblNS6_9null_typeES8_S8_S8_S8_S8_S8_S8_EEEEZNS1_11reduce_implILb1ES3_PS9_SC_S9_NS6_11hip_rocprim9__find_if7functorIS9_EEEE10hipError_tPvRmT1_T2_T3_mT4_P12ihipStream_tbEUlT_E1_NS1_11comp_targetILNS1_3genE3ELNS1_11target_archE908ELNS1_3gpuE7ELNS1_3repE0EEENS1_30default_config_static_selectorELNS0_4arch9wavefront6targetE0EEEvSK_
                                        ; -- End function
	.set _ZN7rocprim17ROCPRIM_400000_NS6detail17trampoline_kernelINS0_14default_configENS1_22reduce_config_selectorIN6thrust23THRUST_200600_302600_NS5tupleIblNS6_9null_typeES8_S8_S8_S8_S8_S8_S8_EEEEZNS1_11reduce_implILb1ES3_PS9_SC_S9_NS6_11hip_rocprim9__find_if7functorIS9_EEEE10hipError_tPvRmT1_T2_T3_mT4_P12ihipStream_tbEUlT_E1_NS1_11comp_targetILNS1_3genE3ELNS1_11target_archE908ELNS1_3gpuE7ELNS1_3repE0EEENS1_30default_config_static_selectorELNS0_4arch9wavefront6targetE0EEEvSK_.num_vgpr, 0
	.set _ZN7rocprim17ROCPRIM_400000_NS6detail17trampoline_kernelINS0_14default_configENS1_22reduce_config_selectorIN6thrust23THRUST_200600_302600_NS5tupleIblNS6_9null_typeES8_S8_S8_S8_S8_S8_S8_EEEEZNS1_11reduce_implILb1ES3_PS9_SC_S9_NS6_11hip_rocprim9__find_if7functorIS9_EEEE10hipError_tPvRmT1_T2_T3_mT4_P12ihipStream_tbEUlT_E1_NS1_11comp_targetILNS1_3genE3ELNS1_11target_archE908ELNS1_3gpuE7ELNS1_3repE0EEENS1_30default_config_static_selectorELNS0_4arch9wavefront6targetE0EEEvSK_.num_agpr, 0
	.set _ZN7rocprim17ROCPRIM_400000_NS6detail17trampoline_kernelINS0_14default_configENS1_22reduce_config_selectorIN6thrust23THRUST_200600_302600_NS5tupleIblNS6_9null_typeES8_S8_S8_S8_S8_S8_S8_EEEEZNS1_11reduce_implILb1ES3_PS9_SC_S9_NS6_11hip_rocprim9__find_if7functorIS9_EEEE10hipError_tPvRmT1_T2_T3_mT4_P12ihipStream_tbEUlT_E1_NS1_11comp_targetILNS1_3genE3ELNS1_11target_archE908ELNS1_3gpuE7ELNS1_3repE0EEENS1_30default_config_static_selectorELNS0_4arch9wavefront6targetE0EEEvSK_.numbered_sgpr, 0
	.set _ZN7rocprim17ROCPRIM_400000_NS6detail17trampoline_kernelINS0_14default_configENS1_22reduce_config_selectorIN6thrust23THRUST_200600_302600_NS5tupleIblNS6_9null_typeES8_S8_S8_S8_S8_S8_S8_EEEEZNS1_11reduce_implILb1ES3_PS9_SC_S9_NS6_11hip_rocprim9__find_if7functorIS9_EEEE10hipError_tPvRmT1_T2_T3_mT4_P12ihipStream_tbEUlT_E1_NS1_11comp_targetILNS1_3genE3ELNS1_11target_archE908ELNS1_3gpuE7ELNS1_3repE0EEENS1_30default_config_static_selectorELNS0_4arch9wavefront6targetE0EEEvSK_.num_named_barrier, 0
	.set _ZN7rocprim17ROCPRIM_400000_NS6detail17trampoline_kernelINS0_14default_configENS1_22reduce_config_selectorIN6thrust23THRUST_200600_302600_NS5tupleIblNS6_9null_typeES8_S8_S8_S8_S8_S8_S8_EEEEZNS1_11reduce_implILb1ES3_PS9_SC_S9_NS6_11hip_rocprim9__find_if7functorIS9_EEEE10hipError_tPvRmT1_T2_T3_mT4_P12ihipStream_tbEUlT_E1_NS1_11comp_targetILNS1_3genE3ELNS1_11target_archE908ELNS1_3gpuE7ELNS1_3repE0EEENS1_30default_config_static_selectorELNS0_4arch9wavefront6targetE0EEEvSK_.private_seg_size, 0
	.set _ZN7rocprim17ROCPRIM_400000_NS6detail17trampoline_kernelINS0_14default_configENS1_22reduce_config_selectorIN6thrust23THRUST_200600_302600_NS5tupleIblNS6_9null_typeES8_S8_S8_S8_S8_S8_S8_EEEEZNS1_11reduce_implILb1ES3_PS9_SC_S9_NS6_11hip_rocprim9__find_if7functorIS9_EEEE10hipError_tPvRmT1_T2_T3_mT4_P12ihipStream_tbEUlT_E1_NS1_11comp_targetILNS1_3genE3ELNS1_11target_archE908ELNS1_3gpuE7ELNS1_3repE0EEENS1_30default_config_static_selectorELNS0_4arch9wavefront6targetE0EEEvSK_.uses_vcc, 0
	.set _ZN7rocprim17ROCPRIM_400000_NS6detail17trampoline_kernelINS0_14default_configENS1_22reduce_config_selectorIN6thrust23THRUST_200600_302600_NS5tupleIblNS6_9null_typeES8_S8_S8_S8_S8_S8_S8_EEEEZNS1_11reduce_implILb1ES3_PS9_SC_S9_NS6_11hip_rocprim9__find_if7functorIS9_EEEE10hipError_tPvRmT1_T2_T3_mT4_P12ihipStream_tbEUlT_E1_NS1_11comp_targetILNS1_3genE3ELNS1_11target_archE908ELNS1_3gpuE7ELNS1_3repE0EEENS1_30default_config_static_selectorELNS0_4arch9wavefront6targetE0EEEvSK_.uses_flat_scratch, 0
	.set _ZN7rocprim17ROCPRIM_400000_NS6detail17trampoline_kernelINS0_14default_configENS1_22reduce_config_selectorIN6thrust23THRUST_200600_302600_NS5tupleIblNS6_9null_typeES8_S8_S8_S8_S8_S8_S8_EEEEZNS1_11reduce_implILb1ES3_PS9_SC_S9_NS6_11hip_rocprim9__find_if7functorIS9_EEEE10hipError_tPvRmT1_T2_T3_mT4_P12ihipStream_tbEUlT_E1_NS1_11comp_targetILNS1_3genE3ELNS1_11target_archE908ELNS1_3gpuE7ELNS1_3repE0EEENS1_30default_config_static_selectorELNS0_4arch9wavefront6targetE0EEEvSK_.has_dyn_sized_stack, 0
	.set _ZN7rocprim17ROCPRIM_400000_NS6detail17trampoline_kernelINS0_14default_configENS1_22reduce_config_selectorIN6thrust23THRUST_200600_302600_NS5tupleIblNS6_9null_typeES8_S8_S8_S8_S8_S8_S8_EEEEZNS1_11reduce_implILb1ES3_PS9_SC_S9_NS6_11hip_rocprim9__find_if7functorIS9_EEEE10hipError_tPvRmT1_T2_T3_mT4_P12ihipStream_tbEUlT_E1_NS1_11comp_targetILNS1_3genE3ELNS1_11target_archE908ELNS1_3gpuE7ELNS1_3repE0EEENS1_30default_config_static_selectorELNS0_4arch9wavefront6targetE0EEEvSK_.has_recursion, 0
	.set _ZN7rocprim17ROCPRIM_400000_NS6detail17trampoline_kernelINS0_14default_configENS1_22reduce_config_selectorIN6thrust23THRUST_200600_302600_NS5tupleIblNS6_9null_typeES8_S8_S8_S8_S8_S8_S8_EEEEZNS1_11reduce_implILb1ES3_PS9_SC_S9_NS6_11hip_rocprim9__find_if7functorIS9_EEEE10hipError_tPvRmT1_T2_T3_mT4_P12ihipStream_tbEUlT_E1_NS1_11comp_targetILNS1_3genE3ELNS1_11target_archE908ELNS1_3gpuE7ELNS1_3repE0EEENS1_30default_config_static_selectorELNS0_4arch9wavefront6targetE0EEEvSK_.has_indirect_call, 0
	.section	.AMDGPU.csdata,"",@progbits
; Kernel info:
; codeLenInByte = 0
; TotalNumSgprs: 0
; NumVgprs: 0
; ScratchSize: 0
; MemoryBound: 0
; FloatMode: 240
; IeeeMode: 1
; LDSByteSize: 0 bytes/workgroup (compile time only)
; SGPRBlocks: 0
; VGPRBlocks: 0
; NumSGPRsForWavesPerEU: 1
; NumVGPRsForWavesPerEU: 1
; NamedBarCnt: 0
; Occupancy: 16
; WaveLimiterHint : 0
; COMPUTE_PGM_RSRC2:SCRATCH_EN: 0
; COMPUTE_PGM_RSRC2:USER_SGPR: 2
; COMPUTE_PGM_RSRC2:TRAP_HANDLER: 0
; COMPUTE_PGM_RSRC2:TGID_X_EN: 1
; COMPUTE_PGM_RSRC2:TGID_Y_EN: 0
; COMPUTE_PGM_RSRC2:TGID_Z_EN: 0
; COMPUTE_PGM_RSRC2:TIDIG_COMP_CNT: 0
	.section	.text._ZN7rocprim17ROCPRIM_400000_NS6detail17trampoline_kernelINS0_14default_configENS1_22reduce_config_selectorIN6thrust23THRUST_200600_302600_NS5tupleIblNS6_9null_typeES8_S8_S8_S8_S8_S8_S8_EEEEZNS1_11reduce_implILb1ES3_PS9_SC_S9_NS6_11hip_rocprim9__find_if7functorIS9_EEEE10hipError_tPvRmT1_T2_T3_mT4_P12ihipStream_tbEUlT_E1_NS1_11comp_targetILNS1_3genE2ELNS1_11target_archE906ELNS1_3gpuE6ELNS1_3repE0EEENS1_30default_config_static_selectorELNS0_4arch9wavefront6targetE0EEEvSK_,"axG",@progbits,_ZN7rocprim17ROCPRIM_400000_NS6detail17trampoline_kernelINS0_14default_configENS1_22reduce_config_selectorIN6thrust23THRUST_200600_302600_NS5tupleIblNS6_9null_typeES8_S8_S8_S8_S8_S8_S8_EEEEZNS1_11reduce_implILb1ES3_PS9_SC_S9_NS6_11hip_rocprim9__find_if7functorIS9_EEEE10hipError_tPvRmT1_T2_T3_mT4_P12ihipStream_tbEUlT_E1_NS1_11comp_targetILNS1_3genE2ELNS1_11target_archE906ELNS1_3gpuE6ELNS1_3repE0EEENS1_30default_config_static_selectorELNS0_4arch9wavefront6targetE0EEEvSK_,comdat
	.protected	_ZN7rocprim17ROCPRIM_400000_NS6detail17trampoline_kernelINS0_14default_configENS1_22reduce_config_selectorIN6thrust23THRUST_200600_302600_NS5tupleIblNS6_9null_typeES8_S8_S8_S8_S8_S8_S8_EEEEZNS1_11reduce_implILb1ES3_PS9_SC_S9_NS6_11hip_rocprim9__find_if7functorIS9_EEEE10hipError_tPvRmT1_T2_T3_mT4_P12ihipStream_tbEUlT_E1_NS1_11comp_targetILNS1_3genE2ELNS1_11target_archE906ELNS1_3gpuE6ELNS1_3repE0EEENS1_30default_config_static_selectorELNS0_4arch9wavefront6targetE0EEEvSK_ ; -- Begin function _ZN7rocprim17ROCPRIM_400000_NS6detail17trampoline_kernelINS0_14default_configENS1_22reduce_config_selectorIN6thrust23THRUST_200600_302600_NS5tupleIblNS6_9null_typeES8_S8_S8_S8_S8_S8_S8_EEEEZNS1_11reduce_implILb1ES3_PS9_SC_S9_NS6_11hip_rocprim9__find_if7functorIS9_EEEE10hipError_tPvRmT1_T2_T3_mT4_P12ihipStream_tbEUlT_E1_NS1_11comp_targetILNS1_3genE2ELNS1_11target_archE906ELNS1_3gpuE6ELNS1_3repE0EEENS1_30default_config_static_selectorELNS0_4arch9wavefront6targetE0EEEvSK_
	.globl	_ZN7rocprim17ROCPRIM_400000_NS6detail17trampoline_kernelINS0_14default_configENS1_22reduce_config_selectorIN6thrust23THRUST_200600_302600_NS5tupleIblNS6_9null_typeES8_S8_S8_S8_S8_S8_S8_EEEEZNS1_11reduce_implILb1ES3_PS9_SC_S9_NS6_11hip_rocprim9__find_if7functorIS9_EEEE10hipError_tPvRmT1_T2_T3_mT4_P12ihipStream_tbEUlT_E1_NS1_11comp_targetILNS1_3genE2ELNS1_11target_archE906ELNS1_3gpuE6ELNS1_3repE0EEENS1_30default_config_static_selectorELNS0_4arch9wavefront6targetE0EEEvSK_
	.p2align	8
	.type	_ZN7rocprim17ROCPRIM_400000_NS6detail17trampoline_kernelINS0_14default_configENS1_22reduce_config_selectorIN6thrust23THRUST_200600_302600_NS5tupleIblNS6_9null_typeES8_S8_S8_S8_S8_S8_S8_EEEEZNS1_11reduce_implILb1ES3_PS9_SC_S9_NS6_11hip_rocprim9__find_if7functorIS9_EEEE10hipError_tPvRmT1_T2_T3_mT4_P12ihipStream_tbEUlT_E1_NS1_11comp_targetILNS1_3genE2ELNS1_11target_archE906ELNS1_3gpuE6ELNS1_3repE0EEENS1_30default_config_static_selectorELNS0_4arch9wavefront6targetE0EEEvSK_,@function
_ZN7rocprim17ROCPRIM_400000_NS6detail17trampoline_kernelINS0_14default_configENS1_22reduce_config_selectorIN6thrust23THRUST_200600_302600_NS5tupleIblNS6_9null_typeES8_S8_S8_S8_S8_S8_S8_EEEEZNS1_11reduce_implILb1ES3_PS9_SC_S9_NS6_11hip_rocprim9__find_if7functorIS9_EEEE10hipError_tPvRmT1_T2_T3_mT4_P12ihipStream_tbEUlT_E1_NS1_11comp_targetILNS1_3genE2ELNS1_11target_archE906ELNS1_3gpuE6ELNS1_3repE0EEENS1_30default_config_static_selectorELNS0_4arch9wavefront6targetE0EEEvSK_: ; @_ZN7rocprim17ROCPRIM_400000_NS6detail17trampoline_kernelINS0_14default_configENS1_22reduce_config_selectorIN6thrust23THRUST_200600_302600_NS5tupleIblNS6_9null_typeES8_S8_S8_S8_S8_S8_S8_EEEEZNS1_11reduce_implILb1ES3_PS9_SC_S9_NS6_11hip_rocprim9__find_if7functorIS9_EEEE10hipError_tPvRmT1_T2_T3_mT4_P12ihipStream_tbEUlT_E1_NS1_11comp_targetILNS1_3genE2ELNS1_11target_archE906ELNS1_3gpuE6ELNS1_3repE0EEENS1_30default_config_static_selectorELNS0_4arch9wavefront6targetE0EEEvSK_
; %bb.0:
	.section	.rodata,"a",@progbits
	.p2align	6, 0x0
	.amdhsa_kernel _ZN7rocprim17ROCPRIM_400000_NS6detail17trampoline_kernelINS0_14default_configENS1_22reduce_config_selectorIN6thrust23THRUST_200600_302600_NS5tupleIblNS6_9null_typeES8_S8_S8_S8_S8_S8_S8_EEEEZNS1_11reduce_implILb1ES3_PS9_SC_S9_NS6_11hip_rocprim9__find_if7functorIS9_EEEE10hipError_tPvRmT1_T2_T3_mT4_P12ihipStream_tbEUlT_E1_NS1_11comp_targetILNS1_3genE2ELNS1_11target_archE906ELNS1_3gpuE6ELNS1_3repE0EEENS1_30default_config_static_selectorELNS0_4arch9wavefront6targetE0EEEvSK_
		.amdhsa_group_segment_fixed_size 0
		.amdhsa_private_segment_fixed_size 0
		.amdhsa_kernarg_size 56
		.amdhsa_user_sgpr_count 2
		.amdhsa_user_sgpr_dispatch_ptr 0
		.amdhsa_user_sgpr_queue_ptr 0
		.amdhsa_user_sgpr_kernarg_segment_ptr 1
		.amdhsa_user_sgpr_dispatch_id 0
		.amdhsa_user_sgpr_kernarg_preload_length 0
		.amdhsa_user_sgpr_kernarg_preload_offset 0
		.amdhsa_user_sgpr_private_segment_size 0
		.amdhsa_wavefront_size32 1
		.amdhsa_uses_dynamic_stack 0
		.amdhsa_enable_private_segment 0
		.amdhsa_system_sgpr_workgroup_id_x 1
		.amdhsa_system_sgpr_workgroup_id_y 0
		.amdhsa_system_sgpr_workgroup_id_z 0
		.amdhsa_system_sgpr_workgroup_info 0
		.amdhsa_system_vgpr_workitem_id 0
		.amdhsa_next_free_vgpr 1
		.amdhsa_next_free_sgpr 1
		.amdhsa_named_barrier_count 0
		.amdhsa_reserve_vcc 0
		.amdhsa_float_round_mode_32 0
		.amdhsa_float_round_mode_16_64 0
		.amdhsa_float_denorm_mode_32 3
		.amdhsa_float_denorm_mode_16_64 3
		.amdhsa_fp16_overflow 0
		.amdhsa_memory_ordered 1
		.amdhsa_forward_progress 1
		.amdhsa_inst_pref_size 0
		.amdhsa_round_robin_scheduling 0
		.amdhsa_exception_fp_ieee_invalid_op 0
		.amdhsa_exception_fp_denorm_src 0
		.amdhsa_exception_fp_ieee_div_zero 0
		.amdhsa_exception_fp_ieee_overflow 0
		.amdhsa_exception_fp_ieee_underflow 0
		.amdhsa_exception_fp_ieee_inexact 0
		.amdhsa_exception_int_div_zero 0
	.end_amdhsa_kernel
	.section	.text._ZN7rocprim17ROCPRIM_400000_NS6detail17trampoline_kernelINS0_14default_configENS1_22reduce_config_selectorIN6thrust23THRUST_200600_302600_NS5tupleIblNS6_9null_typeES8_S8_S8_S8_S8_S8_S8_EEEEZNS1_11reduce_implILb1ES3_PS9_SC_S9_NS6_11hip_rocprim9__find_if7functorIS9_EEEE10hipError_tPvRmT1_T2_T3_mT4_P12ihipStream_tbEUlT_E1_NS1_11comp_targetILNS1_3genE2ELNS1_11target_archE906ELNS1_3gpuE6ELNS1_3repE0EEENS1_30default_config_static_selectorELNS0_4arch9wavefront6targetE0EEEvSK_,"axG",@progbits,_ZN7rocprim17ROCPRIM_400000_NS6detail17trampoline_kernelINS0_14default_configENS1_22reduce_config_selectorIN6thrust23THRUST_200600_302600_NS5tupleIblNS6_9null_typeES8_S8_S8_S8_S8_S8_S8_EEEEZNS1_11reduce_implILb1ES3_PS9_SC_S9_NS6_11hip_rocprim9__find_if7functorIS9_EEEE10hipError_tPvRmT1_T2_T3_mT4_P12ihipStream_tbEUlT_E1_NS1_11comp_targetILNS1_3genE2ELNS1_11target_archE906ELNS1_3gpuE6ELNS1_3repE0EEENS1_30default_config_static_selectorELNS0_4arch9wavefront6targetE0EEEvSK_,comdat
.Lfunc_end32:
	.size	_ZN7rocprim17ROCPRIM_400000_NS6detail17trampoline_kernelINS0_14default_configENS1_22reduce_config_selectorIN6thrust23THRUST_200600_302600_NS5tupleIblNS6_9null_typeES8_S8_S8_S8_S8_S8_S8_EEEEZNS1_11reduce_implILb1ES3_PS9_SC_S9_NS6_11hip_rocprim9__find_if7functorIS9_EEEE10hipError_tPvRmT1_T2_T3_mT4_P12ihipStream_tbEUlT_E1_NS1_11comp_targetILNS1_3genE2ELNS1_11target_archE906ELNS1_3gpuE6ELNS1_3repE0EEENS1_30default_config_static_selectorELNS0_4arch9wavefront6targetE0EEEvSK_, .Lfunc_end32-_ZN7rocprim17ROCPRIM_400000_NS6detail17trampoline_kernelINS0_14default_configENS1_22reduce_config_selectorIN6thrust23THRUST_200600_302600_NS5tupleIblNS6_9null_typeES8_S8_S8_S8_S8_S8_S8_EEEEZNS1_11reduce_implILb1ES3_PS9_SC_S9_NS6_11hip_rocprim9__find_if7functorIS9_EEEE10hipError_tPvRmT1_T2_T3_mT4_P12ihipStream_tbEUlT_E1_NS1_11comp_targetILNS1_3genE2ELNS1_11target_archE906ELNS1_3gpuE6ELNS1_3repE0EEENS1_30default_config_static_selectorELNS0_4arch9wavefront6targetE0EEEvSK_
                                        ; -- End function
	.set _ZN7rocprim17ROCPRIM_400000_NS6detail17trampoline_kernelINS0_14default_configENS1_22reduce_config_selectorIN6thrust23THRUST_200600_302600_NS5tupleIblNS6_9null_typeES8_S8_S8_S8_S8_S8_S8_EEEEZNS1_11reduce_implILb1ES3_PS9_SC_S9_NS6_11hip_rocprim9__find_if7functorIS9_EEEE10hipError_tPvRmT1_T2_T3_mT4_P12ihipStream_tbEUlT_E1_NS1_11comp_targetILNS1_3genE2ELNS1_11target_archE906ELNS1_3gpuE6ELNS1_3repE0EEENS1_30default_config_static_selectorELNS0_4arch9wavefront6targetE0EEEvSK_.num_vgpr, 0
	.set _ZN7rocprim17ROCPRIM_400000_NS6detail17trampoline_kernelINS0_14default_configENS1_22reduce_config_selectorIN6thrust23THRUST_200600_302600_NS5tupleIblNS6_9null_typeES8_S8_S8_S8_S8_S8_S8_EEEEZNS1_11reduce_implILb1ES3_PS9_SC_S9_NS6_11hip_rocprim9__find_if7functorIS9_EEEE10hipError_tPvRmT1_T2_T3_mT4_P12ihipStream_tbEUlT_E1_NS1_11comp_targetILNS1_3genE2ELNS1_11target_archE906ELNS1_3gpuE6ELNS1_3repE0EEENS1_30default_config_static_selectorELNS0_4arch9wavefront6targetE0EEEvSK_.num_agpr, 0
	.set _ZN7rocprim17ROCPRIM_400000_NS6detail17trampoline_kernelINS0_14default_configENS1_22reduce_config_selectorIN6thrust23THRUST_200600_302600_NS5tupleIblNS6_9null_typeES8_S8_S8_S8_S8_S8_S8_EEEEZNS1_11reduce_implILb1ES3_PS9_SC_S9_NS6_11hip_rocprim9__find_if7functorIS9_EEEE10hipError_tPvRmT1_T2_T3_mT4_P12ihipStream_tbEUlT_E1_NS1_11comp_targetILNS1_3genE2ELNS1_11target_archE906ELNS1_3gpuE6ELNS1_3repE0EEENS1_30default_config_static_selectorELNS0_4arch9wavefront6targetE0EEEvSK_.numbered_sgpr, 0
	.set _ZN7rocprim17ROCPRIM_400000_NS6detail17trampoline_kernelINS0_14default_configENS1_22reduce_config_selectorIN6thrust23THRUST_200600_302600_NS5tupleIblNS6_9null_typeES8_S8_S8_S8_S8_S8_S8_EEEEZNS1_11reduce_implILb1ES3_PS9_SC_S9_NS6_11hip_rocprim9__find_if7functorIS9_EEEE10hipError_tPvRmT1_T2_T3_mT4_P12ihipStream_tbEUlT_E1_NS1_11comp_targetILNS1_3genE2ELNS1_11target_archE906ELNS1_3gpuE6ELNS1_3repE0EEENS1_30default_config_static_selectorELNS0_4arch9wavefront6targetE0EEEvSK_.num_named_barrier, 0
	.set _ZN7rocprim17ROCPRIM_400000_NS6detail17trampoline_kernelINS0_14default_configENS1_22reduce_config_selectorIN6thrust23THRUST_200600_302600_NS5tupleIblNS6_9null_typeES8_S8_S8_S8_S8_S8_S8_EEEEZNS1_11reduce_implILb1ES3_PS9_SC_S9_NS6_11hip_rocprim9__find_if7functorIS9_EEEE10hipError_tPvRmT1_T2_T3_mT4_P12ihipStream_tbEUlT_E1_NS1_11comp_targetILNS1_3genE2ELNS1_11target_archE906ELNS1_3gpuE6ELNS1_3repE0EEENS1_30default_config_static_selectorELNS0_4arch9wavefront6targetE0EEEvSK_.private_seg_size, 0
	.set _ZN7rocprim17ROCPRIM_400000_NS6detail17trampoline_kernelINS0_14default_configENS1_22reduce_config_selectorIN6thrust23THRUST_200600_302600_NS5tupleIblNS6_9null_typeES8_S8_S8_S8_S8_S8_S8_EEEEZNS1_11reduce_implILb1ES3_PS9_SC_S9_NS6_11hip_rocprim9__find_if7functorIS9_EEEE10hipError_tPvRmT1_T2_T3_mT4_P12ihipStream_tbEUlT_E1_NS1_11comp_targetILNS1_3genE2ELNS1_11target_archE906ELNS1_3gpuE6ELNS1_3repE0EEENS1_30default_config_static_selectorELNS0_4arch9wavefront6targetE0EEEvSK_.uses_vcc, 0
	.set _ZN7rocprim17ROCPRIM_400000_NS6detail17trampoline_kernelINS0_14default_configENS1_22reduce_config_selectorIN6thrust23THRUST_200600_302600_NS5tupleIblNS6_9null_typeES8_S8_S8_S8_S8_S8_S8_EEEEZNS1_11reduce_implILb1ES3_PS9_SC_S9_NS6_11hip_rocprim9__find_if7functorIS9_EEEE10hipError_tPvRmT1_T2_T3_mT4_P12ihipStream_tbEUlT_E1_NS1_11comp_targetILNS1_3genE2ELNS1_11target_archE906ELNS1_3gpuE6ELNS1_3repE0EEENS1_30default_config_static_selectorELNS0_4arch9wavefront6targetE0EEEvSK_.uses_flat_scratch, 0
	.set _ZN7rocprim17ROCPRIM_400000_NS6detail17trampoline_kernelINS0_14default_configENS1_22reduce_config_selectorIN6thrust23THRUST_200600_302600_NS5tupleIblNS6_9null_typeES8_S8_S8_S8_S8_S8_S8_EEEEZNS1_11reduce_implILb1ES3_PS9_SC_S9_NS6_11hip_rocprim9__find_if7functorIS9_EEEE10hipError_tPvRmT1_T2_T3_mT4_P12ihipStream_tbEUlT_E1_NS1_11comp_targetILNS1_3genE2ELNS1_11target_archE906ELNS1_3gpuE6ELNS1_3repE0EEENS1_30default_config_static_selectorELNS0_4arch9wavefront6targetE0EEEvSK_.has_dyn_sized_stack, 0
	.set _ZN7rocprim17ROCPRIM_400000_NS6detail17trampoline_kernelINS0_14default_configENS1_22reduce_config_selectorIN6thrust23THRUST_200600_302600_NS5tupleIblNS6_9null_typeES8_S8_S8_S8_S8_S8_S8_EEEEZNS1_11reduce_implILb1ES3_PS9_SC_S9_NS6_11hip_rocprim9__find_if7functorIS9_EEEE10hipError_tPvRmT1_T2_T3_mT4_P12ihipStream_tbEUlT_E1_NS1_11comp_targetILNS1_3genE2ELNS1_11target_archE906ELNS1_3gpuE6ELNS1_3repE0EEENS1_30default_config_static_selectorELNS0_4arch9wavefront6targetE0EEEvSK_.has_recursion, 0
	.set _ZN7rocprim17ROCPRIM_400000_NS6detail17trampoline_kernelINS0_14default_configENS1_22reduce_config_selectorIN6thrust23THRUST_200600_302600_NS5tupleIblNS6_9null_typeES8_S8_S8_S8_S8_S8_S8_EEEEZNS1_11reduce_implILb1ES3_PS9_SC_S9_NS6_11hip_rocprim9__find_if7functorIS9_EEEE10hipError_tPvRmT1_T2_T3_mT4_P12ihipStream_tbEUlT_E1_NS1_11comp_targetILNS1_3genE2ELNS1_11target_archE906ELNS1_3gpuE6ELNS1_3repE0EEENS1_30default_config_static_selectorELNS0_4arch9wavefront6targetE0EEEvSK_.has_indirect_call, 0
	.section	.AMDGPU.csdata,"",@progbits
; Kernel info:
; codeLenInByte = 0
; TotalNumSgprs: 0
; NumVgprs: 0
; ScratchSize: 0
; MemoryBound: 0
; FloatMode: 240
; IeeeMode: 1
; LDSByteSize: 0 bytes/workgroup (compile time only)
; SGPRBlocks: 0
; VGPRBlocks: 0
; NumSGPRsForWavesPerEU: 1
; NumVGPRsForWavesPerEU: 1
; NamedBarCnt: 0
; Occupancy: 16
; WaveLimiterHint : 0
; COMPUTE_PGM_RSRC2:SCRATCH_EN: 0
; COMPUTE_PGM_RSRC2:USER_SGPR: 2
; COMPUTE_PGM_RSRC2:TRAP_HANDLER: 0
; COMPUTE_PGM_RSRC2:TGID_X_EN: 1
; COMPUTE_PGM_RSRC2:TGID_Y_EN: 0
; COMPUTE_PGM_RSRC2:TGID_Z_EN: 0
; COMPUTE_PGM_RSRC2:TIDIG_COMP_CNT: 0
	.section	.text._ZN7rocprim17ROCPRIM_400000_NS6detail17trampoline_kernelINS0_14default_configENS1_22reduce_config_selectorIN6thrust23THRUST_200600_302600_NS5tupleIblNS6_9null_typeES8_S8_S8_S8_S8_S8_S8_EEEEZNS1_11reduce_implILb1ES3_PS9_SC_S9_NS6_11hip_rocprim9__find_if7functorIS9_EEEE10hipError_tPvRmT1_T2_T3_mT4_P12ihipStream_tbEUlT_E1_NS1_11comp_targetILNS1_3genE10ELNS1_11target_archE1201ELNS1_3gpuE5ELNS1_3repE0EEENS1_30default_config_static_selectorELNS0_4arch9wavefront6targetE0EEEvSK_,"axG",@progbits,_ZN7rocprim17ROCPRIM_400000_NS6detail17trampoline_kernelINS0_14default_configENS1_22reduce_config_selectorIN6thrust23THRUST_200600_302600_NS5tupleIblNS6_9null_typeES8_S8_S8_S8_S8_S8_S8_EEEEZNS1_11reduce_implILb1ES3_PS9_SC_S9_NS6_11hip_rocprim9__find_if7functorIS9_EEEE10hipError_tPvRmT1_T2_T3_mT4_P12ihipStream_tbEUlT_E1_NS1_11comp_targetILNS1_3genE10ELNS1_11target_archE1201ELNS1_3gpuE5ELNS1_3repE0EEENS1_30default_config_static_selectorELNS0_4arch9wavefront6targetE0EEEvSK_,comdat
	.protected	_ZN7rocprim17ROCPRIM_400000_NS6detail17trampoline_kernelINS0_14default_configENS1_22reduce_config_selectorIN6thrust23THRUST_200600_302600_NS5tupleIblNS6_9null_typeES8_S8_S8_S8_S8_S8_S8_EEEEZNS1_11reduce_implILb1ES3_PS9_SC_S9_NS6_11hip_rocprim9__find_if7functorIS9_EEEE10hipError_tPvRmT1_T2_T3_mT4_P12ihipStream_tbEUlT_E1_NS1_11comp_targetILNS1_3genE10ELNS1_11target_archE1201ELNS1_3gpuE5ELNS1_3repE0EEENS1_30default_config_static_selectorELNS0_4arch9wavefront6targetE0EEEvSK_ ; -- Begin function _ZN7rocprim17ROCPRIM_400000_NS6detail17trampoline_kernelINS0_14default_configENS1_22reduce_config_selectorIN6thrust23THRUST_200600_302600_NS5tupleIblNS6_9null_typeES8_S8_S8_S8_S8_S8_S8_EEEEZNS1_11reduce_implILb1ES3_PS9_SC_S9_NS6_11hip_rocprim9__find_if7functorIS9_EEEE10hipError_tPvRmT1_T2_T3_mT4_P12ihipStream_tbEUlT_E1_NS1_11comp_targetILNS1_3genE10ELNS1_11target_archE1201ELNS1_3gpuE5ELNS1_3repE0EEENS1_30default_config_static_selectorELNS0_4arch9wavefront6targetE0EEEvSK_
	.globl	_ZN7rocprim17ROCPRIM_400000_NS6detail17trampoline_kernelINS0_14default_configENS1_22reduce_config_selectorIN6thrust23THRUST_200600_302600_NS5tupleIblNS6_9null_typeES8_S8_S8_S8_S8_S8_S8_EEEEZNS1_11reduce_implILb1ES3_PS9_SC_S9_NS6_11hip_rocprim9__find_if7functorIS9_EEEE10hipError_tPvRmT1_T2_T3_mT4_P12ihipStream_tbEUlT_E1_NS1_11comp_targetILNS1_3genE10ELNS1_11target_archE1201ELNS1_3gpuE5ELNS1_3repE0EEENS1_30default_config_static_selectorELNS0_4arch9wavefront6targetE0EEEvSK_
	.p2align	8
	.type	_ZN7rocprim17ROCPRIM_400000_NS6detail17trampoline_kernelINS0_14default_configENS1_22reduce_config_selectorIN6thrust23THRUST_200600_302600_NS5tupleIblNS6_9null_typeES8_S8_S8_S8_S8_S8_S8_EEEEZNS1_11reduce_implILb1ES3_PS9_SC_S9_NS6_11hip_rocprim9__find_if7functorIS9_EEEE10hipError_tPvRmT1_T2_T3_mT4_P12ihipStream_tbEUlT_E1_NS1_11comp_targetILNS1_3genE10ELNS1_11target_archE1201ELNS1_3gpuE5ELNS1_3repE0EEENS1_30default_config_static_selectorELNS0_4arch9wavefront6targetE0EEEvSK_,@function
_ZN7rocprim17ROCPRIM_400000_NS6detail17trampoline_kernelINS0_14default_configENS1_22reduce_config_selectorIN6thrust23THRUST_200600_302600_NS5tupleIblNS6_9null_typeES8_S8_S8_S8_S8_S8_S8_EEEEZNS1_11reduce_implILb1ES3_PS9_SC_S9_NS6_11hip_rocprim9__find_if7functorIS9_EEEE10hipError_tPvRmT1_T2_T3_mT4_P12ihipStream_tbEUlT_E1_NS1_11comp_targetILNS1_3genE10ELNS1_11target_archE1201ELNS1_3gpuE5ELNS1_3repE0EEENS1_30default_config_static_selectorELNS0_4arch9wavefront6targetE0EEEvSK_: ; @_ZN7rocprim17ROCPRIM_400000_NS6detail17trampoline_kernelINS0_14default_configENS1_22reduce_config_selectorIN6thrust23THRUST_200600_302600_NS5tupleIblNS6_9null_typeES8_S8_S8_S8_S8_S8_S8_EEEEZNS1_11reduce_implILb1ES3_PS9_SC_S9_NS6_11hip_rocprim9__find_if7functorIS9_EEEE10hipError_tPvRmT1_T2_T3_mT4_P12ihipStream_tbEUlT_E1_NS1_11comp_targetILNS1_3genE10ELNS1_11target_archE1201ELNS1_3gpuE5ELNS1_3repE0EEENS1_30default_config_static_selectorELNS0_4arch9wavefront6targetE0EEEvSK_
; %bb.0:
	.section	.rodata,"a",@progbits
	.p2align	6, 0x0
	.amdhsa_kernel _ZN7rocprim17ROCPRIM_400000_NS6detail17trampoline_kernelINS0_14default_configENS1_22reduce_config_selectorIN6thrust23THRUST_200600_302600_NS5tupleIblNS6_9null_typeES8_S8_S8_S8_S8_S8_S8_EEEEZNS1_11reduce_implILb1ES3_PS9_SC_S9_NS6_11hip_rocprim9__find_if7functorIS9_EEEE10hipError_tPvRmT1_T2_T3_mT4_P12ihipStream_tbEUlT_E1_NS1_11comp_targetILNS1_3genE10ELNS1_11target_archE1201ELNS1_3gpuE5ELNS1_3repE0EEENS1_30default_config_static_selectorELNS0_4arch9wavefront6targetE0EEEvSK_
		.amdhsa_group_segment_fixed_size 0
		.amdhsa_private_segment_fixed_size 0
		.amdhsa_kernarg_size 56
		.amdhsa_user_sgpr_count 2
		.amdhsa_user_sgpr_dispatch_ptr 0
		.amdhsa_user_sgpr_queue_ptr 0
		.amdhsa_user_sgpr_kernarg_segment_ptr 1
		.amdhsa_user_sgpr_dispatch_id 0
		.amdhsa_user_sgpr_kernarg_preload_length 0
		.amdhsa_user_sgpr_kernarg_preload_offset 0
		.amdhsa_user_sgpr_private_segment_size 0
		.amdhsa_wavefront_size32 1
		.amdhsa_uses_dynamic_stack 0
		.amdhsa_enable_private_segment 0
		.amdhsa_system_sgpr_workgroup_id_x 1
		.amdhsa_system_sgpr_workgroup_id_y 0
		.amdhsa_system_sgpr_workgroup_id_z 0
		.amdhsa_system_sgpr_workgroup_info 0
		.amdhsa_system_vgpr_workitem_id 0
		.amdhsa_next_free_vgpr 1
		.amdhsa_next_free_sgpr 1
		.amdhsa_named_barrier_count 0
		.amdhsa_reserve_vcc 0
		.amdhsa_float_round_mode_32 0
		.amdhsa_float_round_mode_16_64 0
		.amdhsa_float_denorm_mode_32 3
		.amdhsa_float_denorm_mode_16_64 3
		.amdhsa_fp16_overflow 0
		.amdhsa_memory_ordered 1
		.amdhsa_forward_progress 1
		.amdhsa_inst_pref_size 0
		.amdhsa_round_robin_scheduling 0
		.amdhsa_exception_fp_ieee_invalid_op 0
		.amdhsa_exception_fp_denorm_src 0
		.amdhsa_exception_fp_ieee_div_zero 0
		.amdhsa_exception_fp_ieee_overflow 0
		.amdhsa_exception_fp_ieee_underflow 0
		.amdhsa_exception_fp_ieee_inexact 0
		.amdhsa_exception_int_div_zero 0
	.end_amdhsa_kernel
	.section	.text._ZN7rocprim17ROCPRIM_400000_NS6detail17trampoline_kernelINS0_14default_configENS1_22reduce_config_selectorIN6thrust23THRUST_200600_302600_NS5tupleIblNS6_9null_typeES8_S8_S8_S8_S8_S8_S8_EEEEZNS1_11reduce_implILb1ES3_PS9_SC_S9_NS6_11hip_rocprim9__find_if7functorIS9_EEEE10hipError_tPvRmT1_T2_T3_mT4_P12ihipStream_tbEUlT_E1_NS1_11comp_targetILNS1_3genE10ELNS1_11target_archE1201ELNS1_3gpuE5ELNS1_3repE0EEENS1_30default_config_static_selectorELNS0_4arch9wavefront6targetE0EEEvSK_,"axG",@progbits,_ZN7rocprim17ROCPRIM_400000_NS6detail17trampoline_kernelINS0_14default_configENS1_22reduce_config_selectorIN6thrust23THRUST_200600_302600_NS5tupleIblNS6_9null_typeES8_S8_S8_S8_S8_S8_S8_EEEEZNS1_11reduce_implILb1ES3_PS9_SC_S9_NS6_11hip_rocprim9__find_if7functorIS9_EEEE10hipError_tPvRmT1_T2_T3_mT4_P12ihipStream_tbEUlT_E1_NS1_11comp_targetILNS1_3genE10ELNS1_11target_archE1201ELNS1_3gpuE5ELNS1_3repE0EEENS1_30default_config_static_selectorELNS0_4arch9wavefront6targetE0EEEvSK_,comdat
.Lfunc_end33:
	.size	_ZN7rocprim17ROCPRIM_400000_NS6detail17trampoline_kernelINS0_14default_configENS1_22reduce_config_selectorIN6thrust23THRUST_200600_302600_NS5tupleIblNS6_9null_typeES8_S8_S8_S8_S8_S8_S8_EEEEZNS1_11reduce_implILb1ES3_PS9_SC_S9_NS6_11hip_rocprim9__find_if7functorIS9_EEEE10hipError_tPvRmT1_T2_T3_mT4_P12ihipStream_tbEUlT_E1_NS1_11comp_targetILNS1_3genE10ELNS1_11target_archE1201ELNS1_3gpuE5ELNS1_3repE0EEENS1_30default_config_static_selectorELNS0_4arch9wavefront6targetE0EEEvSK_, .Lfunc_end33-_ZN7rocprim17ROCPRIM_400000_NS6detail17trampoline_kernelINS0_14default_configENS1_22reduce_config_selectorIN6thrust23THRUST_200600_302600_NS5tupleIblNS6_9null_typeES8_S8_S8_S8_S8_S8_S8_EEEEZNS1_11reduce_implILb1ES3_PS9_SC_S9_NS6_11hip_rocprim9__find_if7functorIS9_EEEE10hipError_tPvRmT1_T2_T3_mT4_P12ihipStream_tbEUlT_E1_NS1_11comp_targetILNS1_3genE10ELNS1_11target_archE1201ELNS1_3gpuE5ELNS1_3repE0EEENS1_30default_config_static_selectorELNS0_4arch9wavefront6targetE0EEEvSK_
                                        ; -- End function
	.set _ZN7rocprim17ROCPRIM_400000_NS6detail17trampoline_kernelINS0_14default_configENS1_22reduce_config_selectorIN6thrust23THRUST_200600_302600_NS5tupleIblNS6_9null_typeES8_S8_S8_S8_S8_S8_S8_EEEEZNS1_11reduce_implILb1ES3_PS9_SC_S9_NS6_11hip_rocprim9__find_if7functorIS9_EEEE10hipError_tPvRmT1_T2_T3_mT4_P12ihipStream_tbEUlT_E1_NS1_11comp_targetILNS1_3genE10ELNS1_11target_archE1201ELNS1_3gpuE5ELNS1_3repE0EEENS1_30default_config_static_selectorELNS0_4arch9wavefront6targetE0EEEvSK_.num_vgpr, 0
	.set _ZN7rocprim17ROCPRIM_400000_NS6detail17trampoline_kernelINS0_14default_configENS1_22reduce_config_selectorIN6thrust23THRUST_200600_302600_NS5tupleIblNS6_9null_typeES8_S8_S8_S8_S8_S8_S8_EEEEZNS1_11reduce_implILb1ES3_PS9_SC_S9_NS6_11hip_rocprim9__find_if7functorIS9_EEEE10hipError_tPvRmT1_T2_T3_mT4_P12ihipStream_tbEUlT_E1_NS1_11comp_targetILNS1_3genE10ELNS1_11target_archE1201ELNS1_3gpuE5ELNS1_3repE0EEENS1_30default_config_static_selectorELNS0_4arch9wavefront6targetE0EEEvSK_.num_agpr, 0
	.set _ZN7rocprim17ROCPRIM_400000_NS6detail17trampoline_kernelINS0_14default_configENS1_22reduce_config_selectorIN6thrust23THRUST_200600_302600_NS5tupleIblNS6_9null_typeES8_S8_S8_S8_S8_S8_S8_EEEEZNS1_11reduce_implILb1ES3_PS9_SC_S9_NS6_11hip_rocprim9__find_if7functorIS9_EEEE10hipError_tPvRmT1_T2_T3_mT4_P12ihipStream_tbEUlT_E1_NS1_11comp_targetILNS1_3genE10ELNS1_11target_archE1201ELNS1_3gpuE5ELNS1_3repE0EEENS1_30default_config_static_selectorELNS0_4arch9wavefront6targetE0EEEvSK_.numbered_sgpr, 0
	.set _ZN7rocprim17ROCPRIM_400000_NS6detail17trampoline_kernelINS0_14default_configENS1_22reduce_config_selectorIN6thrust23THRUST_200600_302600_NS5tupleIblNS6_9null_typeES8_S8_S8_S8_S8_S8_S8_EEEEZNS1_11reduce_implILb1ES3_PS9_SC_S9_NS6_11hip_rocprim9__find_if7functorIS9_EEEE10hipError_tPvRmT1_T2_T3_mT4_P12ihipStream_tbEUlT_E1_NS1_11comp_targetILNS1_3genE10ELNS1_11target_archE1201ELNS1_3gpuE5ELNS1_3repE0EEENS1_30default_config_static_selectorELNS0_4arch9wavefront6targetE0EEEvSK_.num_named_barrier, 0
	.set _ZN7rocprim17ROCPRIM_400000_NS6detail17trampoline_kernelINS0_14default_configENS1_22reduce_config_selectorIN6thrust23THRUST_200600_302600_NS5tupleIblNS6_9null_typeES8_S8_S8_S8_S8_S8_S8_EEEEZNS1_11reduce_implILb1ES3_PS9_SC_S9_NS6_11hip_rocprim9__find_if7functorIS9_EEEE10hipError_tPvRmT1_T2_T3_mT4_P12ihipStream_tbEUlT_E1_NS1_11comp_targetILNS1_3genE10ELNS1_11target_archE1201ELNS1_3gpuE5ELNS1_3repE0EEENS1_30default_config_static_selectorELNS0_4arch9wavefront6targetE0EEEvSK_.private_seg_size, 0
	.set _ZN7rocprim17ROCPRIM_400000_NS6detail17trampoline_kernelINS0_14default_configENS1_22reduce_config_selectorIN6thrust23THRUST_200600_302600_NS5tupleIblNS6_9null_typeES8_S8_S8_S8_S8_S8_S8_EEEEZNS1_11reduce_implILb1ES3_PS9_SC_S9_NS6_11hip_rocprim9__find_if7functorIS9_EEEE10hipError_tPvRmT1_T2_T3_mT4_P12ihipStream_tbEUlT_E1_NS1_11comp_targetILNS1_3genE10ELNS1_11target_archE1201ELNS1_3gpuE5ELNS1_3repE0EEENS1_30default_config_static_selectorELNS0_4arch9wavefront6targetE0EEEvSK_.uses_vcc, 0
	.set _ZN7rocprim17ROCPRIM_400000_NS6detail17trampoline_kernelINS0_14default_configENS1_22reduce_config_selectorIN6thrust23THRUST_200600_302600_NS5tupleIblNS6_9null_typeES8_S8_S8_S8_S8_S8_S8_EEEEZNS1_11reduce_implILb1ES3_PS9_SC_S9_NS6_11hip_rocprim9__find_if7functorIS9_EEEE10hipError_tPvRmT1_T2_T3_mT4_P12ihipStream_tbEUlT_E1_NS1_11comp_targetILNS1_3genE10ELNS1_11target_archE1201ELNS1_3gpuE5ELNS1_3repE0EEENS1_30default_config_static_selectorELNS0_4arch9wavefront6targetE0EEEvSK_.uses_flat_scratch, 0
	.set _ZN7rocprim17ROCPRIM_400000_NS6detail17trampoline_kernelINS0_14default_configENS1_22reduce_config_selectorIN6thrust23THRUST_200600_302600_NS5tupleIblNS6_9null_typeES8_S8_S8_S8_S8_S8_S8_EEEEZNS1_11reduce_implILb1ES3_PS9_SC_S9_NS6_11hip_rocprim9__find_if7functorIS9_EEEE10hipError_tPvRmT1_T2_T3_mT4_P12ihipStream_tbEUlT_E1_NS1_11comp_targetILNS1_3genE10ELNS1_11target_archE1201ELNS1_3gpuE5ELNS1_3repE0EEENS1_30default_config_static_selectorELNS0_4arch9wavefront6targetE0EEEvSK_.has_dyn_sized_stack, 0
	.set _ZN7rocprim17ROCPRIM_400000_NS6detail17trampoline_kernelINS0_14default_configENS1_22reduce_config_selectorIN6thrust23THRUST_200600_302600_NS5tupleIblNS6_9null_typeES8_S8_S8_S8_S8_S8_S8_EEEEZNS1_11reduce_implILb1ES3_PS9_SC_S9_NS6_11hip_rocprim9__find_if7functorIS9_EEEE10hipError_tPvRmT1_T2_T3_mT4_P12ihipStream_tbEUlT_E1_NS1_11comp_targetILNS1_3genE10ELNS1_11target_archE1201ELNS1_3gpuE5ELNS1_3repE0EEENS1_30default_config_static_selectorELNS0_4arch9wavefront6targetE0EEEvSK_.has_recursion, 0
	.set _ZN7rocprim17ROCPRIM_400000_NS6detail17trampoline_kernelINS0_14default_configENS1_22reduce_config_selectorIN6thrust23THRUST_200600_302600_NS5tupleIblNS6_9null_typeES8_S8_S8_S8_S8_S8_S8_EEEEZNS1_11reduce_implILb1ES3_PS9_SC_S9_NS6_11hip_rocprim9__find_if7functorIS9_EEEE10hipError_tPvRmT1_T2_T3_mT4_P12ihipStream_tbEUlT_E1_NS1_11comp_targetILNS1_3genE10ELNS1_11target_archE1201ELNS1_3gpuE5ELNS1_3repE0EEENS1_30default_config_static_selectorELNS0_4arch9wavefront6targetE0EEEvSK_.has_indirect_call, 0
	.section	.AMDGPU.csdata,"",@progbits
; Kernel info:
; codeLenInByte = 0
; TotalNumSgprs: 0
; NumVgprs: 0
; ScratchSize: 0
; MemoryBound: 0
; FloatMode: 240
; IeeeMode: 1
; LDSByteSize: 0 bytes/workgroup (compile time only)
; SGPRBlocks: 0
; VGPRBlocks: 0
; NumSGPRsForWavesPerEU: 1
; NumVGPRsForWavesPerEU: 1
; NamedBarCnt: 0
; Occupancy: 16
; WaveLimiterHint : 0
; COMPUTE_PGM_RSRC2:SCRATCH_EN: 0
; COMPUTE_PGM_RSRC2:USER_SGPR: 2
; COMPUTE_PGM_RSRC2:TRAP_HANDLER: 0
; COMPUTE_PGM_RSRC2:TGID_X_EN: 1
; COMPUTE_PGM_RSRC2:TGID_Y_EN: 0
; COMPUTE_PGM_RSRC2:TGID_Z_EN: 0
; COMPUTE_PGM_RSRC2:TIDIG_COMP_CNT: 0
	.section	.text._ZN7rocprim17ROCPRIM_400000_NS6detail17trampoline_kernelINS0_14default_configENS1_22reduce_config_selectorIN6thrust23THRUST_200600_302600_NS5tupleIblNS6_9null_typeES8_S8_S8_S8_S8_S8_S8_EEEEZNS1_11reduce_implILb1ES3_PS9_SC_S9_NS6_11hip_rocprim9__find_if7functorIS9_EEEE10hipError_tPvRmT1_T2_T3_mT4_P12ihipStream_tbEUlT_E1_NS1_11comp_targetILNS1_3genE10ELNS1_11target_archE1200ELNS1_3gpuE4ELNS1_3repE0EEENS1_30default_config_static_selectorELNS0_4arch9wavefront6targetE0EEEvSK_,"axG",@progbits,_ZN7rocprim17ROCPRIM_400000_NS6detail17trampoline_kernelINS0_14default_configENS1_22reduce_config_selectorIN6thrust23THRUST_200600_302600_NS5tupleIblNS6_9null_typeES8_S8_S8_S8_S8_S8_S8_EEEEZNS1_11reduce_implILb1ES3_PS9_SC_S9_NS6_11hip_rocprim9__find_if7functorIS9_EEEE10hipError_tPvRmT1_T2_T3_mT4_P12ihipStream_tbEUlT_E1_NS1_11comp_targetILNS1_3genE10ELNS1_11target_archE1200ELNS1_3gpuE4ELNS1_3repE0EEENS1_30default_config_static_selectorELNS0_4arch9wavefront6targetE0EEEvSK_,comdat
	.protected	_ZN7rocprim17ROCPRIM_400000_NS6detail17trampoline_kernelINS0_14default_configENS1_22reduce_config_selectorIN6thrust23THRUST_200600_302600_NS5tupleIblNS6_9null_typeES8_S8_S8_S8_S8_S8_S8_EEEEZNS1_11reduce_implILb1ES3_PS9_SC_S9_NS6_11hip_rocprim9__find_if7functorIS9_EEEE10hipError_tPvRmT1_T2_T3_mT4_P12ihipStream_tbEUlT_E1_NS1_11comp_targetILNS1_3genE10ELNS1_11target_archE1200ELNS1_3gpuE4ELNS1_3repE0EEENS1_30default_config_static_selectorELNS0_4arch9wavefront6targetE0EEEvSK_ ; -- Begin function _ZN7rocprim17ROCPRIM_400000_NS6detail17trampoline_kernelINS0_14default_configENS1_22reduce_config_selectorIN6thrust23THRUST_200600_302600_NS5tupleIblNS6_9null_typeES8_S8_S8_S8_S8_S8_S8_EEEEZNS1_11reduce_implILb1ES3_PS9_SC_S9_NS6_11hip_rocprim9__find_if7functorIS9_EEEE10hipError_tPvRmT1_T2_T3_mT4_P12ihipStream_tbEUlT_E1_NS1_11comp_targetILNS1_3genE10ELNS1_11target_archE1200ELNS1_3gpuE4ELNS1_3repE0EEENS1_30default_config_static_selectorELNS0_4arch9wavefront6targetE0EEEvSK_
	.globl	_ZN7rocprim17ROCPRIM_400000_NS6detail17trampoline_kernelINS0_14default_configENS1_22reduce_config_selectorIN6thrust23THRUST_200600_302600_NS5tupleIblNS6_9null_typeES8_S8_S8_S8_S8_S8_S8_EEEEZNS1_11reduce_implILb1ES3_PS9_SC_S9_NS6_11hip_rocprim9__find_if7functorIS9_EEEE10hipError_tPvRmT1_T2_T3_mT4_P12ihipStream_tbEUlT_E1_NS1_11comp_targetILNS1_3genE10ELNS1_11target_archE1200ELNS1_3gpuE4ELNS1_3repE0EEENS1_30default_config_static_selectorELNS0_4arch9wavefront6targetE0EEEvSK_
	.p2align	8
	.type	_ZN7rocprim17ROCPRIM_400000_NS6detail17trampoline_kernelINS0_14default_configENS1_22reduce_config_selectorIN6thrust23THRUST_200600_302600_NS5tupleIblNS6_9null_typeES8_S8_S8_S8_S8_S8_S8_EEEEZNS1_11reduce_implILb1ES3_PS9_SC_S9_NS6_11hip_rocprim9__find_if7functorIS9_EEEE10hipError_tPvRmT1_T2_T3_mT4_P12ihipStream_tbEUlT_E1_NS1_11comp_targetILNS1_3genE10ELNS1_11target_archE1200ELNS1_3gpuE4ELNS1_3repE0EEENS1_30default_config_static_selectorELNS0_4arch9wavefront6targetE0EEEvSK_,@function
_ZN7rocprim17ROCPRIM_400000_NS6detail17trampoline_kernelINS0_14default_configENS1_22reduce_config_selectorIN6thrust23THRUST_200600_302600_NS5tupleIblNS6_9null_typeES8_S8_S8_S8_S8_S8_S8_EEEEZNS1_11reduce_implILb1ES3_PS9_SC_S9_NS6_11hip_rocprim9__find_if7functorIS9_EEEE10hipError_tPvRmT1_T2_T3_mT4_P12ihipStream_tbEUlT_E1_NS1_11comp_targetILNS1_3genE10ELNS1_11target_archE1200ELNS1_3gpuE4ELNS1_3repE0EEENS1_30default_config_static_selectorELNS0_4arch9wavefront6targetE0EEEvSK_: ; @_ZN7rocprim17ROCPRIM_400000_NS6detail17trampoline_kernelINS0_14default_configENS1_22reduce_config_selectorIN6thrust23THRUST_200600_302600_NS5tupleIblNS6_9null_typeES8_S8_S8_S8_S8_S8_S8_EEEEZNS1_11reduce_implILb1ES3_PS9_SC_S9_NS6_11hip_rocprim9__find_if7functorIS9_EEEE10hipError_tPvRmT1_T2_T3_mT4_P12ihipStream_tbEUlT_E1_NS1_11comp_targetILNS1_3genE10ELNS1_11target_archE1200ELNS1_3gpuE4ELNS1_3repE0EEENS1_30default_config_static_selectorELNS0_4arch9wavefront6targetE0EEEvSK_
; %bb.0:
	.section	.rodata,"a",@progbits
	.p2align	6, 0x0
	.amdhsa_kernel _ZN7rocprim17ROCPRIM_400000_NS6detail17trampoline_kernelINS0_14default_configENS1_22reduce_config_selectorIN6thrust23THRUST_200600_302600_NS5tupleIblNS6_9null_typeES8_S8_S8_S8_S8_S8_S8_EEEEZNS1_11reduce_implILb1ES3_PS9_SC_S9_NS6_11hip_rocprim9__find_if7functorIS9_EEEE10hipError_tPvRmT1_T2_T3_mT4_P12ihipStream_tbEUlT_E1_NS1_11comp_targetILNS1_3genE10ELNS1_11target_archE1200ELNS1_3gpuE4ELNS1_3repE0EEENS1_30default_config_static_selectorELNS0_4arch9wavefront6targetE0EEEvSK_
		.amdhsa_group_segment_fixed_size 0
		.amdhsa_private_segment_fixed_size 0
		.amdhsa_kernarg_size 56
		.amdhsa_user_sgpr_count 2
		.amdhsa_user_sgpr_dispatch_ptr 0
		.amdhsa_user_sgpr_queue_ptr 0
		.amdhsa_user_sgpr_kernarg_segment_ptr 1
		.amdhsa_user_sgpr_dispatch_id 0
		.amdhsa_user_sgpr_kernarg_preload_length 0
		.amdhsa_user_sgpr_kernarg_preload_offset 0
		.amdhsa_user_sgpr_private_segment_size 0
		.amdhsa_wavefront_size32 1
		.amdhsa_uses_dynamic_stack 0
		.amdhsa_enable_private_segment 0
		.amdhsa_system_sgpr_workgroup_id_x 1
		.amdhsa_system_sgpr_workgroup_id_y 0
		.amdhsa_system_sgpr_workgroup_id_z 0
		.amdhsa_system_sgpr_workgroup_info 0
		.amdhsa_system_vgpr_workitem_id 0
		.amdhsa_next_free_vgpr 1
		.amdhsa_next_free_sgpr 1
		.amdhsa_named_barrier_count 0
		.amdhsa_reserve_vcc 0
		.amdhsa_float_round_mode_32 0
		.amdhsa_float_round_mode_16_64 0
		.amdhsa_float_denorm_mode_32 3
		.amdhsa_float_denorm_mode_16_64 3
		.amdhsa_fp16_overflow 0
		.amdhsa_memory_ordered 1
		.amdhsa_forward_progress 1
		.amdhsa_inst_pref_size 0
		.amdhsa_round_robin_scheduling 0
		.amdhsa_exception_fp_ieee_invalid_op 0
		.amdhsa_exception_fp_denorm_src 0
		.amdhsa_exception_fp_ieee_div_zero 0
		.amdhsa_exception_fp_ieee_overflow 0
		.amdhsa_exception_fp_ieee_underflow 0
		.amdhsa_exception_fp_ieee_inexact 0
		.amdhsa_exception_int_div_zero 0
	.end_amdhsa_kernel
	.section	.text._ZN7rocprim17ROCPRIM_400000_NS6detail17trampoline_kernelINS0_14default_configENS1_22reduce_config_selectorIN6thrust23THRUST_200600_302600_NS5tupleIblNS6_9null_typeES8_S8_S8_S8_S8_S8_S8_EEEEZNS1_11reduce_implILb1ES3_PS9_SC_S9_NS6_11hip_rocprim9__find_if7functorIS9_EEEE10hipError_tPvRmT1_T2_T3_mT4_P12ihipStream_tbEUlT_E1_NS1_11comp_targetILNS1_3genE10ELNS1_11target_archE1200ELNS1_3gpuE4ELNS1_3repE0EEENS1_30default_config_static_selectorELNS0_4arch9wavefront6targetE0EEEvSK_,"axG",@progbits,_ZN7rocprim17ROCPRIM_400000_NS6detail17trampoline_kernelINS0_14default_configENS1_22reduce_config_selectorIN6thrust23THRUST_200600_302600_NS5tupleIblNS6_9null_typeES8_S8_S8_S8_S8_S8_S8_EEEEZNS1_11reduce_implILb1ES3_PS9_SC_S9_NS6_11hip_rocprim9__find_if7functorIS9_EEEE10hipError_tPvRmT1_T2_T3_mT4_P12ihipStream_tbEUlT_E1_NS1_11comp_targetILNS1_3genE10ELNS1_11target_archE1200ELNS1_3gpuE4ELNS1_3repE0EEENS1_30default_config_static_selectorELNS0_4arch9wavefront6targetE0EEEvSK_,comdat
.Lfunc_end34:
	.size	_ZN7rocprim17ROCPRIM_400000_NS6detail17trampoline_kernelINS0_14default_configENS1_22reduce_config_selectorIN6thrust23THRUST_200600_302600_NS5tupleIblNS6_9null_typeES8_S8_S8_S8_S8_S8_S8_EEEEZNS1_11reduce_implILb1ES3_PS9_SC_S9_NS6_11hip_rocprim9__find_if7functorIS9_EEEE10hipError_tPvRmT1_T2_T3_mT4_P12ihipStream_tbEUlT_E1_NS1_11comp_targetILNS1_3genE10ELNS1_11target_archE1200ELNS1_3gpuE4ELNS1_3repE0EEENS1_30default_config_static_selectorELNS0_4arch9wavefront6targetE0EEEvSK_, .Lfunc_end34-_ZN7rocprim17ROCPRIM_400000_NS6detail17trampoline_kernelINS0_14default_configENS1_22reduce_config_selectorIN6thrust23THRUST_200600_302600_NS5tupleIblNS6_9null_typeES8_S8_S8_S8_S8_S8_S8_EEEEZNS1_11reduce_implILb1ES3_PS9_SC_S9_NS6_11hip_rocprim9__find_if7functorIS9_EEEE10hipError_tPvRmT1_T2_T3_mT4_P12ihipStream_tbEUlT_E1_NS1_11comp_targetILNS1_3genE10ELNS1_11target_archE1200ELNS1_3gpuE4ELNS1_3repE0EEENS1_30default_config_static_selectorELNS0_4arch9wavefront6targetE0EEEvSK_
                                        ; -- End function
	.set _ZN7rocprim17ROCPRIM_400000_NS6detail17trampoline_kernelINS0_14default_configENS1_22reduce_config_selectorIN6thrust23THRUST_200600_302600_NS5tupleIblNS6_9null_typeES8_S8_S8_S8_S8_S8_S8_EEEEZNS1_11reduce_implILb1ES3_PS9_SC_S9_NS6_11hip_rocprim9__find_if7functorIS9_EEEE10hipError_tPvRmT1_T2_T3_mT4_P12ihipStream_tbEUlT_E1_NS1_11comp_targetILNS1_3genE10ELNS1_11target_archE1200ELNS1_3gpuE4ELNS1_3repE0EEENS1_30default_config_static_selectorELNS0_4arch9wavefront6targetE0EEEvSK_.num_vgpr, 0
	.set _ZN7rocprim17ROCPRIM_400000_NS6detail17trampoline_kernelINS0_14default_configENS1_22reduce_config_selectorIN6thrust23THRUST_200600_302600_NS5tupleIblNS6_9null_typeES8_S8_S8_S8_S8_S8_S8_EEEEZNS1_11reduce_implILb1ES3_PS9_SC_S9_NS6_11hip_rocprim9__find_if7functorIS9_EEEE10hipError_tPvRmT1_T2_T3_mT4_P12ihipStream_tbEUlT_E1_NS1_11comp_targetILNS1_3genE10ELNS1_11target_archE1200ELNS1_3gpuE4ELNS1_3repE0EEENS1_30default_config_static_selectorELNS0_4arch9wavefront6targetE0EEEvSK_.num_agpr, 0
	.set _ZN7rocprim17ROCPRIM_400000_NS6detail17trampoline_kernelINS0_14default_configENS1_22reduce_config_selectorIN6thrust23THRUST_200600_302600_NS5tupleIblNS6_9null_typeES8_S8_S8_S8_S8_S8_S8_EEEEZNS1_11reduce_implILb1ES3_PS9_SC_S9_NS6_11hip_rocprim9__find_if7functorIS9_EEEE10hipError_tPvRmT1_T2_T3_mT4_P12ihipStream_tbEUlT_E1_NS1_11comp_targetILNS1_3genE10ELNS1_11target_archE1200ELNS1_3gpuE4ELNS1_3repE0EEENS1_30default_config_static_selectorELNS0_4arch9wavefront6targetE0EEEvSK_.numbered_sgpr, 0
	.set _ZN7rocprim17ROCPRIM_400000_NS6detail17trampoline_kernelINS0_14default_configENS1_22reduce_config_selectorIN6thrust23THRUST_200600_302600_NS5tupleIblNS6_9null_typeES8_S8_S8_S8_S8_S8_S8_EEEEZNS1_11reduce_implILb1ES3_PS9_SC_S9_NS6_11hip_rocprim9__find_if7functorIS9_EEEE10hipError_tPvRmT1_T2_T3_mT4_P12ihipStream_tbEUlT_E1_NS1_11comp_targetILNS1_3genE10ELNS1_11target_archE1200ELNS1_3gpuE4ELNS1_3repE0EEENS1_30default_config_static_selectorELNS0_4arch9wavefront6targetE0EEEvSK_.num_named_barrier, 0
	.set _ZN7rocprim17ROCPRIM_400000_NS6detail17trampoline_kernelINS0_14default_configENS1_22reduce_config_selectorIN6thrust23THRUST_200600_302600_NS5tupleIblNS6_9null_typeES8_S8_S8_S8_S8_S8_S8_EEEEZNS1_11reduce_implILb1ES3_PS9_SC_S9_NS6_11hip_rocprim9__find_if7functorIS9_EEEE10hipError_tPvRmT1_T2_T3_mT4_P12ihipStream_tbEUlT_E1_NS1_11comp_targetILNS1_3genE10ELNS1_11target_archE1200ELNS1_3gpuE4ELNS1_3repE0EEENS1_30default_config_static_selectorELNS0_4arch9wavefront6targetE0EEEvSK_.private_seg_size, 0
	.set _ZN7rocprim17ROCPRIM_400000_NS6detail17trampoline_kernelINS0_14default_configENS1_22reduce_config_selectorIN6thrust23THRUST_200600_302600_NS5tupleIblNS6_9null_typeES8_S8_S8_S8_S8_S8_S8_EEEEZNS1_11reduce_implILb1ES3_PS9_SC_S9_NS6_11hip_rocprim9__find_if7functorIS9_EEEE10hipError_tPvRmT1_T2_T3_mT4_P12ihipStream_tbEUlT_E1_NS1_11comp_targetILNS1_3genE10ELNS1_11target_archE1200ELNS1_3gpuE4ELNS1_3repE0EEENS1_30default_config_static_selectorELNS0_4arch9wavefront6targetE0EEEvSK_.uses_vcc, 0
	.set _ZN7rocprim17ROCPRIM_400000_NS6detail17trampoline_kernelINS0_14default_configENS1_22reduce_config_selectorIN6thrust23THRUST_200600_302600_NS5tupleIblNS6_9null_typeES8_S8_S8_S8_S8_S8_S8_EEEEZNS1_11reduce_implILb1ES3_PS9_SC_S9_NS6_11hip_rocprim9__find_if7functorIS9_EEEE10hipError_tPvRmT1_T2_T3_mT4_P12ihipStream_tbEUlT_E1_NS1_11comp_targetILNS1_3genE10ELNS1_11target_archE1200ELNS1_3gpuE4ELNS1_3repE0EEENS1_30default_config_static_selectorELNS0_4arch9wavefront6targetE0EEEvSK_.uses_flat_scratch, 0
	.set _ZN7rocprim17ROCPRIM_400000_NS6detail17trampoline_kernelINS0_14default_configENS1_22reduce_config_selectorIN6thrust23THRUST_200600_302600_NS5tupleIblNS6_9null_typeES8_S8_S8_S8_S8_S8_S8_EEEEZNS1_11reduce_implILb1ES3_PS9_SC_S9_NS6_11hip_rocprim9__find_if7functorIS9_EEEE10hipError_tPvRmT1_T2_T3_mT4_P12ihipStream_tbEUlT_E1_NS1_11comp_targetILNS1_3genE10ELNS1_11target_archE1200ELNS1_3gpuE4ELNS1_3repE0EEENS1_30default_config_static_selectorELNS0_4arch9wavefront6targetE0EEEvSK_.has_dyn_sized_stack, 0
	.set _ZN7rocprim17ROCPRIM_400000_NS6detail17trampoline_kernelINS0_14default_configENS1_22reduce_config_selectorIN6thrust23THRUST_200600_302600_NS5tupleIblNS6_9null_typeES8_S8_S8_S8_S8_S8_S8_EEEEZNS1_11reduce_implILb1ES3_PS9_SC_S9_NS6_11hip_rocprim9__find_if7functorIS9_EEEE10hipError_tPvRmT1_T2_T3_mT4_P12ihipStream_tbEUlT_E1_NS1_11comp_targetILNS1_3genE10ELNS1_11target_archE1200ELNS1_3gpuE4ELNS1_3repE0EEENS1_30default_config_static_selectorELNS0_4arch9wavefront6targetE0EEEvSK_.has_recursion, 0
	.set _ZN7rocprim17ROCPRIM_400000_NS6detail17trampoline_kernelINS0_14default_configENS1_22reduce_config_selectorIN6thrust23THRUST_200600_302600_NS5tupleIblNS6_9null_typeES8_S8_S8_S8_S8_S8_S8_EEEEZNS1_11reduce_implILb1ES3_PS9_SC_S9_NS6_11hip_rocprim9__find_if7functorIS9_EEEE10hipError_tPvRmT1_T2_T3_mT4_P12ihipStream_tbEUlT_E1_NS1_11comp_targetILNS1_3genE10ELNS1_11target_archE1200ELNS1_3gpuE4ELNS1_3repE0EEENS1_30default_config_static_selectorELNS0_4arch9wavefront6targetE0EEEvSK_.has_indirect_call, 0
	.section	.AMDGPU.csdata,"",@progbits
; Kernel info:
; codeLenInByte = 0
; TotalNumSgprs: 0
; NumVgprs: 0
; ScratchSize: 0
; MemoryBound: 0
; FloatMode: 240
; IeeeMode: 1
; LDSByteSize: 0 bytes/workgroup (compile time only)
; SGPRBlocks: 0
; VGPRBlocks: 0
; NumSGPRsForWavesPerEU: 1
; NumVGPRsForWavesPerEU: 1
; NamedBarCnt: 0
; Occupancy: 16
; WaveLimiterHint : 0
; COMPUTE_PGM_RSRC2:SCRATCH_EN: 0
; COMPUTE_PGM_RSRC2:USER_SGPR: 2
; COMPUTE_PGM_RSRC2:TRAP_HANDLER: 0
; COMPUTE_PGM_RSRC2:TGID_X_EN: 1
; COMPUTE_PGM_RSRC2:TGID_Y_EN: 0
; COMPUTE_PGM_RSRC2:TGID_Z_EN: 0
; COMPUTE_PGM_RSRC2:TIDIG_COMP_CNT: 0
	.section	.text._ZN7rocprim17ROCPRIM_400000_NS6detail17trampoline_kernelINS0_14default_configENS1_22reduce_config_selectorIN6thrust23THRUST_200600_302600_NS5tupleIblNS6_9null_typeES8_S8_S8_S8_S8_S8_S8_EEEEZNS1_11reduce_implILb1ES3_PS9_SC_S9_NS6_11hip_rocprim9__find_if7functorIS9_EEEE10hipError_tPvRmT1_T2_T3_mT4_P12ihipStream_tbEUlT_E1_NS1_11comp_targetILNS1_3genE9ELNS1_11target_archE1100ELNS1_3gpuE3ELNS1_3repE0EEENS1_30default_config_static_selectorELNS0_4arch9wavefront6targetE0EEEvSK_,"axG",@progbits,_ZN7rocprim17ROCPRIM_400000_NS6detail17trampoline_kernelINS0_14default_configENS1_22reduce_config_selectorIN6thrust23THRUST_200600_302600_NS5tupleIblNS6_9null_typeES8_S8_S8_S8_S8_S8_S8_EEEEZNS1_11reduce_implILb1ES3_PS9_SC_S9_NS6_11hip_rocprim9__find_if7functorIS9_EEEE10hipError_tPvRmT1_T2_T3_mT4_P12ihipStream_tbEUlT_E1_NS1_11comp_targetILNS1_3genE9ELNS1_11target_archE1100ELNS1_3gpuE3ELNS1_3repE0EEENS1_30default_config_static_selectorELNS0_4arch9wavefront6targetE0EEEvSK_,comdat
	.protected	_ZN7rocprim17ROCPRIM_400000_NS6detail17trampoline_kernelINS0_14default_configENS1_22reduce_config_selectorIN6thrust23THRUST_200600_302600_NS5tupleIblNS6_9null_typeES8_S8_S8_S8_S8_S8_S8_EEEEZNS1_11reduce_implILb1ES3_PS9_SC_S9_NS6_11hip_rocprim9__find_if7functorIS9_EEEE10hipError_tPvRmT1_T2_T3_mT4_P12ihipStream_tbEUlT_E1_NS1_11comp_targetILNS1_3genE9ELNS1_11target_archE1100ELNS1_3gpuE3ELNS1_3repE0EEENS1_30default_config_static_selectorELNS0_4arch9wavefront6targetE0EEEvSK_ ; -- Begin function _ZN7rocprim17ROCPRIM_400000_NS6detail17trampoline_kernelINS0_14default_configENS1_22reduce_config_selectorIN6thrust23THRUST_200600_302600_NS5tupleIblNS6_9null_typeES8_S8_S8_S8_S8_S8_S8_EEEEZNS1_11reduce_implILb1ES3_PS9_SC_S9_NS6_11hip_rocprim9__find_if7functorIS9_EEEE10hipError_tPvRmT1_T2_T3_mT4_P12ihipStream_tbEUlT_E1_NS1_11comp_targetILNS1_3genE9ELNS1_11target_archE1100ELNS1_3gpuE3ELNS1_3repE0EEENS1_30default_config_static_selectorELNS0_4arch9wavefront6targetE0EEEvSK_
	.globl	_ZN7rocprim17ROCPRIM_400000_NS6detail17trampoline_kernelINS0_14default_configENS1_22reduce_config_selectorIN6thrust23THRUST_200600_302600_NS5tupleIblNS6_9null_typeES8_S8_S8_S8_S8_S8_S8_EEEEZNS1_11reduce_implILb1ES3_PS9_SC_S9_NS6_11hip_rocprim9__find_if7functorIS9_EEEE10hipError_tPvRmT1_T2_T3_mT4_P12ihipStream_tbEUlT_E1_NS1_11comp_targetILNS1_3genE9ELNS1_11target_archE1100ELNS1_3gpuE3ELNS1_3repE0EEENS1_30default_config_static_selectorELNS0_4arch9wavefront6targetE0EEEvSK_
	.p2align	8
	.type	_ZN7rocprim17ROCPRIM_400000_NS6detail17trampoline_kernelINS0_14default_configENS1_22reduce_config_selectorIN6thrust23THRUST_200600_302600_NS5tupleIblNS6_9null_typeES8_S8_S8_S8_S8_S8_S8_EEEEZNS1_11reduce_implILb1ES3_PS9_SC_S9_NS6_11hip_rocprim9__find_if7functorIS9_EEEE10hipError_tPvRmT1_T2_T3_mT4_P12ihipStream_tbEUlT_E1_NS1_11comp_targetILNS1_3genE9ELNS1_11target_archE1100ELNS1_3gpuE3ELNS1_3repE0EEENS1_30default_config_static_selectorELNS0_4arch9wavefront6targetE0EEEvSK_,@function
_ZN7rocprim17ROCPRIM_400000_NS6detail17trampoline_kernelINS0_14default_configENS1_22reduce_config_selectorIN6thrust23THRUST_200600_302600_NS5tupleIblNS6_9null_typeES8_S8_S8_S8_S8_S8_S8_EEEEZNS1_11reduce_implILb1ES3_PS9_SC_S9_NS6_11hip_rocprim9__find_if7functorIS9_EEEE10hipError_tPvRmT1_T2_T3_mT4_P12ihipStream_tbEUlT_E1_NS1_11comp_targetILNS1_3genE9ELNS1_11target_archE1100ELNS1_3gpuE3ELNS1_3repE0EEENS1_30default_config_static_selectorELNS0_4arch9wavefront6targetE0EEEvSK_: ; @_ZN7rocprim17ROCPRIM_400000_NS6detail17trampoline_kernelINS0_14default_configENS1_22reduce_config_selectorIN6thrust23THRUST_200600_302600_NS5tupleIblNS6_9null_typeES8_S8_S8_S8_S8_S8_S8_EEEEZNS1_11reduce_implILb1ES3_PS9_SC_S9_NS6_11hip_rocprim9__find_if7functorIS9_EEEE10hipError_tPvRmT1_T2_T3_mT4_P12ihipStream_tbEUlT_E1_NS1_11comp_targetILNS1_3genE9ELNS1_11target_archE1100ELNS1_3gpuE3ELNS1_3repE0EEENS1_30default_config_static_selectorELNS0_4arch9wavefront6targetE0EEEvSK_
; %bb.0:
	.section	.rodata,"a",@progbits
	.p2align	6, 0x0
	.amdhsa_kernel _ZN7rocprim17ROCPRIM_400000_NS6detail17trampoline_kernelINS0_14default_configENS1_22reduce_config_selectorIN6thrust23THRUST_200600_302600_NS5tupleIblNS6_9null_typeES8_S8_S8_S8_S8_S8_S8_EEEEZNS1_11reduce_implILb1ES3_PS9_SC_S9_NS6_11hip_rocprim9__find_if7functorIS9_EEEE10hipError_tPvRmT1_T2_T3_mT4_P12ihipStream_tbEUlT_E1_NS1_11comp_targetILNS1_3genE9ELNS1_11target_archE1100ELNS1_3gpuE3ELNS1_3repE0EEENS1_30default_config_static_selectorELNS0_4arch9wavefront6targetE0EEEvSK_
		.amdhsa_group_segment_fixed_size 0
		.amdhsa_private_segment_fixed_size 0
		.amdhsa_kernarg_size 56
		.amdhsa_user_sgpr_count 2
		.amdhsa_user_sgpr_dispatch_ptr 0
		.amdhsa_user_sgpr_queue_ptr 0
		.amdhsa_user_sgpr_kernarg_segment_ptr 1
		.amdhsa_user_sgpr_dispatch_id 0
		.amdhsa_user_sgpr_kernarg_preload_length 0
		.amdhsa_user_sgpr_kernarg_preload_offset 0
		.amdhsa_user_sgpr_private_segment_size 0
		.amdhsa_wavefront_size32 1
		.amdhsa_uses_dynamic_stack 0
		.amdhsa_enable_private_segment 0
		.amdhsa_system_sgpr_workgroup_id_x 1
		.amdhsa_system_sgpr_workgroup_id_y 0
		.amdhsa_system_sgpr_workgroup_id_z 0
		.amdhsa_system_sgpr_workgroup_info 0
		.amdhsa_system_vgpr_workitem_id 0
		.amdhsa_next_free_vgpr 1
		.amdhsa_next_free_sgpr 1
		.amdhsa_named_barrier_count 0
		.amdhsa_reserve_vcc 0
		.amdhsa_float_round_mode_32 0
		.amdhsa_float_round_mode_16_64 0
		.amdhsa_float_denorm_mode_32 3
		.amdhsa_float_denorm_mode_16_64 3
		.amdhsa_fp16_overflow 0
		.amdhsa_memory_ordered 1
		.amdhsa_forward_progress 1
		.amdhsa_inst_pref_size 0
		.amdhsa_round_robin_scheduling 0
		.amdhsa_exception_fp_ieee_invalid_op 0
		.amdhsa_exception_fp_denorm_src 0
		.amdhsa_exception_fp_ieee_div_zero 0
		.amdhsa_exception_fp_ieee_overflow 0
		.amdhsa_exception_fp_ieee_underflow 0
		.amdhsa_exception_fp_ieee_inexact 0
		.amdhsa_exception_int_div_zero 0
	.end_amdhsa_kernel
	.section	.text._ZN7rocprim17ROCPRIM_400000_NS6detail17trampoline_kernelINS0_14default_configENS1_22reduce_config_selectorIN6thrust23THRUST_200600_302600_NS5tupleIblNS6_9null_typeES8_S8_S8_S8_S8_S8_S8_EEEEZNS1_11reduce_implILb1ES3_PS9_SC_S9_NS6_11hip_rocprim9__find_if7functorIS9_EEEE10hipError_tPvRmT1_T2_T3_mT4_P12ihipStream_tbEUlT_E1_NS1_11comp_targetILNS1_3genE9ELNS1_11target_archE1100ELNS1_3gpuE3ELNS1_3repE0EEENS1_30default_config_static_selectorELNS0_4arch9wavefront6targetE0EEEvSK_,"axG",@progbits,_ZN7rocprim17ROCPRIM_400000_NS6detail17trampoline_kernelINS0_14default_configENS1_22reduce_config_selectorIN6thrust23THRUST_200600_302600_NS5tupleIblNS6_9null_typeES8_S8_S8_S8_S8_S8_S8_EEEEZNS1_11reduce_implILb1ES3_PS9_SC_S9_NS6_11hip_rocprim9__find_if7functorIS9_EEEE10hipError_tPvRmT1_T2_T3_mT4_P12ihipStream_tbEUlT_E1_NS1_11comp_targetILNS1_3genE9ELNS1_11target_archE1100ELNS1_3gpuE3ELNS1_3repE0EEENS1_30default_config_static_selectorELNS0_4arch9wavefront6targetE0EEEvSK_,comdat
.Lfunc_end35:
	.size	_ZN7rocprim17ROCPRIM_400000_NS6detail17trampoline_kernelINS0_14default_configENS1_22reduce_config_selectorIN6thrust23THRUST_200600_302600_NS5tupleIblNS6_9null_typeES8_S8_S8_S8_S8_S8_S8_EEEEZNS1_11reduce_implILb1ES3_PS9_SC_S9_NS6_11hip_rocprim9__find_if7functorIS9_EEEE10hipError_tPvRmT1_T2_T3_mT4_P12ihipStream_tbEUlT_E1_NS1_11comp_targetILNS1_3genE9ELNS1_11target_archE1100ELNS1_3gpuE3ELNS1_3repE0EEENS1_30default_config_static_selectorELNS0_4arch9wavefront6targetE0EEEvSK_, .Lfunc_end35-_ZN7rocprim17ROCPRIM_400000_NS6detail17trampoline_kernelINS0_14default_configENS1_22reduce_config_selectorIN6thrust23THRUST_200600_302600_NS5tupleIblNS6_9null_typeES8_S8_S8_S8_S8_S8_S8_EEEEZNS1_11reduce_implILb1ES3_PS9_SC_S9_NS6_11hip_rocprim9__find_if7functorIS9_EEEE10hipError_tPvRmT1_T2_T3_mT4_P12ihipStream_tbEUlT_E1_NS1_11comp_targetILNS1_3genE9ELNS1_11target_archE1100ELNS1_3gpuE3ELNS1_3repE0EEENS1_30default_config_static_selectorELNS0_4arch9wavefront6targetE0EEEvSK_
                                        ; -- End function
	.set _ZN7rocprim17ROCPRIM_400000_NS6detail17trampoline_kernelINS0_14default_configENS1_22reduce_config_selectorIN6thrust23THRUST_200600_302600_NS5tupleIblNS6_9null_typeES8_S8_S8_S8_S8_S8_S8_EEEEZNS1_11reduce_implILb1ES3_PS9_SC_S9_NS6_11hip_rocprim9__find_if7functorIS9_EEEE10hipError_tPvRmT1_T2_T3_mT4_P12ihipStream_tbEUlT_E1_NS1_11comp_targetILNS1_3genE9ELNS1_11target_archE1100ELNS1_3gpuE3ELNS1_3repE0EEENS1_30default_config_static_selectorELNS0_4arch9wavefront6targetE0EEEvSK_.num_vgpr, 0
	.set _ZN7rocprim17ROCPRIM_400000_NS6detail17trampoline_kernelINS0_14default_configENS1_22reduce_config_selectorIN6thrust23THRUST_200600_302600_NS5tupleIblNS6_9null_typeES8_S8_S8_S8_S8_S8_S8_EEEEZNS1_11reduce_implILb1ES3_PS9_SC_S9_NS6_11hip_rocprim9__find_if7functorIS9_EEEE10hipError_tPvRmT1_T2_T3_mT4_P12ihipStream_tbEUlT_E1_NS1_11comp_targetILNS1_3genE9ELNS1_11target_archE1100ELNS1_3gpuE3ELNS1_3repE0EEENS1_30default_config_static_selectorELNS0_4arch9wavefront6targetE0EEEvSK_.num_agpr, 0
	.set _ZN7rocprim17ROCPRIM_400000_NS6detail17trampoline_kernelINS0_14default_configENS1_22reduce_config_selectorIN6thrust23THRUST_200600_302600_NS5tupleIblNS6_9null_typeES8_S8_S8_S8_S8_S8_S8_EEEEZNS1_11reduce_implILb1ES3_PS9_SC_S9_NS6_11hip_rocprim9__find_if7functorIS9_EEEE10hipError_tPvRmT1_T2_T3_mT4_P12ihipStream_tbEUlT_E1_NS1_11comp_targetILNS1_3genE9ELNS1_11target_archE1100ELNS1_3gpuE3ELNS1_3repE0EEENS1_30default_config_static_selectorELNS0_4arch9wavefront6targetE0EEEvSK_.numbered_sgpr, 0
	.set _ZN7rocprim17ROCPRIM_400000_NS6detail17trampoline_kernelINS0_14default_configENS1_22reduce_config_selectorIN6thrust23THRUST_200600_302600_NS5tupleIblNS6_9null_typeES8_S8_S8_S8_S8_S8_S8_EEEEZNS1_11reduce_implILb1ES3_PS9_SC_S9_NS6_11hip_rocprim9__find_if7functorIS9_EEEE10hipError_tPvRmT1_T2_T3_mT4_P12ihipStream_tbEUlT_E1_NS1_11comp_targetILNS1_3genE9ELNS1_11target_archE1100ELNS1_3gpuE3ELNS1_3repE0EEENS1_30default_config_static_selectorELNS0_4arch9wavefront6targetE0EEEvSK_.num_named_barrier, 0
	.set _ZN7rocprim17ROCPRIM_400000_NS6detail17trampoline_kernelINS0_14default_configENS1_22reduce_config_selectorIN6thrust23THRUST_200600_302600_NS5tupleIblNS6_9null_typeES8_S8_S8_S8_S8_S8_S8_EEEEZNS1_11reduce_implILb1ES3_PS9_SC_S9_NS6_11hip_rocprim9__find_if7functorIS9_EEEE10hipError_tPvRmT1_T2_T3_mT4_P12ihipStream_tbEUlT_E1_NS1_11comp_targetILNS1_3genE9ELNS1_11target_archE1100ELNS1_3gpuE3ELNS1_3repE0EEENS1_30default_config_static_selectorELNS0_4arch9wavefront6targetE0EEEvSK_.private_seg_size, 0
	.set _ZN7rocprim17ROCPRIM_400000_NS6detail17trampoline_kernelINS0_14default_configENS1_22reduce_config_selectorIN6thrust23THRUST_200600_302600_NS5tupleIblNS6_9null_typeES8_S8_S8_S8_S8_S8_S8_EEEEZNS1_11reduce_implILb1ES3_PS9_SC_S9_NS6_11hip_rocprim9__find_if7functorIS9_EEEE10hipError_tPvRmT1_T2_T3_mT4_P12ihipStream_tbEUlT_E1_NS1_11comp_targetILNS1_3genE9ELNS1_11target_archE1100ELNS1_3gpuE3ELNS1_3repE0EEENS1_30default_config_static_selectorELNS0_4arch9wavefront6targetE0EEEvSK_.uses_vcc, 0
	.set _ZN7rocprim17ROCPRIM_400000_NS6detail17trampoline_kernelINS0_14default_configENS1_22reduce_config_selectorIN6thrust23THRUST_200600_302600_NS5tupleIblNS6_9null_typeES8_S8_S8_S8_S8_S8_S8_EEEEZNS1_11reduce_implILb1ES3_PS9_SC_S9_NS6_11hip_rocprim9__find_if7functorIS9_EEEE10hipError_tPvRmT1_T2_T3_mT4_P12ihipStream_tbEUlT_E1_NS1_11comp_targetILNS1_3genE9ELNS1_11target_archE1100ELNS1_3gpuE3ELNS1_3repE0EEENS1_30default_config_static_selectorELNS0_4arch9wavefront6targetE0EEEvSK_.uses_flat_scratch, 0
	.set _ZN7rocprim17ROCPRIM_400000_NS6detail17trampoline_kernelINS0_14default_configENS1_22reduce_config_selectorIN6thrust23THRUST_200600_302600_NS5tupleIblNS6_9null_typeES8_S8_S8_S8_S8_S8_S8_EEEEZNS1_11reduce_implILb1ES3_PS9_SC_S9_NS6_11hip_rocprim9__find_if7functorIS9_EEEE10hipError_tPvRmT1_T2_T3_mT4_P12ihipStream_tbEUlT_E1_NS1_11comp_targetILNS1_3genE9ELNS1_11target_archE1100ELNS1_3gpuE3ELNS1_3repE0EEENS1_30default_config_static_selectorELNS0_4arch9wavefront6targetE0EEEvSK_.has_dyn_sized_stack, 0
	.set _ZN7rocprim17ROCPRIM_400000_NS6detail17trampoline_kernelINS0_14default_configENS1_22reduce_config_selectorIN6thrust23THRUST_200600_302600_NS5tupleIblNS6_9null_typeES8_S8_S8_S8_S8_S8_S8_EEEEZNS1_11reduce_implILb1ES3_PS9_SC_S9_NS6_11hip_rocprim9__find_if7functorIS9_EEEE10hipError_tPvRmT1_T2_T3_mT4_P12ihipStream_tbEUlT_E1_NS1_11comp_targetILNS1_3genE9ELNS1_11target_archE1100ELNS1_3gpuE3ELNS1_3repE0EEENS1_30default_config_static_selectorELNS0_4arch9wavefront6targetE0EEEvSK_.has_recursion, 0
	.set _ZN7rocprim17ROCPRIM_400000_NS6detail17trampoline_kernelINS0_14default_configENS1_22reduce_config_selectorIN6thrust23THRUST_200600_302600_NS5tupleIblNS6_9null_typeES8_S8_S8_S8_S8_S8_S8_EEEEZNS1_11reduce_implILb1ES3_PS9_SC_S9_NS6_11hip_rocprim9__find_if7functorIS9_EEEE10hipError_tPvRmT1_T2_T3_mT4_P12ihipStream_tbEUlT_E1_NS1_11comp_targetILNS1_3genE9ELNS1_11target_archE1100ELNS1_3gpuE3ELNS1_3repE0EEENS1_30default_config_static_selectorELNS0_4arch9wavefront6targetE0EEEvSK_.has_indirect_call, 0
	.section	.AMDGPU.csdata,"",@progbits
; Kernel info:
; codeLenInByte = 0
; TotalNumSgprs: 0
; NumVgprs: 0
; ScratchSize: 0
; MemoryBound: 0
; FloatMode: 240
; IeeeMode: 1
; LDSByteSize: 0 bytes/workgroup (compile time only)
; SGPRBlocks: 0
; VGPRBlocks: 0
; NumSGPRsForWavesPerEU: 1
; NumVGPRsForWavesPerEU: 1
; NamedBarCnt: 0
; Occupancy: 16
; WaveLimiterHint : 0
; COMPUTE_PGM_RSRC2:SCRATCH_EN: 0
; COMPUTE_PGM_RSRC2:USER_SGPR: 2
; COMPUTE_PGM_RSRC2:TRAP_HANDLER: 0
; COMPUTE_PGM_RSRC2:TGID_X_EN: 1
; COMPUTE_PGM_RSRC2:TGID_Y_EN: 0
; COMPUTE_PGM_RSRC2:TGID_Z_EN: 0
; COMPUTE_PGM_RSRC2:TIDIG_COMP_CNT: 0
	.section	.text._ZN7rocprim17ROCPRIM_400000_NS6detail17trampoline_kernelINS0_14default_configENS1_22reduce_config_selectorIN6thrust23THRUST_200600_302600_NS5tupleIblNS6_9null_typeES8_S8_S8_S8_S8_S8_S8_EEEEZNS1_11reduce_implILb1ES3_PS9_SC_S9_NS6_11hip_rocprim9__find_if7functorIS9_EEEE10hipError_tPvRmT1_T2_T3_mT4_P12ihipStream_tbEUlT_E1_NS1_11comp_targetILNS1_3genE8ELNS1_11target_archE1030ELNS1_3gpuE2ELNS1_3repE0EEENS1_30default_config_static_selectorELNS0_4arch9wavefront6targetE0EEEvSK_,"axG",@progbits,_ZN7rocprim17ROCPRIM_400000_NS6detail17trampoline_kernelINS0_14default_configENS1_22reduce_config_selectorIN6thrust23THRUST_200600_302600_NS5tupleIblNS6_9null_typeES8_S8_S8_S8_S8_S8_S8_EEEEZNS1_11reduce_implILb1ES3_PS9_SC_S9_NS6_11hip_rocprim9__find_if7functorIS9_EEEE10hipError_tPvRmT1_T2_T3_mT4_P12ihipStream_tbEUlT_E1_NS1_11comp_targetILNS1_3genE8ELNS1_11target_archE1030ELNS1_3gpuE2ELNS1_3repE0EEENS1_30default_config_static_selectorELNS0_4arch9wavefront6targetE0EEEvSK_,comdat
	.protected	_ZN7rocprim17ROCPRIM_400000_NS6detail17trampoline_kernelINS0_14default_configENS1_22reduce_config_selectorIN6thrust23THRUST_200600_302600_NS5tupleIblNS6_9null_typeES8_S8_S8_S8_S8_S8_S8_EEEEZNS1_11reduce_implILb1ES3_PS9_SC_S9_NS6_11hip_rocprim9__find_if7functorIS9_EEEE10hipError_tPvRmT1_T2_T3_mT4_P12ihipStream_tbEUlT_E1_NS1_11comp_targetILNS1_3genE8ELNS1_11target_archE1030ELNS1_3gpuE2ELNS1_3repE0EEENS1_30default_config_static_selectorELNS0_4arch9wavefront6targetE0EEEvSK_ ; -- Begin function _ZN7rocprim17ROCPRIM_400000_NS6detail17trampoline_kernelINS0_14default_configENS1_22reduce_config_selectorIN6thrust23THRUST_200600_302600_NS5tupleIblNS6_9null_typeES8_S8_S8_S8_S8_S8_S8_EEEEZNS1_11reduce_implILb1ES3_PS9_SC_S9_NS6_11hip_rocprim9__find_if7functorIS9_EEEE10hipError_tPvRmT1_T2_T3_mT4_P12ihipStream_tbEUlT_E1_NS1_11comp_targetILNS1_3genE8ELNS1_11target_archE1030ELNS1_3gpuE2ELNS1_3repE0EEENS1_30default_config_static_selectorELNS0_4arch9wavefront6targetE0EEEvSK_
	.globl	_ZN7rocprim17ROCPRIM_400000_NS6detail17trampoline_kernelINS0_14default_configENS1_22reduce_config_selectorIN6thrust23THRUST_200600_302600_NS5tupleIblNS6_9null_typeES8_S8_S8_S8_S8_S8_S8_EEEEZNS1_11reduce_implILb1ES3_PS9_SC_S9_NS6_11hip_rocprim9__find_if7functorIS9_EEEE10hipError_tPvRmT1_T2_T3_mT4_P12ihipStream_tbEUlT_E1_NS1_11comp_targetILNS1_3genE8ELNS1_11target_archE1030ELNS1_3gpuE2ELNS1_3repE0EEENS1_30default_config_static_selectorELNS0_4arch9wavefront6targetE0EEEvSK_
	.p2align	8
	.type	_ZN7rocprim17ROCPRIM_400000_NS6detail17trampoline_kernelINS0_14default_configENS1_22reduce_config_selectorIN6thrust23THRUST_200600_302600_NS5tupleIblNS6_9null_typeES8_S8_S8_S8_S8_S8_S8_EEEEZNS1_11reduce_implILb1ES3_PS9_SC_S9_NS6_11hip_rocprim9__find_if7functorIS9_EEEE10hipError_tPvRmT1_T2_T3_mT4_P12ihipStream_tbEUlT_E1_NS1_11comp_targetILNS1_3genE8ELNS1_11target_archE1030ELNS1_3gpuE2ELNS1_3repE0EEENS1_30default_config_static_selectorELNS0_4arch9wavefront6targetE0EEEvSK_,@function
_ZN7rocprim17ROCPRIM_400000_NS6detail17trampoline_kernelINS0_14default_configENS1_22reduce_config_selectorIN6thrust23THRUST_200600_302600_NS5tupleIblNS6_9null_typeES8_S8_S8_S8_S8_S8_S8_EEEEZNS1_11reduce_implILb1ES3_PS9_SC_S9_NS6_11hip_rocprim9__find_if7functorIS9_EEEE10hipError_tPvRmT1_T2_T3_mT4_P12ihipStream_tbEUlT_E1_NS1_11comp_targetILNS1_3genE8ELNS1_11target_archE1030ELNS1_3gpuE2ELNS1_3repE0EEENS1_30default_config_static_selectorELNS0_4arch9wavefront6targetE0EEEvSK_: ; @_ZN7rocprim17ROCPRIM_400000_NS6detail17trampoline_kernelINS0_14default_configENS1_22reduce_config_selectorIN6thrust23THRUST_200600_302600_NS5tupleIblNS6_9null_typeES8_S8_S8_S8_S8_S8_S8_EEEEZNS1_11reduce_implILb1ES3_PS9_SC_S9_NS6_11hip_rocprim9__find_if7functorIS9_EEEE10hipError_tPvRmT1_T2_T3_mT4_P12ihipStream_tbEUlT_E1_NS1_11comp_targetILNS1_3genE8ELNS1_11target_archE1030ELNS1_3gpuE2ELNS1_3repE0EEENS1_30default_config_static_selectorELNS0_4arch9wavefront6targetE0EEEvSK_
; %bb.0:
	.section	.rodata,"a",@progbits
	.p2align	6, 0x0
	.amdhsa_kernel _ZN7rocprim17ROCPRIM_400000_NS6detail17trampoline_kernelINS0_14default_configENS1_22reduce_config_selectorIN6thrust23THRUST_200600_302600_NS5tupleIblNS6_9null_typeES8_S8_S8_S8_S8_S8_S8_EEEEZNS1_11reduce_implILb1ES3_PS9_SC_S9_NS6_11hip_rocprim9__find_if7functorIS9_EEEE10hipError_tPvRmT1_T2_T3_mT4_P12ihipStream_tbEUlT_E1_NS1_11comp_targetILNS1_3genE8ELNS1_11target_archE1030ELNS1_3gpuE2ELNS1_3repE0EEENS1_30default_config_static_selectorELNS0_4arch9wavefront6targetE0EEEvSK_
		.amdhsa_group_segment_fixed_size 0
		.amdhsa_private_segment_fixed_size 0
		.amdhsa_kernarg_size 56
		.amdhsa_user_sgpr_count 2
		.amdhsa_user_sgpr_dispatch_ptr 0
		.amdhsa_user_sgpr_queue_ptr 0
		.amdhsa_user_sgpr_kernarg_segment_ptr 1
		.amdhsa_user_sgpr_dispatch_id 0
		.amdhsa_user_sgpr_kernarg_preload_length 0
		.amdhsa_user_sgpr_kernarg_preload_offset 0
		.amdhsa_user_sgpr_private_segment_size 0
		.amdhsa_wavefront_size32 1
		.amdhsa_uses_dynamic_stack 0
		.amdhsa_enable_private_segment 0
		.amdhsa_system_sgpr_workgroup_id_x 1
		.amdhsa_system_sgpr_workgroup_id_y 0
		.amdhsa_system_sgpr_workgroup_id_z 0
		.amdhsa_system_sgpr_workgroup_info 0
		.amdhsa_system_vgpr_workitem_id 0
		.amdhsa_next_free_vgpr 1
		.amdhsa_next_free_sgpr 1
		.amdhsa_named_barrier_count 0
		.amdhsa_reserve_vcc 0
		.amdhsa_float_round_mode_32 0
		.amdhsa_float_round_mode_16_64 0
		.amdhsa_float_denorm_mode_32 3
		.amdhsa_float_denorm_mode_16_64 3
		.amdhsa_fp16_overflow 0
		.amdhsa_memory_ordered 1
		.amdhsa_forward_progress 1
		.amdhsa_inst_pref_size 0
		.amdhsa_round_robin_scheduling 0
		.amdhsa_exception_fp_ieee_invalid_op 0
		.amdhsa_exception_fp_denorm_src 0
		.amdhsa_exception_fp_ieee_div_zero 0
		.amdhsa_exception_fp_ieee_overflow 0
		.amdhsa_exception_fp_ieee_underflow 0
		.amdhsa_exception_fp_ieee_inexact 0
		.amdhsa_exception_int_div_zero 0
	.end_amdhsa_kernel
	.section	.text._ZN7rocprim17ROCPRIM_400000_NS6detail17trampoline_kernelINS0_14default_configENS1_22reduce_config_selectorIN6thrust23THRUST_200600_302600_NS5tupleIblNS6_9null_typeES8_S8_S8_S8_S8_S8_S8_EEEEZNS1_11reduce_implILb1ES3_PS9_SC_S9_NS6_11hip_rocprim9__find_if7functorIS9_EEEE10hipError_tPvRmT1_T2_T3_mT4_P12ihipStream_tbEUlT_E1_NS1_11comp_targetILNS1_3genE8ELNS1_11target_archE1030ELNS1_3gpuE2ELNS1_3repE0EEENS1_30default_config_static_selectorELNS0_4arch9wavefront6targetE0EEEvSK_,"axG",@progbits,_ZN7rocprim17ROCPRIM_400000_NS6detail17trampoline_kernelINS0_14default_configENS1_22reduce_config_selectorIN6thrust23THRUST_200600_302600_NS5tupleIblNS6_9null_typeES8_S8_S8_S8_S8_S8_S8_EEEEZNS1_11reduce_implILb1ES3_PS9_SC_S9_NS6_11hip_rocprim9__find_if7functorIS9_EEEE10hipError_tPvRmT1_T2_T3_mT4_P12ihipStream_tbEUlT_E1_NS1_11comp_targetILNS1_3genE8ELNS1_11target_archE1030ELNS1_3gpuE2ELNS1_3repE0EEENS1_30default_config_static_selectorELNS0_4arch9wavefront6targetE0EEEvSK_,comdat
.Lfunc_end36:
	.size	_ZN7rocprim17ROCPRIM_400000_NS6detail17trampoline_kernelINS0_14default_configENS1_22reduce_config_selectorIN6thrust23THRUST_200600_302600_NS5tupleIblNS6_9null_typeES8_S8_S8_S8_S8_S8_S8_EEEEZNS1_11reduce_implILb1ES3_PS9_SC_S9_NS6_11hip_rocprim9__find_if7functorIS9_EEEE10hipError_tPvRmT1_T2_T3_mT4_P12ihipStream_tbEUlT_E1_NS1_11comp_targetILNS1_3genE8ELNS1_11target_archE1030ELNS1_3gpuE2ELNS1_3repE0EEENS1_30default_config_static_selectorELNS0_4arch9wavefront6targetE0EEEvSK_, .Lfunc_end36-_ZN7rocprim17ROCPRIM_400000_NS6detail17trampoline_kernelINS0_14default_configENS1_22reduce_config_selectorIN6thrust23THRUST_200600_302600_NS5tupleIblNS6_9null_typeES8_S8_S8_S8_S8_S8_S8_EEEEZNS1_11reduce_implILb1ES3_PS9_SC_S9_NS6_11hip_rocprim9__find_if7functorIS9_EEEE10hipError_tPvRmT1_T2_T3_mT4_P12ihipStream_tbEUlT_E1_NS1_11comp_targetILNS1_3genE8ELNS1_11target_archE1030ELNS1_3gpuE2ELNS1_3repE0EEENS1_30default_config_static_selectorELNS0_4arch9wavefront6targetE0EEEvSK_
                                        ; -- End function
	.set _ZN7rocprim17ROCPRIM_400000_NS6detail17trampoline_kernelINS0_14default_configENS1_22reduce_config_selectorIN6thrust23THRUST_200600_302600_NS5tupleIblNS6_9null_typeES8_S8_S8_S8_S8_S8_S8_EEEEZNS1_11reduce_implILb1ES3_PS9_SC_S9_NS6_11hip_rocprim9__find_if7functorIS9_EEEE10hipError_tPvRmT1_T2_T3_mT4_P12ihipStream_tbEUlT_E1_NS1_11comp_targetILNS1_3genE8ELNS1_11target_archE1030ELNS1_3gpuE2ELNS1_3repE0EEENS1_30default_config_static_selectorELNS0_4arch9wavefront6targetE0EEEvSK_.num_vgpr, 0
	.set _ZN7rocprim17ROCPRIM_400000_NS6detail17trampoline_kernelINS0_14default_configENS1_22reduce_config_selectorIN6thrust23THRUST_200600_302600_NS5tupleIblNS6_9null_typeES8_S8_S8_S8_S8_S8_S8_EEEEZNS1_11reduce_implILb1ES3_PS9_SC_S9_NS6_11hip_rocprim9__find_if7functorIS9_EEEE10hipError_tPvRmT1_T2_T3_mT4_P12ihipStream_tbEUlT_E1_NS1_11comp_targetILNS1_3genE8ELNS1_11target_archE1030ELNS1_3gpuE2ELNS1_3repE0EEENS1_30default_config_static_selectorELNS0_4arch9wavefront6targetE0EEEvSK_.num_agpr, 0
	.set _ZN7rocprim17ROCPRIM_400000_NS6detail17trampoline_kernelINS0_14default_configENS1_22reduce_config_selectorIN6thrust23THRUST_200600_302600_NS5tupleIblNS6_9null_typeES8_S8_S8_S8_S8_S8_S8_EEEEZNS1_11reduce_implILb1ES3_PS9_SC_S9_NS6_11hip_rocprim9__find_if7functorIS9_EEEE10hipError_tPvRmT1_T2_T3_mT4_P12ihipStream_tbEUlT_E1_NS1_11comp_targetILNS1_3genE8ELNS1_11target_archE1030ELNS1_3gpuE2ELNS1_3repE0EEENS1_30default_config_static_selectorELNS0_4arch9wavefront6targetE0EEEvSK_.numbered_sgpr, 0
	.set _ZN7rocprim17ROCPRIM_400000_NS6detail17trampoline_kernelINS0_14default_configENS1_22reduce_config_selectorIN6thrust23THRUST_200600_302600_NS5tupleIblNS6_9null_typeES8_S8_S8_S8_S8_S8_S8_EEEEZNS1_11reduce_implILb1ES3_PS9_SC_S9_NS6_11hip_rocprim9__find_if7functorIS9_EEEE10hipError_tPvRmT1_T2_T3_mT4_P12ihipStream_tbEUlT_E1_NS1_11comp_targetILNS1_3genE8ELNS1_11target_archE1030ELNS1_3gpuE2ELNS1_3repE0EEENS1_30default_config_static_selectorELNS0_4arch9wavefront6targetE0EEEvSK_.num_named_barrier, 0
	.set _ZN7rocprim17ROCPRIM_400000_NS6detail17trampoline_kernelINS0_14default_configENS1_22reduce_config_selectorIN6thrust23THRUST_200600_302600_NS5tupleIblNS6_9null_typeES8_S8_S8_S8_S8_S8_S8_EEEEZNS1_11reduce_implILb1ES3_PS9_SC_S9_NS6_11hip_rocprim9__find_if7functorIS9_EEEE10hipError_tPvRmT1_T2_T3_mT4_P12ihipStream_tbEUlT_E1_NS1_11comp_targetILNS1_3genE8ELNS1_11target_archE1030ELNS1_3gpuE2ELNS1_3repE0EEENS1_30default_config_static_selectorELNS0_4arch9wavefront6targetE0EEEvSK_.private_seg_size, 0
	.set _ZN7rocprim17ROCPRIM_400000_NS6detail17trampoline_kernelINS0_14default_configENS1_22reduce_config_selectorIN6thrust23THRUST_200600_302600_NS5tupleIblNS6_9null_typeES8_S8_S8_S8_S8_S8_S8_EEEEZNS1_11reduce_implILb1ES3_PS9_SC_S9_NS6_11hip_rocprim9__find_if7functorIS9_EEEE10hipError_tPvRmT1_T2_T3_mT4_P12ihipStream_tbEUlT_E1_NS1_11comp_targetILNS1_3genE8ELNS1_11target_archE1030ELNS1_3gpuE2ELNS1_3repE0EEENS1_30default_config_static_selectorELNS0_4arch9wavefront6targetE0EEEvSK_.uses_vcc, 0
	.set _ZN7rocprim17ROCPRIM_400000_NS6detail17trampoline_kernelINS0_14default_configENS1_22reduce_config_selectorIN6thrust23THRUST_200600_302600_NS5tupleIblNS6_9null_typeES8_S8_S8_S8_S8_S8_S8_EEEEZNS1_11reduce_implILb1ES3_PS9_SC_S9_NS6_11hip_rocprim9__find_if7functorIS9_EEEE10hipError_tPvRmT1_T2_T3_mT4_P12ihipStream_tbEUlT_E1_NS1_11comp_targetILNS1_3genE8ELNS1_11target_archE1030ELNS1_3gpuE2ELNS1_3repE0EEENS1_30default_config_static_selectorELNS0_4arch9wavefront6targetE0EEEvSK_.uses_flat_scratch, 0
	.set _ZN7rocprim17ROCPRIM_400000_NS6detail17trampoline_kernelINS0_14default_configENS1_22reduce_config_selectorIN6thrust23THRUST_200600_302600_NS5tupleIblNS6_9null_typeES8_S8_S8_S8_S8_S8_S8_EEEEZNS1_11reduce_implILb1ES3_PS9_SC_S9_NS6_11hip_rocprim9__find_if7functorIS9_EEEE10hipError_tPvRmT1_T2_T3_mT4_P12ihipStream_tbEUlT_E1_NS1_11comp_targetILNS1_3genE8ELNS1_11target_archE1030ELNS1_3gpuE2ELNS1_3repE0EEENS1_30default_config_static_selectorELNS0_4arch9wavefront6targetE0EEEvSK_.has_dyn_sized_stack, 0
	.set _ZN7rocprim17ROCPRIM_400000_NS6detail17trampoline_kernelINS0_14default_configENS1_22reduce_config_selectorIN6thrust23THRUST_200600_302600_NS5tupleIblNS6_9null_typeES8_S8_S8_S8_S8_S8_S8_EEEEZNS1_11reduce_implILb1ES3_PS9_SC_S9_NS6_11hip_rocprim9__find_if7functorIS9_EEEE10hipError_tPvRmT1_T2_T3_mT4_P12ihipStream_tbEUlT_E1_NS1_11comp_targetILNS1_3genE8ELNS1_11target_archE1030ELNS1_3gpuE2ELNS1_3repE0EEENS1_30default_config_static_selectorELNS0_4arch9wavefront6targetE0EEEvSK_.has_recursion, 0
	.set _ZN7rocprim17ROCPRIM_400000_NS6detail17trampoline_kernelINS0_14default_configENS1_22reduce_config_selectorIN6thrust23THRUST_200600_302600_NS5tupleIblNS6_9null_typeES8_S8_S8_S8_S8_S8_S8_EEEEZNS1_11reduce_implILb1ES3_PS9_SC_S9_NS6_11hip_rocprim9__find_if7functorIS9_EEEE10hipError_tPvRmT1_T2_T3_mT4_P12ihipStream_tbEUlT_E1_NS1_11comp_targetILNS1_3genE8ELNS1_11target_archE1030ELNS1_3gpuE2ELNS1_3repE0EEENS1_30default_config_static_selectorELNS0_4arch9wavefront6targetE0EEEvSK_.has_indirect_call, 0
	.section	.AMDGPU.csdata,"",@progbits
; Kernel info:
; codeLenInByte = 0
; TotalNumSgprs: 0
; NumVgprs: 0
; ScratchSize: 0
; MemoryBound: 0
; FloatMode: 240
; IeeeMode: 1
; LDSByteSize: 0 bytes/workgroup (compile time only)
; SGPRBlocks: 0
; VGPRBlocks: 0
; NumSGPRsForWavesPerEU: 1
; NumVGPRsForWavesPerEU: 1
; NamedBarCnt: 0
; Occupancy: 16
; WaveLimiterHint : 0
; COMPUTE_PGM_RSRC2:SCRATCH_EN: 0
; COMPUTE_PGM_RSRC2:USER_SGPR: 2
; COMPUTE_PGM_RSRC2:TRAP_HANDLER: 0
; COMPUTE_PGM_RSRC2:TGID_X_EN: 1
; COMPUTE_PGM_RSRC2:TGID_Y_EN: 0
; COMPUTE_PGM_RSRC2:TGID_Z_EN: 0
; COMPUTE_PGM_RSRC2:TIDIG_COMP_CNT: 0
	.section	.text._ZN7rocprim17ROCPRIM_400000_NS6detail17trampoline_kernelINS0_14default_configENS1_22reduce_config_selectorIN6thrust23THRUST_200600_302600_NS5tupleIblNS6_9null_typeES8_S8_S8_S8_S8_S8_S8_EEEEZNS1_11reduce_implILb1ES3_NS6_12zip_iteratorINS7_INS6_11hip_rocprim26transform_input_iterator_tIbNSD_35transform_pair_of_input_iterators_tIbNS6_6detail15normal_iteratorINS6_10device_ptrIKdEEEESL_NS6_8equal_toIdEEEENSG_9not_fun_tINSD_8identityEEEEENSD_19counting_iterator_tIlEES8_S8_S8_S8_S8_S8_S8_S8_EEEEPS9_S9_NSD_9__find_if7functorIS9_EEEE10hipError_tPvRmT1_T2_T3_mT4_P12ihipStream_tbEUlT_E0_NS1_11comp_targetILNS1_3genE0ELNS1_11target_archE4294967295ELNS1_3gpuE0ELNS1_3repE0EEENS1_30default_config_static_selectorELNS0_4arch9wavefront6targetE0EEEvS14_,"axG",@progbits,_ZN7rocprim17ROCPRIM_400000_NS6detail17trampoline_kernelINS0_14default_configENS1_22reduce_config_selectorIN6thrust23THRUST_200600_302600_NS5tupleIblNS6_9null_typeES8_S8_S8_S8_S8_S8_S8_EEEEZNS1_11reduce_implILb1ES3_NS6_12zip_iteratorINS7_INS6_11hip_rocprim26transform_input_iterator_tIbNSD_35transform_pair_of_input_iterators_tIbNS6_6detail15normal_iteratorINS6_10device_ptrIKdEEEESL_NS6_8equal_toIdEEEENSG_9not_fun_tINSD_8identityEEEEENSD_19counting_iterator_tIlEES8_S8_S8_S8_S8_S8_S8_S8_EEEEPS9_S9_NSD_9__find_if7functorIS9_EEEE10hipError_tPvRmT1_T2_T3_mT4_P12ihipStream_tbEUlT_E0_NS1_11comp_targetILNS1_3genE0ELNS1_11target_archE4294967295ELNS1_3gpuE0ELNS1_3repE0EEENS1_30default_config_static_selectorELNS0_4arch9wavefront6targetE0EEEvS14_,comdat
	.protected	_ZN7rocprim17ROCPRIM_400000_NS6detail17trampoline_kernelINS0_14default_configENS1_22reduce_config_selectorIN6thrust23THRUST_200600_302600_NS5tupleIblNS6_9null_typeES8_S8_S8_S8_S8_S8_S8_EEEEZNS1_11reduce_implILb1ES3_NS6_12zip_iteratorINS7_INS6_11hip_rocprim26transform_input_iterator_tIbNSD_35transform_pair_of_input_iterators_tIbNS6_6detail15normal_iteratorINS6_10device_ptrIKdEEEESL_NS6_8equal_toIdEEEENSG_9not_fun_tINSD_8identityEEEEENSD_19counting_iterator_tIlEES8_S8_S8_S8_S8_S8_S8_S8_EEEEPS9_S9_NSD_9__find_if7functorIS9_EEEE10hipError_tPvRmT1_T2_T3_mT4_P12ihipStream_tbEUlT_E0_NS1_11comp_targetILNS1_3genE0ELNS1_11target_archE4294967295ELNS1_3gpuE0ELNS1_3repE0EEENS1_30default_config_static_selectorELNS0_4arch9wavefront6targetE0EEEvS14_ ; -- Begin function _ZN7rocprim17ROCPRIM_400000_NS6detail17trampoline_kernelINS0_14default_configENS1_22reduce_config_selectorIN6thrust23THRUST_200600_302600_NS5tupleIblNS6_9null_typeES8_S8_S8_S8_S8_S8_S8_EEEEZNS1_11reduce_implILb1ES3_NS6_12zip_iteratorINS7_INS6_11hip_rocprim26transform_input_iterator_tIbNSD_35transform_pair_of_input_iterators_tIbNS6_6detail15normal_iteratorINS6_10device_ptrIKdEEEESL_NS6_8equal_toIdEEEENSG_9not_fun_tINSD_8identityEEEEENSD_19counting_iterator_tIlEES8_S8_S8_S8_S8_S8_S8_S8_EEEEPS9_S9_NSD_9__find_if7functorIS9_EEEE10hipError_tPvRmT1_T2_T3_mT4_P12ihipStream_tbEUlT_E0_NS1_11comp_targetILNS1_3genE0ELNS1_11target_archE4294967295ELNS1_3gpuE0ELNS1_3repE0EEENS1_30default_config_static_selectorELNS0_4arch9wavefront6targetE0EEEvS14_
	.globl	_ZN7rocprim17ROCPRIM_400000_NS6detail17trampoline_kernelINS0_14default_configENS1_22reduce_config_selectorIN6thrust23THRUST_200600_302600_NS5tupleIblNS6_9null_typeES8_S8_S8_S8_S8_S8_S8_EEEEZNS1_11reduce_implILb1ES3_NS6_12zip_iteratorINS7_INS6_11hip_rocprim26transform_input_iterator_tIbNSD_35transform_pair_of_input_iterators_tIbNS6_6detail15normal_iteratorINS6_10device_ptrIKdEEEESL_NS6_8equal_toIdEEEENSG_9not_fun_tINSD_8identityEEEEENSD_19counting_iterator_tIlEES8_S8_S8_S8_S8_S8_S8_S8_EEEEPS9_S9_NSD_9__find_if7functorIS9_EEEE10hipError_tPvRmT1_T2_T3_mT4_P12ihipStream_tbEUlT_E0_NS1_11comp_targetILNS1_3genE0ELNS1_11target_archE4294967295ELNS1_3gpuE0ELNS1_3repE0EEENS1_30default_config_static_selectorELNS0_4arch9wavefront6targetE0EEEvS14_
	.p2align	8
	.type	_ZN7rocprim17ROCPRIM_400000_NS6detail17trampoline_kernelINS0_14default_configENS1_22reduce_config_selectorIN6thrust23THRUST_200600_302600_NS5tupleIblNS6_9null_typeES8_S8_S8_S8_S8_S8_S8_EEEEZNS1_11reduce_implILb1ES3_NS6_12zip_iteratorINS7_INS6_11hip_rocprim26transform_input_iterator_tIbNSD_35transform_pair_of_input_iterators_tIbNS6_6detail15normal_iteratorINS6_10device_ptrIKdEEEESL_NS6_8equal_toIdEEEENSG_9not_fun_tINSD_8identityEEEEENSD_19counting_iterator_tIlEES8_S8_S8_S8_S8_S8_S8_S8_EEEEPS9_S9_NSD_9__find_if7functorIS9_EEEE10hipError_tPvRmT1_T2_T3_mT4_P12ihipStream_tbEUlT_E0_NS1_11comp_targetILNS1_3genE0ELNS1_11target_archE4294967295ELNS1_3gpuE0ELNS1_3repE0EEENS1_30default_config_static_selectorELNS0_4arch9wavefront6targetE0EEEvS14_,@function
_ZN7rocprim17ROCPRIM_400000_NS6detail17trampoline_kernelINS0_14default_configENS1_22reduce_config_selectorIN6thrust23THRUST_200600_302600_NS5tupleIblNS6_9null_typeES8_S8_S8_S8_S8_S8_S8_EEEEZNS1_11reduce_implILb1ES3_NS6_12zip_iteratorINS7_INS6_11hip_rocprim26transform_input_iterator_tIbNSD_35transform_pair_of_input_iterators_tIbNS6_6detail15normal_iteratorINS6_10device_ptrIKdEEEESL_NS6_8equal_toIdEEEENSG_9not_fun_tINSD_8identityEEEEENSD_19counting_iterator_tIlEES8_S8_S8_S8_S8_S8_S8_S8_EEEEPS9_S9_NSD_9__find_if7functorIS9_EEEE10hipError_tPvRmT1_T2_T3_mT4_P12ihipStream_tbEUlT_E0_NS1_11comp_targetILNS1_3genE0ELNS1_11target_archE4294967295ELNS1_3gpuE0ELNS1_3repE0EEENS1_30default_config_static_selectorELNS0_4arch9wavefront6targetE0EEEvS14_: ; @_ZN7rocprim17ROCPRIM_400000_NS6detail17trampoline_kernelINS0_14default_configENS1_22reduce_config_selectorIN6thrust23THRUST_200600_302600_NS5tupleIblNS6_9null_typeES8_S8_S8_S8_S8_S8_S8_EEEEZNS1_11reduce_implILb1ES3_NS6_12zip_iteratorINS7_INS6_11hip_rocprim26transform_input_iterator_tIbNSD_35transform_pair_of_input_iterators_tIbNS6_6detail15normal_iteratorINS6_10device_ptrIKdEEEESL_NS6_8equal_toIdEEEENSG_9not_fun_tINSD_8identityEEEEENSD_19counting_iterator_tIlEES8_S8_S8_S8_S8_S8_S8_S8_EEEEPS9_S9_NSD_9__find_if7functorIS9_EEEE10hipError_tPvRmT1_T2_T3_mT4_P12ihipStream_tbEUlT_E0_NS1_11comp_targetILNS1_3genE0ELNS1_11target_archE4294967295ELNS1_3gpuE0ELNS1_3repE0EEENS1_30default_config_static_selectorELNS0_4arch9wavefront6targetE0EEEvS14_
; %bb.0:
	s_clause 0x2
	s_load_b256 s[4:11], s[0:1], 0x20
	s_load_b128 s[24:27], s[0:1], 0x0
	s_load_b128 s[12:15], s[0:1], 0x40
	s_bfe_u32 s3, ttmp6, 0x4000c
	s_and_b32 s2, ttmp6, 15
	s_add_co_i32 s3, s3, 1
	s_getreg_b32 s16, hwreg(HW_REG_IB_STS2, 6, 4)
	s_mul_i32 s3, ttmp9, s3
	s_mov_b32 s23, 0
	s_add_co_i32 s20, s2, s3
	v_mbcnt_lo_u32_b32 v8, -1, 0
	s_mov_b32 s17, s23
	s_wait_kmcnt 0x0
	s_lshl_b64 s[2:3], s[6:7], 3
	s_cmp_eq_u32 s16, 0
	s_add_nc_u64 s[18:19], s[24:25], s[2:3]
	s_cselect_b32 s16, ttmp9, s20
	s_add_nc_u64 s[2:3], s[26:27], s[2:3]
	s_lshl_b32 s22, s16, 8
	s_lshr_b64 s[20:21], s[8:9], 8
	s_lshl_b64 s[24:25], s[22:23], 3
	s_add_nc_u64 s[4:5], s[4:5], s[22:23]
	s_cmp_lg_u64 s[20:21], s[16:17]
	s_add_nc_u64 s[18:19], s[18:19], s[24:25]
	s_add_nc_u64 s[20:21], s[2:3], s[24:25]
	;; [unrolled: 1-line block ×3, first 2 shown]
	s_cbranch_scc0 .LBB37_10
; %bb.1:
	s_clause 0x3
	global_load_b64 v[2:3], v0, s[18:19] scale_offset
	global_load_b64 v[4:5], v0, s[20:21] scale_offset
	global_load_b64 v[6:7], v0, s[20:21] offset:1024 scale_offset
	global_load_b64 v[10:11], v0, s[18:19] offset:1024 scale_offset
	s_wait_loadcnt 0x2
	v_cmp_neq_f64_e32 vcc_lo, v[2:3], v[4:5]
	v_mov_b32_e32 v1, 0
	s_wait_loadcnt 0x0
	v_cmp_neq_f64_e64 s2, v[10:11], v[6:7]
	s_delay_alu instid0(VALU_DEP_2) | instskip(NEXT) | instid1(VALU_DEP_1)
	v_add_nc_u64_e32 v[12:13], s[6:7], v[0:1]
	v_add_nc_u64_e32 v[14:15], 0x80, v[12:13]
	s_delay_alu instid0(VALU_DEP_1) | instskip(SKIP_3) | instid1(VALU_DEP_2)
	v_dual_cndmask_b32 v3, v15, v13 :: v_dual_cndmask_b32 v2, v14, v12
	s_or_b32 vcc_lo, vcc_lo, s2
	s_mov_b32 s2, exec_lo
	v_cndmask_b32_e64 v9, 0, 1, vcc_lo
	v_mov_b32_dpp v5, v3 quad_perm:[1,0,3,2] row_mask:0xf bank_mask:0xf
	s_delay_alu instid0(VALU_DEP_2) | instskip(NEXT) | instid1(VALU_DEP_1)
	v_mov_b32_dpp v10, v9 quad_perm:[1,0,3,2] row_mask:0xf bank_mask:0xf
	v_and_b32_e32 v10, 1, v10
	v_mov_b32_dpp v4, v2 quad_perm:[1,0,3,2] row_mask:0xf bank_mask:0xf
	s_delay_alu instid0(VALU_DEP_1) | instskip(NEXT) | instid1(VALU_DEP_1)
	v_min_i64 v[6:7], v[2:3], v[4:5]
	v_dual_cndmask_b32 v4, v4, v6 :: v_dual_cndmask_b32 v5, v5, v7
	s_delay_alu instid0(VALU_DEP_4) | instskip(NEXT) | instid1(VALU_DEP_2)
	v_cmp_eq_u32_e32 vcc_lo, 1, v10
	v_dual_cndmask_b32 v3, v3, v5 :: v_dual_cndmask_b32 v2, v2, v4
	v_cndmask_b32_e64 v9, v9, 1, vcc_lo
	s_delay_alu instid0(VALU_DEP_2) | instskip(NEXT) | instid1(VALU_DEP_3)
	v_mov_b32_dpp v5, v3 quad_perm:[2,3,0,1] row_mask:0xf bank_mask:0xf
	v_mov_b32_dpp v4, v2 quad_perm:[2,3,0,1] row_mask:0xf bank_mask:0xf
	s_delay_alu instid0(VALU_DEP_3) | instskip(NEXT) | instid1(VALU_DEP_2)
	v_mov_b32_dpp v11, v9 quad_perm:[2,3,0,1] row_mask:0xf bank_mask:0xf
	v_min_i64 v[6:7], v[2:3], v[4:5]
	v_and_b32_e32 v10, 1, v9
	s_delay_alu instid0(VALU_DEP_1) | instskip(NEXT) | instid1(VALU_DEP_3)
	v_cmp_eq_u32_e32 vcc_lo, 1, v10
	v_dual_cndmask_b32 v4, v4, v6 :: v_dual_cndmask_b32 v5, v5, v7
	v_and_b32_e32 v10, 1, v11
	s_delay_alu instid0(VALU_DEP_1) | instskip(NEXT) | instid1(VALU_DEP_3)
	v_cmp_eq_u32_e32 vcc_lo, 1, v10
	v_dual_cndmask_b32 v2, v2, v4 :: v_dual_cndmask_b32 v3, v3, v5
	v_cndmask_b32_e64 v9, v9, 1, vcc_lo
	s_delay_alu instid0(VALU_DEP_2) | instskip(NEXT) | instid1(VALU_DEP_3)
	v_mov_b32_dpp v4, v2 row_ror:4 row_mask:0xf bank_mask:0xf
	v_mov_b32_dpp v5, v3 row_ror:4 row_mask:0xf bank_mask:0xf
	s_delay_alu instid0(VALU_DEP_3) | instskip(NEXT) | instid1(VALU_DEP_2)
	v_mov_b32_dpp v11, v9 row_ror:4 row_mask:0xf bank_mask:0xf
	v_min_i64 v[6:7], v[2:3], v[4:5]
	v_and_b32_e32 v10, 1, v9
	s_delay_alu instid0(VALU_DEP_1) | instskip(NEXT) | instid1(VALU_DEP_3)
	v_cmp_eq_u32_e32 vcc_lo, 1, v10
	v_dual_cndmask_b32 v4, v4, v6 :: v_dual_cndmask_b32 v5, v5, v7
	v_and_b32_e32 v10, 1, v11
	s_delay_alu instid0(VALU_DEP_1) | instskip(NEXT) | instid1(VALU_DEP_3)
	v_cmp_eq_u32_e32 vcc_lo, 1, v10
	v_dual_cndmask_b32 v2, v2, v4 :: v_dual_cndmask_b32 v3, v3, v5
	v_cndmask_b32_e64 v9, v9, 1, vcc_lo
	s_delay_alu instid0(VALU_DEP_2) | instskip(NEXT) | instid1(VALU_DEP_3)
	v_mov_b32_dpp v4, v2 row_ror:8 row_mask:0xf bank_mask:0xf
	v_mov_b32_dpp v5, v3 row_ror:8 row_mask:0xf bank_mask:0xf
	s_delay_alu instid0(VALU_DEP_3) | instskip(NEXT) | instid1(VALU_DEP_2)
	v_mov_b32_dpp v11, v9 row_ror:8 row_mask:0xf bank_mask:0xf
	v_min_i64 v[6:7], v[2:3], v[4:5]
	v_and_b32_e32 v10, 1, v9
	s_delay_alu instid0(VALU_DEP_1) | instskip(NEXT) | instid1(VALU_DEP_3)
	v_cmp_eq_u32_e32 vcc_lo, 1, v10
	v_dual_cndmask_b32 v4, v4, v6 :: v_dual_cndmask_b32 v5, v5, v7
	v_and_b32_e32 v10, 1, v11
	s_delay_alu instid0(VALU_DEP_1) | instskip(NEXT) | instid1(VALU_DEP_3)
	v_cmp_eq_u32_e32 vcc_lo, 1, v10
	v_dual_cndmask_b32 v2, v2, v4 :: v_dual_cndmask_b32 v3, v3, v5
	v_cndmask_b32_e64 v9, v9, 1, vcc_lo
	ds_swizzle_b32 v4, v2 offset:swizzle(BROADCAST,32,15)
	ds_swizzle_b32 v5, v3 offset:swizzle(BROADCAST,32,15)
	;; [unrolled: 1-line block ×3, first 2 shown]
	s_wait_dscnt 0x1
	v_min_i64 v[6:7], v[2:3], v[4:5]
	v_and_b32_e32 v11, 1, v9
	s_delay_alu instid0(VALU_DEP_1) | instskip(SKIP_1) | instid1(VALU_DEP_3)
	v_cmp_eq_u32_e32 vcc_lo, 1, v11
	s_wait_dscnt 0x0
	v_dual_cndmask_b32 v5, v5, v7, vcc_lo :: v_dual_bitop2_b32 v10, 1, v10 bitop3:0x40
	s_delay_alu instid0(VALU_DEP_4) | instskip(NEXT) | instid1(VALU_DEP_2)
	v_cndmask_b32_e32 v4, v4, v6, vcc_lo
	v_cmp_eq_u32_e32 vcc_lo, 1, v10
	s_delay_alu instid0(VALU_DEP_2)
	v_dual_cndmask_b32 v3, v3, v5 :: v_dual_cndmask_b32 v2, v2, v4
	v_cndmask_b32_e64 v5, v9, 1, vcc_lo
	ds_bpermute_b32 v3, v1, v3 offset:124
	ds_bpermute_b32 v2, v1, v2 offset:124
	;; [unrolled: 1-line block ×3, first 2 shown]
	v_cmpx_eq_u32_e32 0, v8
	s_cbranch_execz .LBB37_3
; %bb.2:
	v_lshrrev_b32_e32 v1, 1, v0
	s_delay_alu instid0(VALU_DEP_1)
	v_and_b32_e32 v1, 48, v1
	s_wait_dscnt 0x0
	ds_store_b8 v1, v6
	ds_store_b64 v1, v[2:3] offset:8
.LBB37_3:
	s_or_b32 exec_lo, exec_lo, s2
	s_delay_alu instid0(SALU_CYCLE_1)
	s_mov_b32 s2, exec_lo
	s_wait_dscnt 0x0
	s_barrier_signal -1
	s_barrier_wait -1
	v_cmpx_gt_u32_e32 32, v0
	s_cbranch_execz .LBB37_9
; %bb.4:
	v_and_b32_e32 v2, 3, v8
	s_delay_alu instid0(VALU_DEP_1) | instskip(SKIP_2) | instid1(VALU_DEP_1)
	v_cmp_ne_u32_e32 vcc_lo, 3, v2
	v_lshlrev_b32_e32 v3, 4, v2
	v_add_co_ci_u32_e64 v2, null, 0, v8, vcc_lo
	v_lshlrev_b32_e32 v2, 2, v2
	ds_load_u8 v1, v3
	ds_load_b64 v[4:5], v3 offset:8
	s_wait_dscnt 0x1
	v_and_b32_e32 v3, 0xff, v1
	s_wait_dscnt 0x0
	ds_bpermute_b32 v6, v2, v4
	ds_bpermute_b32 v7, v2, v5
	;; [unrolled: 1-line block ×3, first 2 shown]
	s_wait_dscnt 0x0
	v_and_b32_e32 v2, v1, v9
	s_delay_alu instid0(VALU_DEP_1) | instskip(NEXT) | instid1(VALU_DEP_1)
	v_and_b32_e32 v2, 1, v2
	v_cmp_eq_u32_e32 vcc_lo, 1, v2
                                        ; implicit-def: $vgpr2_vgpr3
	s_and_saveexec_b32 s3, vcc_lo
	s_delay_alu instid0(SALU_CYCLE_1)
	s_xor_b32 s3, exec_lo, s3
; %bb.5:
	v_min_i64 v[2:3], v[6:7], v[4:5]
                                        ; implicit-def: $vgpr1
                                        ; implicit-def: $vgpr6_vgpr7
                                        ; implicit-def: $vgpr4_vgpr5
                                        ; implicit-def: $vgpr9
; %bb.6:
	s_or_saveexec_b32 s3, s3
	v_dual_mov_b32 v11, 1 :: v_dual_lshlrev_b32 v10, 2, v8
	s_xor_b32 exec_lo, exec_lo, s3
; %bb.7:
	v_and_b32_e32 v1, 1, v1
	s_delay_alu instid0(VALU_DEP_1) | instskip(SKIP_2) | instid1(VALU_DEP_2)
	v_cmp_eq_u32_e32 vcc_lo, 1, v1
	v_and_b32_e32 v1, 0xff, v9
	v_dual_cndmask_b32 v3, v7, v5 :: v_dual_cndmask_b32 v2, v6, v4
	v_cndmask_b32_e64 v11, v1, 1, vcc_lo
; %bb.8:
	s_or_b32 exec_lo, exec_lo, s3
	s_delay_alu instid0(VALU_DEP_1) | instskip(NEXT) | instid1(VALU_DEP_1)
	v_and_b32_e32 v6, 1, v11
	v_cmp_eq_u32_e32 vcc_lo, 1, v6
	v_or_b32_e32 v1, 8, v10
	ds_bpermute_b32 v4, v1, v2
	ds_bpermute_b32 v5, v1, v3
	s_wait_dscnt 0x0
	v_min_i64 v[12:13], v[4:5], v[2:3]
	v_cndmask_b32_e32 v3, v5, v3, vcc_lo
	ds_bpermute_b32 v1, v1, v11
	v_cndmask_b32_e32 v2, v4, v2, vcc_lo
	s_wait_dscnt 0x0
	v_bitop3_b32 v6, v11, 1, v1 bitop3:0x80
	v_cndmask_b32_e64 v1, v1, 1, vcc_lo
	s_delay_alu instid0(VALU_DEP_2) | instskip(NEXT) | instid1(VALU_DEP_2)
	v_cmp_eq_u32_e32 vcc_lo, 0, v6
	v_dual_cndmask_b32 v6, 1, v1 :: v_dual_cndmask_b32 v3, v13, v3
	v_cndmask_b32_e32 v2, v12, v2, vcc_lo
.LBB37_9:
	s_or_b32 exec_lo, exec_lo, s2
	s_load_b64 s[4:5], s[0:1], 0x58
	s_branch .LBB37_34
.LBB37_10:
                                        ; implicit-def: $vgpr2_vgpr3
                                        ; implicit-def: $vgpr6
	s_load_b64 s[4:5], s[0:1], 0x58
	s_cbranch_execz .LBB37_34
; %bb.11:
	v_mov_b64_e32 v[4:5], 0
	v_mov_b64_e32 v[2:3], 0
	v_dual_mov_b32 v7, 0 :: v_dual_mov_b32 v1, 0
	s_sub_co_i32 s22, s8, s22
	s_mov_b32 s2, exec_lo
	v_cmpx_gt_u32_e64 s22, v0
	s_cbranch_execz .LBB37_13
; %bb.12:
	s_clause 0x1
	global_load_b64 v[10:11], v0, s[18:19] scale_offset
	global_load_b64 v[12:13], v0, s[20:21] scale_offset
	v_mov_b32_e32 v1, 0
	s_delay_alu instid0(VALU_DEP_1)
	v_add_nc_u64_e32 v[2:3], s[6:7], v[0:1]
	s_wait_loadcnt 0x0
	v_cmp_neq_f64_e32 vcc_lo, v[10:11], v[12:13]
	v_cndmask_b32_e64 v1, 0, 1, vcc_lo
.LBB37_13:
	s_or_b32 exec_lo, exec_lo, s2
	v_or_b32_e32 v6, 0x80, v0
	s_delay_alu instid0(VALU_DEP_1)
	v_cmp_gt_u32_e32 vcc_lo, s22, v6
	s_and_saveexec_b32 s3, vcc_lo
	s_cbranch_execz .LBB37_15
; %bb.14:
	s_clause 0x1
	global_load_b64 v[10:11], v0, s[18:19] offset:1024 scale_offset
	global_load_b64 v[12:13], v0, s[20:21] offset:1024 scale_offset
	v_mov_b32_e32 v7, 0
	s_delay_alu instid0(VALU_DEP_1) | instskip(SKIP_2) | instid1(VALU_DEP_1)
	v_add_nc_u64_e32 v[4:5], s[6:7], v[6:7]
	s_wait_loadcnt 0x0
	v_cmp_neq_f64_e64 s2, v[10:11], v[12:13]
	v_cndmask_b32_e64 v7, 0, 1, s2
.LBB37_15:
	s_or_b32 exec_lo, exec_lo, s3
	s_delay_alu instid0(VALU_DEP_3) | instskip(NEXT) | instid1(VALU_DEP_2)
	v_min_i64 v[10:11], v[4:5], v[2:3]
	v_and_b32_e32 v6, 1, v7
	s_mov_b32 s6, exec_lo
	s_delay_alu instid0(VALU_DEP_1) | instskip(SKIP_3) | instid1(VALU_DEP_4)
	v_cmp_eq_u32_e64 s2, 1, v6
	v_and_b32_e32 v9, 1, v1
	v_and_b32_e32 v6, 0xffff, v7
	;; [unrolled: 1-line block ×3, first 2 shown]
	v_cndmask_b32_e64 v7, v3, v11, s2
	s_delay_alu instid0(VALU_DEP_4) | instskip(SKIP_2) | instid1(VALU_DEP_3)
	v_cmp_eq_u32_e64 s3, 1, v9
	v_cndmask_b32_e64 v9, v2, v10, s2
	v_cmp_ne_u32_e64 s2, 31, v8
	v_cndmask_b32_e64 v6, v6, 1, s3
	s_delay_alu instid0(VALU_DEP_3) | instskip(NEXT) | instid1(VALU_DEP_3)
	v_dual_cndmask_b32 v4, v4, v9, s3 :: v_dual_cndmask_b32 v5, v5, v7, s3
	v_add_co_ci_u32_e64 v10, null, 0, v8, s2
	s_delay_alu instid0(VALU_DEP_2) | instskip(NEXT) | instid1(VALU_DEP_2)
	v_dual_cndmask_b32 v6, v1, v6, vcc_lo :: v_dual_cndmask_b32 v2, v2, v4, vcc_lo
	v_dual_cndmask_b32 v3, v3, v5, vcc_lo :: v_dual_lshlrev_b32 v9, 2, v10
	v_and_b32_e32 v1, 0x60, v0
	s_min_u32 s3, s22, 0x80
	ds_bpermute_b32 v7, v9, v6
	ds_bpermute_b32 v4, v9, v2
	;; [unrolled: 1-line block ×3, first 2 shown]
	v_sub_nc_u32_e64 v1, s3, v1 clamp
	v_add_nc_u32_e32 v9, 1, v8
	s_delay_alu instid0(VALU_DEP_1)
	v_cmpx_lt_u32_e64 v9, v1
	s_cbranch_execz .LBB37_17
; %bb.16:
	s_wait_dscnt 0x0
	v_min_i64 v[10:11], v[4:5], v[2:3]
	v_and_b32_e32 v9, 1, v6
	s_delay_alu instid0(VALU_DEP_1) | instskip(SKIP_3) | instid1(VALU_DEP_3)
	v_cmp_eq_u32_e32 vcc_lo, 1, v9
	v_and_b32_e32 v6, v6, v7
	v_and_b32_e32 v7, 0xff, v7
	v_dual_cndmask_b32 v2, v4, v2 :: v_dual_cndmask_b32 v3, v5, v3
	v_cmp_eq_u32_e64 s2, 0, v6
	s_delay_alu instid0(VALU_DEP_3) | instskip(NEXT) | instid1(VALU_DEP_1)
	v_cndmask_b32_e64 v4, v7, 1, vcc_lo
	v_dual_cndmask_b32 v6, 1, v4, s2 :: v_dual_cndmask_b32 v3, v11, v3, s2
	s_delay_alu instid0(VALU_DEP_4)
	v_cndmask_b32_e64 v2, v10, v2, s2
.LBB37_17:
	s_or_b32 exec_lo, exec_lo, s6
	v_cmp_gt_u32_e32 vcc_lo, 30, v8
	v_add_nc_u32_e32 v9, 2, v8
	s_mov_b32 s6, exec_lo
	s_wait_dscnt 0x1
	v_cndmask_b32_e64 v4, 0, 2, vcc_lo
	s_wait_dscnt 0x0
	s_delay_alu instid0(VALU_DEP_1)
	v_add_lshl_u32 v5, v4, v8, 2
	ds_bpermute_b32 v7, v5, v6
	ds_bpermute_b32 v4, v5, v2
	ds_bpermute_b32 v5, v5, v3
	v_cmpx_lt_u32_e64 v9, v1
	s_cbranch_execz .LBB37_19
; %bb.18:
	s_wait_dscnt 0x0
	v_min_i64 v[10:11], v[4:5], v[2:3]
	v_and_b32_e32 v9, 1, v6
	v_bitop3_b32 v6, v6, 1, v7 bitop3:0x80
	v_and_b32_e32 v7, 0xff, v7
	s_delay_alu instid0(VALU_DEP_3) | instskip(NEXT) | instid1(VALU_DEP_3)
	v_cmp_eq_u32_e32 vcc_lo, 1, v9
	v_cmp_eq_u32_e64 s2, 0, v6
	v_dual_cndmask_b32 v3, v5, v3 :: v_dual_cndmask_b32 v2, v4, v2
	s_delay_alu instid0(VALU_DEP_4) | instskip(NEXT) | instid1(VALU_DEP_1)
	v_cndmask_b32_e64 v4, v7, 1, vcc_lo
	v_dual_cndmask_b32 v6, 1, v4, s2 :: v_dual_cndmask_b32 v3, v11, v3, s2
	s_delay_alu instid0(VALU_DEP_3)
	v_cndmask_b32_e64 v2, v10, v2, s2
.LBB37_19:
	s_or_b32 exec_lo, exec_lo, s6
	v_cmp_gt_u32_e32 vcc_lo, 28, v8
	v_add_nc_u32_e32 v9, 4, v8
	s_mov_b32 s6, exec_lo
	s_wait_dscnt 0x1
	v_cndmask_b32_e64 v4, 0, 4, vcc_lo
	s_wait_dscnt 0x0
	s_delay_alu instid0(VALU_DEP_1)
	v_add_lshl_u32 v5, v4, v8, 2
	ds_bpermute_b32 v7, v5, v6
	ds_bpermute_b32 v4, v5, v2
	ds_bpermute_b32 v5, v5, v3
	v_cmpx_lt_u32_e64 v9, v1
	s_cbranch_execz .LBB37_21
; %bb.20:
	s_wait_dscnt 0x0
	v_min_i64 v[10:11], v[4:5], v[2:3]
	v_and_b32_e32 v9, 1, v6
	v_bitop3_b32 v6, v6, 1, v7 bitop3:0x80
	v_and_b32_e32 v7, 0xff, v7
	s_delay_alu instid0(VALU_DEP_3) | instskip(NEXT) | instid1(VALU_DEP_3)
	v_cmp_eq_u32_e32 vcc_lo, 1, v9
	v_cmp_eq_u32_e64 s2, 0, v6
	v_dual_cndmask_b32 v3, v5, v3 :: v_dual_cndmask_b32 v2, v4, v2
	s_delay_alu instid0(VALU_DEP_4) | instskip(NEXT) | instid1(VALU_DEP_1)
	v_cndmask_b32_e64 v4, v7, 1, vcc_lo
	v_dual_cndmask_b32 v6, 1, v4, s2 :: v_dual_cndmask_b32 v3, v11, v3, s2
	s_delay_alu instid0(VALU_DEP_3)
	v_cndmask_b32_e64 v2, v10, v2, s2
.LBB37_21:
	;; [unrolled: 30-line block ×3, first 2 shown]
	s_or_b32 exec_lo, exec_lo, s6
	s_wait_dscnt 0x2
	v_dual_lshlrev_b32 v7, 2, v8 :: v_dual_add_nc_u32 v10, 16, v8
	s_wait_dscnt 0x0
	s_delay_alu instid0(VALU_DEP_1) | instskip(NEXT) | instid1(VALU_DEP_2)
	v_or_b32_e32 v5, 64, v7
	v_cmp_lt_u32_e32 vcc_lo, v10, v1
	v_mov_b32_e32 v1, v6
	ds_bpermute_b32 v9, v5, v6
	ds_bpermute_b32 v4, v5, v2
	;; [unrolled: 1-line block ×3, first 2 shown]
	s_and_saveexec_b32 s6, vcc_lo
	s_cbranch_execz .LBB37_25
; %bb.24:
	s_wait_dscnt 0x0
	v_min_i64 v[10:11], v[4:5], v[2:3]
	v_and_b32_e32 v1, 1, v6
	v_bitop3_b32 v6, v6, 1, v9 bitop3:0x80
	s_delay_alu instid0(VALU_DEP_2) | instskip(NEXT) | instid1(VALU_DEP_2)
	v_cmp_eq_u32_e32 vcc_lo, 1, v1
	v_cmp_eq_u32_e64 s2, 0, v6
	v_cndmask_b32_e64 v1, v9, 1, vcc_lo
	v_dual_cndmask_b32 v3, v5, v3 :: v_dual_cndmask_b32 v2, v4, v2
	s_delay_alu instid0(VALU_DEP_2) | instskip(NEXT) | instid1(VALU_DEP_1)
	v_cndmask_b32_e64 v1, 1, v1, s2
	v_and_b32_e32 v6, 0xff, v1
	s_delay_alu instid0(VALU_DEP_3)
	v_dual_cndmask_b32 v3, v11, v3, s2 :: v_dual_cndmask_b32 v2, v10, v2, s2
.LBB37_25:
	s_or_b32 exec_lo, exec_lo, s6
	s_delay_alu instid0(SALU_CYCLE_1)
	s_mov_b32 s2, exec_lo
	v_cmpx_eq_u32_e32 0, v8
	s_cbranch_execz .LBB37_27
; %bb.26:
	s_wait_dscnt 0x1
	v_lshrrev_b32_e32 v4, 1, v0
	s_delay_alu instid0(VALU_DEP_1)
	v_and_b32_e32 v4, 48, v4
	ds_store_b8 v4, v1 offset:64
	ds_store_b64 v4, v[2:3] offset:72
.LBB37_27:
	s_or_b32 exec_lo, exec_lo, s2
	s_delay_alu instid0(SALU_CYCLE_1)
	s_mov_b32 s6, exec_lo
	s_wait_dscnt 0x0
	s_barrier_signal -1
	s_barrier_wait -1
	v_cmpx_gt_u32_e32 4, v0
	s_cbranch_execz .LBB37_33
; %bb.28:
	v_lshlrev_b32_e32 v1, 4, v8
	s_add_co_i32 s3, s3, 31
	s_mov_b32 s7, exec_lo
	s_lshr_b32 s3, s3, 5
	ds_load_u8 v9, v1 offset:64
	ds_load_b64 v[2:3], v1 offset:72
	v_and_b32_e32 v1, 3, v8
	s_delay_alu instid0(VALU_DEP_1) | instskip(SKIP_2) | instid1(VALU_DEP_1)
	v_cmp_ne_u32_e32 vcc_lo, 3, v1
	v_add_nc_u32_e32 v10, 1, v1
	v_add_co_ci_u32_e64 v4, null, 0, v8, vcc_lo
	v_lshlrev_b32_e32 v5, 2, v4
	s_wait_dscnt 0x1
	v_and_b32_e32 v6, 0xff, v9
	s_wait_dscnt 0x0
	ds_bpermute_b32 v4, v5, v2
	ds_bpermute_b32 v8, v5, v6
	;; [unrolled: 1-line block ×3, first 2 shown]
	v_cmpx_gt_u32_e64 s3, v10
	s_cbranch_execz .LBB37_30
; %bb.29:
	s_wait_dscnt 0x0
	v_min_i64 v[10:11], v[4:5], v[2:3]
	v_and_b32_e32 v9, 1, v9
	v_bitop3_b32 v6, v6, 1, v8 bitop3:0x80
	v_and_b32_e32 v8, 0xff, v8
	s_delay_alu instid0(VALU_DEP_3) | instskip(NEXT) | instid1(VALU_DEP_3)
	v_cmp_eq_u32_e32 vcc_lo, 1, v9
	v_cmp_eq_u32_e64 s2, 0, v6
	v_dual_cndmask_b32 v2, v4, v2 :: v_dual_cndmask_b32 v3, v5, v3
	s_delay_alu instid0(VALU_DEP_4) | instskip(NEXT) | instid1(VALU_DEP_1)
	v_cndmask_b32_e64 v4, v8, 1, vcc_lo
	v_dual_cndmask_b32 v6, 1, v4, s2 :: v_dual_cndmask_b32 v2, v10, v2, s2
	s_delay_alu instid0(VALU_DEP_3)
	v_cndmask_b32_e64 v3, v11, v3, s2
.LBB37_30:
	s_or_b32 exec_lo, exec_lo, s7
	s_wait_dscnt 0x0
	v_dual_add_nc_u32 v1, 2, v1 :: v_dual_bitop2_b32 v5, 8, v7 bitop3:0x54
	ds_bpermute_b32 v7, v5, v6
	ds_bpermute_b32 v4, v5, v2
	;; [unrolled: 1-line block ×3, first 2 shown]
	v_cmp_gt_u32_e32 vcc_lo, s3, v1
	s_and_saveexec_b32 s3, vcc_lo
	s_cbranch_execz .LBB37_32
; %bb.31:
	s_wait_dscnt 0x0
	v_min_i64 v[8:9], v[4:5], v[2:3]
	v_and_b32_e32 v1, 1, v6
	s_delay_alu instid0(VALU_DEP_1) | instskip(SKIP_2) | instid1(VALU_DEP_2)
	v_cmp_eq_u32_e32 vcc_lo, 1, v1
	v_bitop3_b32 v1, v6, 1, v7 bitop3:0x80
	v_cndmask_b32_e32 v3, v5, v3, vcc_lo
	v_cmp_eq_u32_e64 s2, 0, v1
	v_cndmask_b32_e32 v2, v4, v2, vcc_lo
	v_cndmask_b32_e64 v1, v7, 1, vcc_lo
	s_delay_alu instid0(VALU_DEP_1) | instskip(NEXT) | instid1(VALU_DEP_3)
	v_dual_cndmask_b32 v6, 1, v1, s2 :: v_dual_cndmask_b32 v3, v9, v3, s2
	v_cndmask_b32_e64 v2, v8, v2, s2
.LBB37_32:
	s_or_b32 exec_lo, exec_lo, s3
.LBB37_33:
	s_delay_alu instid0(SALU_CYCLE_1)
	s_or_b32 exec_lo, exec_lo, s6
.LBB37_34:
	s_wait_xcnt 0x0
	s_load_b32 s0, s[0:1], 0x50
	s_wait_xcnt 0x0
	s_mov_b32 s1, exec_lo
	v_cmpx_eq_u32_e32 0, v0
	s_cbranch_execz .LBB37_36
; %bb.35:
	s_mul_u64 s[2:3], s[14:15], s[12:13]
	s_delay_alu instid0(SALU_CYCLE_1)
	s_lshl_b64 s[2:3], s[2:3], 4
	s_cmp_eq_u64 s[8:9], 0
	s_add_nc_u64 s[2:3], s[10:11], s[2:3]
	s_cselect_b32 s1, -1, 0
	s_wait_kmcnt 0x0
	v_cndmask_b32_e64 v1, v3, s5, s1
	v_cndmask_b32_e64 v0, v2, s4, s1
	;; [unrolled: 1-line block ×3, first 2 shown]
	v_mov_b32_e32 v3, 0
	s_lshl_b64 s[0:1], s[16:17], 4
	s_delay_alu instid0(SALU_CYCLE_1)
	s_add_nc_u64 s[0:1], s[2:3], s[0:1]
	s_clause 0x1
	global_store_b8 v3, v2, s[0:1]
	global_store_b64 v3, v[0:1], s[0:1] offset:8
.LBB37_36:
	s_endpgm
	.section	.rodata,"a",@progbits
	.p2align	6, 0x0
	.amdhsa_kernel _ZN7rocprim17ROCPRIM_400000_NS6detail17trampoline_kernelINS0_14default_configENS1_22reduce_config_selectorIN6thrust23THRUST_200600_302600_NS5tupleIblNS6_9null_typeES8_S8_S8_S8_S8_S8_S8_EEEEZNS1_11reduce_implILb1ES3_NS6_12zip_iteratorINS7_INS6_11hip_rocprim26transform_input_iterator_tIbNSD_35transform_pair_of_input_iterators_tIbNS6_6detail15normal_iteratorINS6_10device_ptrIKdEEEESL_NS6_8equal_toIdEEEENSG_9not_fun_tINSD_8identityEEEEENSD_19counting_iterator_tIlEES8_S8_S8_S8_S8_S8_S8_S8_EEEEPS9_S9_NSD_9__find_if7functorIS9_EEEE10hipError_tPvRmT1_T2_T3_mT4_P12ihipStream_tbEUlT_E0_NS1_11comp_targetILNS1_3genE0ELNS1_11target_archE4294967295ELNS1_3gpuE0ELNS1_3repE0EEENS1_30default_config_static_selectorELNS0_4arch9wavefront6targetE0EEEvS14_
		.amdhsa_group_segment_fixed_size 128
		.amdhsa_private_segment_fixed_size 0
		.amdhsa_kernarg_size 104
		.amdhsa_user_sgpr_count 2
		.amdhsa_user_sgpr_dispatch_ptr 0
		.amdhsa_user_sgpr_queue_ptr 0
		.amdhsa_user_sgpr_kernarg_segment_ptr 1
		.amdhsa_user_sgpr_dispatch_id 0
		.amdhsa_user_sgpr_kernarg_preload_length 0
		.amdhsa_user_sgpr_kernarg_preload_offset 0
		.amdhsa_user_sgpr_private_segment_size 0
		.amdhsa_wavefront_size32 1
		.amdhsa_uses_dynamic_stack 0
		.amdhsa_enable_private_segment 0
		.amdhsa_system_sgpr_workgroup_id_x 1
		.amdhsa_system_sgpr_workgroup_id_y 0
		.amdhsa_system_sgpr_workgroup_id_z 0
		.amdhsa_system_sgpr_workgroup_info 0
		.amdhsa_system_vgpr_workitem_id 0
		.amdhsa_next_free_vgpr 16
		.amdhsa_next_free_sgpr 28
		.amdhsa_named_barrier_count 0
		.amdhsa_reserve_vcc 1
		.amdhsa_float_round_mode_32 0
		.amdhsa_float_round_mode_16_64 0
		.amdhsa_float_denorm_mode_32 3
		.amdhsa_float_denorm_mode_16_64 3
		.amdhsa_fp16_overflow 0
		.amdhsa_memory_ordered 1
		.amdhsa_forward_progress 1
		.amdhsa_inst_pref_size 23
		.amdhsa_round_robin_scheduling 0
		.amdhsa_exception_fp_ieee_invalid_op 0
		.amdhsa_exception_fp_denorm_src 0
		.amdhsa_exception_fp_ieee_div_zero 0
		.amdhsa_exception_fp_ieee_overflow 0
		.amdhsa_exception_fp_ieee_underflow 0
		.amdhsa_exception_fp_ieee_inexact 0
		.amdhsa_exception_int_div_zero 0
	.end_amdhsa_kernel
	.section	.text._ZN7rocprim17ROCPRIM_400000_NS6detail17trampoline_kernelINS0_14default_configENS1_22reduce_config_selectorIN6thrust23THRUST_200600_302600_NS5tupleIblNS6_9null_typeES8_S8_S8_S8_S8_S8_S8_EEEEZNS1_11reduce_implILb1ES3_NS6_12zip_iteratorINS7_INS6_11hip_rocprim26transform_input_iterator_tIbNSD_35transform_pair_of_input_iterators_tIbNS6_6detail15normal_iteratorINS6_10device_ptrIKdEEEESL_NS6_8equal_toIdEEEENSG_9not_fun_tINSD_8identityEEEEENSD_19counting_iterator_tIlEES8_S8_S8_S8_S8_S8_S8_S8_EEEEPS9_S9_NSD_9__find_if7functorIS9_EEEE10hipError_tPvRmT1_T2_T3_mT4_P12ihipStream_tbEUlT_E0_NS1_11comp_targetILNS1_3genE0ELNS1_11target_archE4294967295ELNS1_3gpuE0ELNS1_3repE0EEENS1_30default_config_static_selectorELNS0_4arch9wavefront6targetE0EEEvS14_,"axG",@progbits,_ZN7rocprim17ROCPRIM_400000_NS6detail17trampoline_kernelINS0_14default_configENS1_22reduce_config_selectorIN6thrust23THRUST_200600_302600_NS5tupleIblNS6_9null_typeES8_S8_S8_S8_S8_S8_S8_EEEEZNS1_11reduce_implILb1ES3_NS6_12zip_iteratorINS7_INS6_11hip_rocprim26transform_input_iterator_tIbNSD_35transform_pair_of_input_iterators_tIbNS6_6detail15normal_iteratorINS6_10device_ptrIKdEEEESL_NS6_8equal_toIdEEEENSG_9not_fun_tINSD_8identityEEEEENSD_19counting_iterator_tIlEES8_S8_S8_S8_S8_S8_S8_S8_EEEEPS9_S9_NSD_9__find_if7functorIS9_EEEE10hipError_tPvRmT1_T2_T3_mT4_P12ihipStream_tbEUlT_E0_NS1_11comp_targetILNS1_3genE0ELNS1_11target_archE4294967295ELNS1_3gpuE0ELNS1_3repE0EEENS1_30default_config_static_selectorELNS0_4arch9wavefront6targetE0EEEvS14_,comdat
.Lfunc_end37:
	.size	_ZN7rocprim17ROCPRIM_400000_NS6detail17trampoline_kernelINS0_14default_configENS1_22reduce_config_selectorIN6thrust23THRUST_200600_302600_NS5tupleIblNS6_9null_typeES8_S8_S8_S8_S8_S8_S8_EEEEZNS1_11reduce_implILb1ES3_NS6_12zip_iteratorINS7_INS6_11hip_rocprim26transform_input_iterator_tIbNSD_35transform_pair_of_input_iterators_tIbNS6_6detail15normal_iteratorINS6_10device_ptrIKdEEEESL_NS6_8equal_toIdEEEENSG_9not_fun_tINSD_8identityEEEEENSD_19counting_iterator_tIlEES8_S8_S8_S8_S8_S8_S8_S8_EEEEPS9_S9_NSD_9__find_if7functorIS9_EEEE10hipError_tPvRmT1_T2_T3_mT4_P12ihipStream_tbEUlT_E0_NS1_11comp_targetILNS1_3genE0ELNS1_11target_archE4294967295ELNS1_3gpuE0ELNS1_3repE0EEENS1_30default_config_static_selectorELNS0_4arch9wavefront6targetE0EEEvS14_, .Lfunc_end37-_ZN7rocprim17ROCPRIM_400000_NS6detail17trampoline_kernelINS0_14default_configENS1_22reduce_config_selectorIN6thrust23THRUST_200600_302600_NS5tupleIblNS6_9null_typeES8_S8_S8_S8_S8_S8_S8_EEEEZNS1_11reduce_implILb1ES3_NS6_12zip_iteratorINS7_INS6_11hip_rocprim26transform_input_iterator_tIbNSD_35transform_pair_of_input_iterators_tIbNS6_6detail15normal_iteratorINS6_10device_ptrIKdEEEESL_NS6_8equal_toIdEEEENSG_9not_fun_tINSD_8identityEEEEENSD_19counting_iterator_tIlEES8_S8_S8_S8_S8_S8_S8_S8_EEEEPS9_S9_NSD_9__find_if7functorIS9_EEEE10hipError_tPvRmT1_T2_T3_mT4_P12ihipStream_tbEUlT_E0_NS1_11comp_targetILNS1_3genE0ELNS1_11target_archE4294967295ELNS1_3gpuE0ELNS1_3repE0EEENS1_30default_config_static_selectorELNS0_4arch9wavefront6targetE0EEEvS14_
                                        ; -- End function
	.set _ZN7rocprim17ROCPRIM_400000_NS6detail17trampoline_kernelINS0_14default_configENS1_22reduce_config_selectorIN6thrust23THRUST_200600_302600_NS5tupleIblNS6_9null_typeES8_S8_S8_S8_S8_S8_S8_EEEEZNS1_11reduce_implILb1ES3_NS6_12zip_iteratorINS7_INS6_11hip_rocprim26transform_input_iterator_tIbNSD_35transform_pair_of_input_iterators_tIbNS6_6detail15normal_iteratorINS6_10device_ptrIKdEEEESL_NS6_8equal_toIdEEEENSG_9not_fun_tINSD_8identityEEEEENSD_19counting_iterator_tIlEES8_S8_S8_S8_S8_S8_S8_S8_EEEEPS9_S9_NSD_9__find_if7functorIS9_EEEE10hipError_tPvRmT1_T2_T3_mT4_P12ihipStream_tbEUlT_E0_NS1_11comp_targetILNS1_3genE0ELNS1_11target_archE4294967295ELNS1_3gpuE0ELNS1_3repE0EEENS1_30default_config_static_selectorELNS0_4arch9wavefront6targetE0EEEvS14_.num_vgpr, 16
	.set _ZN7rocprim17ROCPRIM_400000_NS6detail17trampoline_kernelINS0_14default_configENS1_22reduce_config_selectorIN6thrust23THRUST_200600_302600_NS5tupleIblNS6_9null_typeES8_S8_S8_S8_S8_S8_S8_EEEEZNS1_11reduce_implILb1ES3_NS6_12zip_iteratorINS7_INS6_11hip_rocprim26transform_input_iterator_tIbNSD_35transform_pair_of_input_iterators_tIbNS6_6detail15normal_iteratorINS6_10device_ptrIKdEEEESL_NS6_8equal_toIdEEEENSG_9not_fun_tINSD_8identityEEEEENSD_19counting_iterator_tIlEES8_S8_S8_S8_S8_S8_S8_S8_EEEEPS9_S9_NSD_9__find_if7functorIS9_EEEE10hipError_tPvRmT1_T2_T3_mT4_P12ihipStream_tbEUlT_E0_NS1_11comp_targetILNS1_3genE0ELNS1_11target_archE4294967295ELNS1_3gpuE0ELNS1_3repE0EEENS1_30default_config_static_selectorELNS0_4arch9wavefront6targetE0EEEvS14_.num_agpr, 0
	.set _ZN7rocprim17ROCPRIM_400000_NS6detail17trampoline_kernelINS0_14default_configENS1_22reduce_config_selectorIN6thrust23THRUST_200600_302600_NS5tupleIblNS6_9null_typeES8_S8_S8_S8_S8_S8_S8_EEEEZNS1_11reduce_implILb1ES3_NS6_12zip_iteratorINS7_INS6_11hip_rocprim26transform_input_iterator_tIbNSD_35transform_pair_of_input_iterators_tIbNS6_6detail15normal_iteratorINS6_10device_ptrIKdEEEESL_NS6_8equal_toIdEEEENSG_9not_fun_tINSD_8identityEEEEENSD_19counting_iterator_tIlEES8_S8_S8_S8_S8_S8_S8_S8_EEEEPS9_S9_NSD_9__find_if7functorIS9_EEEE10hipError_tPvRmT1_T2_T3_mT4_P12ihipStream_tbEUlT_E0_NS1_11comp_targetILNS1_3genE0ELNS1_11target_archE4294967295ELNS1_3gpuE0ELNS1_3repE0EEENS1_30default_config_static_selectorELNS0_4arch9wavefront6targetE0EEEvS14_.numbered_sgpr, 28
	.set _ZN7rocprim17ROCPRIM_400000_NS6detail17trampoline_kernelINS0_14default_configENS1_22reduce_config_selectorIN6thrust23THRUST_200600_302600_NS5tupleIblNS6_9null_typeES8_S8_S8_S8_S8_S8_S8_EEEEZNS1_11reduce_implILb1ES3_NS6_12zip_iteratorINS7_INS6_11hip_rocprim26transform_input_iterator_tIbNSD_35transform_pair_of_input_iterators_tIbNS6_6detail15normal_iteratorINS6_10device_ptrIKdEEEESL_NS6_8equal_toIdEEEENSG_9not_fun_tINSD_8identityEEEEENSD_19counting_iterator_tIlEES8_S8_S8_S8_S8_S8_S8_S8_EEEEPS9_S9_NSD_9__find_if7functorIS9_EEEE10hipError_tPvRmT1_T2_T3_mT4_P12ihipStream_tbEUlT_E0_NS1_11comp_targetILNS1_3genE0ELNS1_11target_archE4294967295ELNS1_3gpuE0ELNS1_3repE0EEENS1_30default_config_static_selectorELNS0_4arch9wavefront6targetE0EEEvS14_.num_named_barrier, 0
	.set _ZN7rocprim17ROCPRIM_400000_NS6detail17trampoline_kernelINS0_14default_configENS1_22reduce_config_selectorIN6thrust23THRUST_200600_302600_NS5tupleIblNS6_9null_typeES8_S8_S8_S8_S8_S8_S8_EEEEZNS1_11reduce_implILb1ES3_NS6_12zip_iteratorINS7_INS6_11hip_rocprim26transform_input_iterator_tIbNSD_35transform_pair_of_input_iterators_tIbNS6_6detail15normal_iteratorINS6_10device_ptrIKdEEEESL_NS6_8equal_toIdEEEENSG_9not_fun_tINSD_8identityEEEEENSD_19counting_iterator_tIlEES8_S8_S8_S8_S8_S8_S8_S8_EEEEPS9_S9_NSD_9__find_if7functorIS9_EEEE10hipError_tPvRmT1_T2_T3_mT4_P12ihipStream_tbEUlT_E0_NS1_11comp_targetILNS1_3genE0ELNS1_11target_archE4294967295ELNS1_3gpuE0ELNS1_3repE0EEENS1_30default_config_static_selectorELNS0_4arch9wavefront6targetE0EEEvS14_.private_seg_size, 0
	.set _ZN7rocprim17ROCPRIM_400000_NS6detail17trampoline_kernelINS0_14default_configENS1_22reduce_config_selectorIN6thrust23THRUST_200600_302600_NS5tupleIblNS6_9null_typeES8_S8_S8_S8_S8_S8_S8_EEEEZNS1_11reduce_implILb1ES3_NS6_12zip_iteratorINS7_INS6_11hip_rocprim26transform_input_iterator_tIbNSD_35transform_pair_of_input_iterators_tIbNS6_6detail15normal_iteratorINS6_10device_ptrIKdEEEESL_NS6_8equal_toIdEEEENSG_9not_fun_tINSD_8identityEEEEENSD_19counting_iterator_tIlEES8_S8_S8_S8_S8_S8_S8_S8_EEEEPS9_S9_NSD_9__find_if7functorIS9_EEEE10hipError_tPvRmT1_T2_T3_mT4_P12ihipStream_tbEUlT_E0_NS1_11comp_targetILNS1_3genE0ELNS1_11target_archE4294967295ELNS1_3gpuE0ELNS1_3repE0EEENS1_30default_config_static_selectorELNS0_4arch9wavefront6targetE0EEEvS14_.uses_vcc, 1
	.set _ZN7rocprim17ROCPRIM_400000_NS6detail17trampoline_kernelINS0_14default_configENS1_22reduce_config_selectorIN6thrust23THRUST_200600_302600_NS5tupleIblNS6_9null_typeES8_S8_S8_S8_S8_S8_S8_EEEEZNS1_11reduce_implILb1ES3_NS6_12zip_iteratorINS7_INS6_11hip_rocprim26transform_input_iterator_tIbNSD_35transform_pair_of_input_iterators_tIbNS6_6detail15normal_iteratorINS6_10device_ptrIKdEEEESL_NS6_8equal_toIdEEEENSG_9not_fun_tINSD_8identityEEEEENSD_19counting_iterator_tIlEES8_S8_S8_S8_S8_S8_S8_S8_EEEEPS9_S9_NSD_9__find_if7functorIS9_EEEE10hipError_tPvRmT1_T2_T3_mT4_P12ihipStream_tbEUlT_E0_NS1_11comp_targetILNS1_3genE0ELNS1_11target_archE4294967295ELNS1_3gpuE0ELNS1_3repE0EEENS1_30default_config_static_selectorELNS0_4arch9wavefront6targetE0EEEvS14_.uses_flat_scratch, 0
	.set _ZN7rocprim17ROCPRIM_400000_NS6detail17trampoline_kernelINS0_14default_configENS1_22reduce_config_selectorIN6thrust23THRUST_200600_302600_NS5tupleIblNS6_9null_typeES8_S8_S8_S8_S8_S8_S8_EEEEZNS1_11reduce_implILb1ES3_NS6_12zip_iteratorINS7_INS6_11hip_rocprim26transform_input_iterator_tIbNSD_35transform_pair_of_input_iterators_tIbNS6_6detail15normal_iteratorINS6_10device_ptrIKdEEEESL_NS6_8equal_toIdEEEENSG_9not_fun_tINSD_8identityEEEEENSD_19counting_iterator_tIlEES8_S8_S8_S8_S8_S8_S8_S8_EEEEPS9_S9_NSD_9__find_if7functorIS9_EEEE10hipError_tPvRmT1_T2_T3_mT4_P12ihipStream_tbEUlT_E0_NS1_11comp_targetILNS1_3genE0ELNS1_11target_archE4294967295ELNS1_3gpuE0ELNS1_3repE0EEENS1_30default_config_static_selectorELNS0_4arch9wavefront6targetE0EEEvS14_.has_dyn_sized_stack, 0
	.set _ZN7rocprim17ROCPRIM_400000_NS6detail17trampoline_kernelINS0_14default_configENS1_22reduce_config_selectorIN6thrust23THRUST_200600_302600_NS5tupleIblNS6_9null_typeES8_S8_S8_S8_S8_S8_S8_EEEEZNS1_11reduce_implILb1ES3_NS6_12zip_iteratorINS7_INS6_11hip_rocprim26transform_input_iterator_tIbNSD_35transform_pair_of_input_iterators_tIbNS6_6detail15normal_iteratorINS6_10device_ptrIKdEEEESL_NS6_8equal_toIdEEEENSG_9not_fun_tINSD_8identityEEEEENSD_19counting_iterator_tIlEES8_S8_S8_S8_S8_S8_S8_S8_EEEEPS9_S9_NSD_9__find_if7functorIS9_EEEE10hipError_tPvRmT1_T2_T3_mT4_P12ihipStream_tbEUlT_E0_NS1_11comp_targetILNS1_3genE0ELNS1_11target_archE4294967295ELNS1_3gpuE0ELNS1_3repE0EEENS1_30default_config_static_selectorELNS0_4arch9wavefront6targetE0EEEvS14_.has_recursion, 0
	.set _ZN7rocprim17ROCPRIM_400000_NS6detail17trampoline_kernelINS0_14default_configENS1_22reduce_config_selectorIN6thrust23THRUST_200600_302600_NS5tupleIblNS6_9null_typeES8_S8_S8_S8_S8_S8_S8_EEEEZNS1_11reduce_implILb1ES3_NS6_12zip_iteratorINS7_INS6_11hip_rocprim26transform_input_iterator_tIbNSD_35transform_pair_of_input_iterators_tIbNS6_6detail15normal_iteratorINS6_10device_ptrIKdEEEESL_NS6_8equal_toIdEEEENSG_9not_fun_tINSD_8identityEEEEENSD_19counting_iterator_tIlEES8_S8_S8_S8_S8_S8_S8_S8_EEEEPS9_S9_NSD_9__find_if7functorIS9_EEEE10hipError_tPvRmT1_T2_T3_mT4_P12ihipStream_tbEUlT_E0_NS1_11comp_targetILNS1_3genE0ELNS1_11target_archE4294967295ELNS1_3gpuE0ELNS1_3repE0EEENS1_30default_config_static_selectorELNS0_4arch9wavefront6targetE0EEEvS14_.has_indirect_call, 0
	.section	.AMDGPU.csdata,"",@progbits
; Kernel info:
; codeLenInByte = 2828
; TotalNumSgprs: 30
; NumVgprs: 16
; ScratchSize: 0
; MemoryBound: 0
; FloatMode: 240
; IeeeMode: 1
; LDSByteSize: 128 bytes/workgroup (compile time only)
; SGPRBlocks: 0
; VGPRBlocks: 0
; NumSGPRsForWavesPerEU: 30
; NumVGPRsForWavesPerEU: 16
; NamedBarCnt: 0
; Occupancy: 16
; WaveLimiterHint : 0
; COMPUTE_PGM_RSRC2:SCRATCH_EN: 0
; COMPUTE_PGM_RSRC2:USER_SGPR: 2
; COMPUTE_PGM_RSRC2:TRAP_HANDLER: 0
; COMPUTE_PGM_RSRC2:TGID_X_EN: 1
; COMPUTE_PGM_RSRC2:TGID_Y_EN: 0
; COMPUTE_PGM_RSRC2:TGID_Z_EN: 0
; COMPUTE_PGM_RSRC2:TIDIG_COMP_CNT: 0
	.section	.text._ZN7rocprim17ROCPRIM_400000_NS6detail17trampoline_kernelINS0_14default_configENS1_22reduce_config_selectorIN6thrust23THRUST_200600_302600_NS5tupleIblNS6_9null_typeES8_S8_S8_S8_S8_S8_S8_EEEEZNS1_11reduce_implILb1ES3_NS6_12zip_iteratorINS7_INS6_11hip_rocprim26transform_input_iterator_tIbNSD_35transform_pair_of_input_iterators_tIbNS6_6detail15normal_iteratorINS6_10device_ptrIKdEEEESL_NS6_8equal_toIdEEEENSG_9not_fun_tINSD_8identityEEEEENSD_19counting_iterator_tIlEES8_S8_S8_S8_S8_S8_S8_S8_EEEEPS9_S9_NSD_9__find_if7functorIS9_EEEE10hipError_tPvRmT1_T2_T3_mT4_P12ihipStream_tbEUlT_E0_NS1_11comp_targetILNS1_3genE5ELNS1_11target_archE942ELNS1_3gpuE9ELNS1_3repE0EEENS1_30default_config_static_selectorELNS0_4arch9wavefront6targetE0EEEvS14_,"axG",@progbits,_ZN7rocprim17ROCPRIM_400000_NS6detail17trampoline_kernelINS0_14default_configENS1_22reduce_config_selectorIN6thrust23THRUST_200600_302600_NS5tupleIblNS6_9null_typeES8_S8_S8_S8_S8_S8_S8_EEEEZNS1_11reduce_implILb1ES3_NS6_12zip_iteratorINS7_INS6_11hip_rocprim26transform_input_iterator_tIbNSD_35transform_pair_of_input_iterators_tIbNS6_6detail15normal_iteratorINS6_10device_ptrIKdEEEESL_NS6_8equal_toIdEEEENSG_9not_fun_tINSD_8identityEEEEENSD_19counting_iterator_tIlEES8_S8_S8_S8_S8_S8_S8_S8_EEEEPS9_S9_NSD_9__find_if7functorIS9_EEEE10hipError_tPvRmT1_T2_T3_mT4_P12ihipStream_tbEUlT_E0_NS1_11comp_targetILNS1_3genE5ELNS1_11target_archE942ELNS1_3gpuE9ELNS1_3repE0EEENS1_30default_config_static_selectorELNS0_4arch9wavefront6targetE0EEEvS14_,comdat
	.protected	_ZN7rocprim17ROCPRIM_400000_NS6detail17trampoline_kernelINS0_14default_configENS1_22reduce_config_selectorIN6thrust23THRUST_200600_302600_NS5tupleIblNS6_9null_typeES8_S8_S8_S8_S8_S8_S8_EEEEZNS1_11reduce_implILb1ES3_NS6_12zip_iteratorINS7_INS6_11hip_rocprim26transform_input_iterator_tIbNSD_35transform_pair_of_input_iterators_tIbNS6_6detail15normal_iteratorINS6_10device_ptrIKdEEEESL_NS6_8equal_toIdEEEENSG_9not_fun_tINSD_8identityEEEEENSD_19counting_iterator_tIlEES8_S8_S8_S8_S8_S8_S8_S8_EEEEPS9_S9_NSD_9__find_if7functorIS9_EEEE10hipError_tPvRmT1_T2_T3_mT4_P12ihipStream_tbEUlT_E0_NS1_11comp_targetILNS1_3genE5ELNS1_11target_archE942ELNS1_3gpuE9ELNS1_3repE0EEENS1_30default_config_static_selectorELNS0_4arch9wavefront6targetE0EEEvS14_ ; -- Begin function _ZN7rocprim17ROCPRIM_400000_NS6detail17trampoline_kernelINS0_14default_configENS1_22reduce_config_selectorIN6thrust23THRUST_200600_302600_NS5tupleIblNS6_9null_typeES8_S8_S8_S8_S8_S8_S8_EEEEZNS1_11reduce_implILb1ES3_NS6_12zip_iteratorINS7_INS6_11hip_rocprim26transform_input_iterator_tIbNSD_35transform_pair_of_input_iterators_tIbNS6_6detail15normal_iteratorINS6_10device_ptrIKdEEEESL_NS6_8equal_toIdEEEENSG_9not_fun_tINSD_8identityEEEEENSD_19counting_iterator_tIlEES8_S8_S8_S8_S8_S8_S8_S8_EEEEPS9_S9_NSD_9__find_if7functorIS9_EEEE10hipError_tPvRmT1_T2_T3_mT4_P12ihipStream_tbEUlT_E0_NS1_11comp_targetILNS1_3genE5ELNS1_11target_archE942ELNS1_3gpuE9ELNS1_3repE0EEENS1_30default_config_static_selectorELNS0_4arch9wavefront6targetE0EEEvS14_
	.globl	_ZN7rocprim17ROCPRIM_400000_NS6detail17trampoline_kernelINS0_14default_configENS1_22reduce_config_selectorIN6thrust23THRUST_200600_302600_NS5tupleIblNS6_9null_typeES8_S8_S8_S8_S8_S8_S8_EEEEZNS1_11reduce_implILb1ES3_NS6_12zip_iteratorINS7_INS6_11hip_rocprim26transform_input_iterator_tIbNSD_35transform_pair_of_input_iterators_tIbNS6_6detail15normal_iteratorINS6_10device_ptrIKdEEEESL_NS6_8equal_toIdEEEENSG_9not_fun_tINSD_8identityEEEEENSD_19counting_iterator_tIlEES8_S8_S8_S8_S8_S8_S8_S8_EEEEPS9_S9_NSD_9__find_if7functorIS9_EEEE10hipError_tPvRmT1_T2_T3_mT4_P12ihipStream_tbEUlT_E0_NS1_11comp_targetILNS1_3genE5ELNS1_11target_archE942ELNS1_3gpuE9ELNS1_3repE0EEENS1_30default_config_static_selectorELNS0_4arch9wavefront6targetE0EEEvS14_
	.p2align	8
	.type	_ZN7rocprim17ROCPRIM_400000_NS6detail17trampoline_kernelINS0_14default_configENS1_22reduce_config_selectorIN6thrust23THRUST_200600_302600_NS5tupleIblNS6_9null_typeES8_S8_S8_S8_S8_S8_S8_EEEEZNS1_11reduce_implILb1ES3_NS6_12zip_iteratorINS7_INS6_11hip_rocprim26transform_input_iterator_tIbNSD_35transform_pair_of_input_iterators_tIbNS6_6detail15normal_iteratorINS6_10device_ptrIKdEEEESL_NS6_8equal_toIdEEEENSG_9not_fun_tINSD_8identityEEEEENSD_19counting_iterator_tIlEES8_S8_S8_S8_S8_S8_S8_S8_EEEEPS9_S9_NSD_9__find_if7functorIS9_EEEE10hipError_tPvRmT1_T2_T3_mT4_P12ihipStream_tbEUlT_E0_NS1_11comp_targetILNS1_3genE5ELNS1_11target_archE942ELNS1_3gpuE9ELNS1_3repE0EEENS1_30default_config_static_selectorELNS0_4arch9wavefront6targetE0EEEvS14_,@function
_ZN7rocprim17ROCPRIM_400000_NS6detail17trampoline_kernelINS0_14default_configENS1_22reduce_config_selectorIN6thrust23THRUST_200600_302600_NS5tupleIblNS6_9null_typeES8_S8_S8_S8_S8_S8_S8_EEEEZNS1_11reduce_implILb1ES3_NS6_12zip_iteratorINS7_INS6_11hip_rocprim26transform_input_iterator_tIbNSD_35transform_pair_of_input_iterators_tIbNS6_6detail15normal_iteratorINS6_10device_ptrIKdEEEESL_NS6_8equal_toIdEEEENSG_9not_fun_tINSD_8identityEEEEENSD_19counting_iterator_tIlEES8_S8_S8_S8_S8_S8_S8_S8_EEEEPS9_S9_NSD_9__find_if7functorIS9_EEEE10hipError_tPvRmT1_T2_T3_mT4_P12ihipStream_tbEUlT_E0_NS1_11comp_targetILNS1_3genE5ELNS1_11target_archE942ELNS1_3gpuE9ELNS1_3repE0EEENS1_30default_config_static_selectorELNS0_4arch9wavefront6targetE0EEEvS14_: ; @_ZN7rocprim17ROCPRIM_400000_NS6detail17trampoline_kernelINS0_14default_configENS1_22reduce_config_selectorIN6thrust23THRUST_200600_302600_NS5tupleIblNS6_9null_typeES8_S8_S8_S8_S8_S8_S8_EEEEZNS1_11reduce_implILb1ES3_NS6_12zip_iteratorINS7_INS6_11hip_rocprim26transform_input_iterator_tIbNSD_35transform_pair_of_input_iterators_tIbNS6_6detail15normal_iteratorINS6_10device_ptrIKdEEEESL_NS6_8equal_toIdEEEENSG_9not_fun_tINSD_8identityEEEEENSD_19counting_iterator_tIlEES8_S8_S8_S8_S8_S8_S8_S8_EEEEPS9_S9_NSD_9__find_if7functorIS9_EEEE10hipError_tPvRmT1_T2_T3_mT4_P12ihipStream_tbEUlT_E0_NS1_11comp_targetILNS1_3genE5ELNS1_11target_archE942ELNS1_3gpuE9ELNS1_3repE0EEENS1_30default_config_static_selectorELNS0_4arch9wavefront6targetE0EEEvS14_
; %bb.0:
	.section	.rodata,"a",@progbits
	.p2align	6, 0x0
	.amdhsa_kernel _ZN7rocprim17ROCPRIM_400000_NS6detail17trampoline_kernelINS0_14default_configENS1_22reduce_config_selectorIN6thrust23THRUST_200600_302600_NS5tupleIblNS6_9null_typeES8_S8_S8_S8_S8_S8_S8_EEEEZNS1_11reduce_implILb1ES3_NS6_12zip_iteratorINS7_INS6_11hip_rocprim26transform_input_iterator_tIbNSD_35transform_pair_of_input_iterators_tIbNS6_6detail15normal_iteratorINS6_10device_ptrIKdEEEESL_NS6_8equal_toIdEEEENSG_9not_fun_tINSD_8identityEEEEENSD_19counting_iterator_tIlEES8_S8_S8_S8_S8_S8_S8_S8_EEEEPS9_S9_NSD_9__find_if7functorIS9_EEEE10hipError_tPvRmT1_T2_T3_mT4_P12ihipStream_tbEUlT_E0_NS1_11comp_targetILNS1_3genE5ELNS1_11target_archE942ELNS1_3gpuE9ELNS1_3repE0EEENS1_30default_config_static_selectorELNS0_4arch9wavefront6targetE0EEEvS14_
		.amdhsa_group_segment_fixed_size 0
		.amdhsa_private_segment_fixed_size 0
		.amdhsa_kernarg_size 104
		.amdhsa_user_sgpr_count 2
		.amdhsa_user_sgpr_dispatch_ptr 0
		.amdhsa_user_sgpr_queue_ptr 0
		.amdhsa_user_sgpr_kernarg_segment_ptr 1
		.amdhsa_user_sgpr_dispatch_id 0
		.amdhsa_user_sgpr_kernarg_preload_length 0
		.amdhsa_user_sgpr_kernarg_preload_offset 0
		.amdhsa_user_sgpr_private_segment_size 0
		.amdhsa_wavefront_size32 1
		.amdhsa_uses_dynamic_stack 0
		.amdhsa_enable_private_segment 0
		.amdhsa_system_sgpr_workgroup_id_x 1
		.amdhsa_system_sgpr_workgroup_id_y 0
		.amdhsa_system_sgpr_workgroup_id_z 0
		.amdhsa_system_sgpr_workgroup_info 0
		.amdhsa_system_vgpr_workitem_id 0
		.amdhsa_next_free_vgpr 1
		.amdhsa_next_free_sgpr 1
		.amdhsa_named_barrier_count 0
		.amdhsa_reserve_vcc 0
		.amdhsa_float_round_mode_32 0
		.amdhsa_float_round_mode_16_64 0
		.amdhsa_float_denorm_mode_32 3
		.amdhsa_float_denorm_mode_16_64 3
		.amdhsa_fp16_overflow 0
		.amdhsa_memory_ordered 1
		.amdhsa_forward_progress 1
		.amdhsa_inst_pref_size 0
		.amdhsa_round_robin_scheduling 0
		.amdhsa_exception_fp_ieee_invalid_op 0
		.amdhsa_exception_fp_denorm_src 0
		.amdhsa_exception_fp_ieee_div_zero 0
		.amdhsa_exception_fp_ieee_overflow 0
		.amdhsa_exception_fp_ieee_underflow 0
		.amdhsa_exception_fp_ieee_inexact 0
		.amdhsa_exception_int_div_zero 0
	.end_amdhsa_kernel
	.section	.text._ZN7rocprim17ROCPRIM_400000_NS6detail17trampoline_kernelINS0_14default_configENS1_22reduce_config_selectorIN6thrust23THRUST_200600_302600_NS5tupleIblNS6_9null_typeES8_S8_S8_S8_S8_S8_S8_EEEEZNS1_11reduce_implILb1ES3_NS6_12zip_iteratorINS7_INS6_11hip_rocprim26transform_input_iterator_tIbNSD_35transform_pair_of_input_iterators_tIbNS6_6detail15normal_iteratorINS6_10device_ptrIKdEEEESL_NS6_8equal_toIdEEEENSG_9not_fun_tINSD_8identityEEEEENSD_19counting_iterator_tIlEES8_S8_S8_S8_S8_S8_S8_S8_EEEEPS9_S9_NSD_9__find_if7functorIS9_EEEE10hipError_tPvRmT1_T2_T3_mT4_P12ihipStream_tbEUlT_E0_NS1_11comp_targetILNS1_3genE5ELNS1_11target_archE942ELNS1_3gpuE9ELNS1_3repE0EEENS1_30default_config_static_selectorELNS0_4arch9wavefront6targetE0EEEvS14_,"axG",@progbits,_ZN7rocprim17ROCPRIM_400000_NS6detail17trampoline_kernelINS0_14default_configENS1_22reduce_config_selectorIN6thrust23THRUST_200600_302600_NS5tupleIblNS6_9null_typeES8_S8_S8_S8_S8_S8_S8_EEEEZNS1_11reduce_implILb1ES3_NS6_12zip_iteratorINS7_INS6_11hip_rocprim26transform_input_iterator_tIbNSD_35transform_pair_of_input_iterators_tIbNS6_6detail15normal_iteratorINS6_10device_ptrIKdEEEESL_NS6_8equal_toIdEEEENSG_9not_fun_tINSD_8identityEEEEENSD_19counting_iterator_tIlEES8_S8_S8_S8_S8_S8_S8_S8_EEEEPS9_S9_NSD_9__find_if7functorIS9_EEEE10hipError_tPvRmT1_T2_T3_mT4_P12ihipStream_tbEUlT_E0_NS1_11comp_targetILNS1_3genE5ELNS1_11target_archE942ELNS1_3gpuE9ELNS1_3repE0EEENS1_30default_config_static_selectorELNS0_4arch9wavefront6targetE0EEEvS14_,comdat
.Lfunc_end38:
	.size	_ZN7rocprim17ROCPRIM_400000_NS6detail17trampoline_kernelINS0_14default_configENS1_22reduce_config_selectorIN6thrust23THRUST_200600_302600_NS5tupleIblNS6_9null_typeES8_S8_S8_S8_S8_S8_S8_EEEEZNS1_11reduce_implILb1ES3_NS6_12zip_iteratorINS7_INS6_11hip_rocprim26transform_input_iterator_tIbNSD_35transform_pair_of_input_iterators_tIbNS6_6detail15normal_iteratorINS6_10device_ptrIKdEEEESL_NS6_8equal_toIdEEEENSG_9not_fun_tINSD_8identityEEEEENSD_19counting_iterator_tIlEES8_S8_S8_S8_S8_S8_S8_S8_EEEEPS9_S9_NSD_9__find_if7functorIS9_EEEE10hipError_tPvRmT1_T2_T3_mT4_P12ihipStream_tbEUlT_E0_NS1_11comp_targetILNS1_3genE5ELNS1_11target_archE942ELNS1_3gpuE9ELNS1_3repE0EEENS1_30default_config_static_selectorELNS0_4arch9wavefront6targetE0EEEvS14_, .Lfunc_end38-_ZN7rocprim17ROCPRIM_400000_NS6detail17trampoline_kernelINS0_14default_configENS1_22reduce_config_selectorIN6thrust23THRUST_200600_302600_NS5tupleIblNS6_9null_typeES8_S8_S8_S8_S8_S8_S8_EEEEZNS1_11reduce_implILb1ES3_NS6_12zip_iteratorINS7_INS6_11hip_rocprim26transform_input_iterator_tIbNSD_35transform_pair_of_input_iterators_tIbNS6_6detail15normal_iteratorINS6_10device_ptrIKdEEEESL_NS6_8equal_toIdEEEENSG_9not_fun_tINSD_8identityEEEEENSD_19counting_iterator_tIlEES8_S8_S8_S8_S8_S8_S8_S8_EEEEPS9_S9_NSD_9__find_if7functorIS9_EEEE10hipError_tPvRmT1_T2_T3_mT4_P12ihipStream_tbEUlT_E0_NS1_11comp_targetILNS1_3genE5ELNS1_11target_archE942ELNS1_3gpuE9ELNS1_3repE0EEENS1_30default_config_static_selectorELNS0_4arch9wavefront6targetE0EEEvS14_
                                        ; -- End function
	.set _ZN7rocprim17ROCPRIM_400000_NS6detail17trampoline_kernelINS0_14default_configENS1_22reduce_config_selectorIN6thrust23THRUST_200600_302600_NS5tupleIblNS6_9null_typeES8_S8_S8_S8_S8_S8_S8_EEEEZNS1_11reduce_implILb1ES3_NS6_12zip_iteratorINS7_INS6_11hip_rocprim26transform_input_iterator_tIbNSD_35transform_pair_of_input_iterators_tIbNS6_6detail15normal_iteratorINS6_10device_ptrIKdEEEESL_NS6_8equal_toIdEEEENSG_9not_fun_tINSD_8identityEEEEENSD_19counting_iterator_tIlEES8_S8_S8_S8_S8_S8_S8_S8_EEEEPS9_S9_NSD_9__find_if7functorIS9_EEEE10hipError_tPvRmT1_T2_T3_mT4_P12ihipStream_tbEUlT_E0_NS1_11comp_targetILNS1_3genE5ELNS1_11target_archE942ELNS1_3gpuE9ELNS1_3repE0EEENS1_30default_config_static_selectorELNS0_4arch9wavefront6targetE0EEEvS14_.num_vgpr, 0
	.set _ZN7rocprim17ROCPRIM_400000_NS6detail17trampoline_kernelINS0_14default_configENS1_22reduce_config_selectorIN6thrust23THRUST_200600_302600_NS5tupleIblNS6_9null_typeES8_S8_S8_S8_S8_S8_S8_EEEEZNS1_11reduce_implILb1ES3_NS6_12zip_iteratorINS7_INS6_11hip_rocprim26transform_input_iterator_tIbNSD_35transform_pair_of_input_iterators_tIbNS6_6detail15normal_iteratorINS6_10device_ptrIKdEEEESL_NS6_8equal_toIdEEEENSG_9not_fun_tINSD_8identityEEEEENSD_19counting_iterator_tIlEES8_S8_S8_S8_S8_S8_S8_S8_EEEEPS9_S9_NSD_9__find_if7functorIS9_EEEE10hipError_tPvRmT1_T2_T3_mT4_P12ihipStream_tbEUlT_E0_NS1_11comp_targetILNS1_3genE5ELNS1_11target_archE942ELNS1_3gpuE9ELNS1_3repE0EEENS1_30default_config_static_selectorELNS0_4arch9wavefront6targetE0EEEvS14_.num_agpr, 0
	.set _ZN7rocprim17ROCPRIM_400000_NS6detail17trampoline_kernelINS0_14default_configENS1_22reduce_config_selectorIN6thrust23THRUST_200600_302600_NS5tupleIblNS6_9null_typeES8_S8_S8_S8_S8_S8_S8_EEEEZNS1_11reduce_implILb1ES3_NS6_12zip_iteratorINS7_INS6_11hip_rocprim26transform_input_iterator_tIbNSD_35transform_pair_of_input_iterators_tIbNS6_6detail15normal_iteratorINS6_10device_ptrIKdEEEESL_NS6_8equal_toIdEEEENSG_9not_fun_tINSD_8identityEEEEENSD_19counting_iterator_tIlEES8_S8_S8_S8_S8_S8_S8_S8_EEEEPS9_S9_NSD_9__find_if7functorIS9_EEEE10hipError_tPvRmT1_T2_T3_mT4_P12ihipStream_tbEUlT_E0_NS1_11comp_targetILNS1_3genE5ELNS1_11target_archE942ELNS1_3gpuE9ELNS1_3repE0EEENS1_30default_config_static_selectorELNS0_4arch9wavefront6targetE0EEEvS14_.numbered_sgpr, 0
	.set _ZN7rocprim17ROCPRIM_400000_NS6detail17trampoline_kernelINS0_14default_configENS1_22reduce_config_selectorIN6thrust23THRUST_200600_302600_NS5tupleIblNS6_9null_typeES8_S8_S8_S8_S8_S8_S8_EEEEZNS1_11reduce_implILb1ES3_NS6_12zip_iteratorINS7_INS6_11hip_rocprim26transform_input_iterator_tIbNSD_35transform_pair_of_input_iterators_tIbNS6_6detail15normal_iteratorINS6_10device_ptrIKdEEEESL_NS6_8equal_toIdEEEENSG_9not_fun_tINSD_8identityEEEEENSD_19counting_iterator_tIlEES8_S8_S8_S8_S8_S8_S8_S8_EEEEPS9_S9_NSD_9__find_if7functorIS9_EEEE10hipError_tPvRmT1_T2_T3_mT4_P12ihipStream_tbEUlT_E0_NS1_11comp_targetILNS1_3genE5ELNS1_11target_archE942ELNS1_3gpuE9ELNS1_3repE0EEENS1_30default_config_static_selectorELNS0_4arch9wavefront6targetE0EEEvS14_.num_named_barrier, 0
	.set _ZN7rocprim17ROCPRIM_400000_NS6detail17trampoline_kernelINS0_14default_configENS1_22reduce_config_selectorIN6thrust23THRUST_200600_302600_NS5tupleIblNS6_9null_typeES8_S8_S8_S8_S8_S8_S8_EEEEZNS1_11reduce_implILb1ES3_NS6_12zip_iteratorINS7_INS6_11hip_rocprim26transform_input_iterator_tIbNSD_35transform_pair_of_input_iterators_tIbNS6_6detail15normal_iteratorINS6_10device_ptrIKdEEEESL_NS6_8equal_toIdEEEENSG_9not_fun_tINSD_8identityEEEEENSD_19counting_iterator_tIlEES8_S8_S8_S8_S8_S8_S8_S8_EEEEPS9_S9_NSD_9__find_if7functorIS9_EEEE10hipError_tPvRmT1_T2_T3_mT4_P12ihipStream_tbEUlT_E0_NS1_11comp_targetILNS1_3genE5ELNS1_11target_archE942ELNS1_3gpuE9ELNS1_3repE0EEENS1_30default_config_static_selectorELNS0_4arch9wavefront6targetE0EEEvS14_.private_seg_size, 0
	.set _ZN7rocprim17ROCPRIM_400000_NS6detail17trampoline_kernelINS0_14default_configENS1_22reduce_config_selectorIN6thrust23THRUST_200600_302600_NS5tupleIblNS6_9null_typeES8_S8_S8_S8_S8_S8_S8_EEEEZNS1_11reduce_implILb1ES3_NS6_12zip_iteratorINS7_INS6_11hip_rocprim26transform_input_iterator_tIbNSD_35transform_pair_of_input_iterators_tIbNS6_6detail15normal_iteratorINS6_10device_ptrIKdEEEESL_NS6_8equal_toIdEEEENSG_9not_fun_tINSD_8identityEEEEENSD_19counting_iterator_tIlEES8_S8_S8_S8_S8_S8_S8_S8_EEEEPS9_S9_NSD_9__find_if7functorIS9_EEEE10hipError_tPvRmT1_T2_T3_mT4_P12ihipStream_tbEUlT_E0_NS1_11comp_targetILNS1_3genE5ELNS1_11target_archE942ELNS1_3gpuE9ELNS1_3repE0EEENS1_30default_config_static_selectorELNS0_4arch9wavefront6targetE0EEEvS14_.uses_vcc, 0
	.set _ZN7rocprim17ROCPRIM_400000_NS6detail17trampoline_kernelINS0_14default_configENS1_22reduce_config_selectorIN6thrust23THRUST_200600_302600_NS5tupleIblNS6_9null_typeES8_S8_S8_S8_S8_S8_S8_EEEEZNS1_11reduce_implILb1ES3_NS6_12zip_iteratorINS7_INS6_11hip_rocprim26transform_input_iterator_tIbNSD_35transform_pair_of_input_iterators_tIbNS6_6detail15normal_iteratorINS6_10device_ptrIKdEEEESL_NS6_8equal_toIdEEEENSG_9not_fun_tINSD_8identityEEEEENSD_19counting_iterator_tIlEES8_S8_S8_S8_S8_S8_S8_S8_EEEEPS9_S9_NSD_9__find_if7functorIS9_EEEE10hipError_tPvRmT1_T2_T3_mT4_P12ihipStream_tbEUlT_E0_NS1_11comp_targetILNS1_3genE5ELNS1_11target_archE942ELNS1_3gpuE9ELNS1_3repE0EEENS1_30default_config_static_selectorELNS0_4arch9wavefront6targetE0EEEvS14_.uses_flat_scratch, 0
	.set _ZN7rocprim17ROCPRIM_400000_NS6detail17trampoline_kernelINS0_14default_configENS1_22reduce_config_selectorIN6thrust23THRUST_200600_302600_NS5tupleIblNS6_9null_typeES8_S8_S8_S8_S8_S8_S8_EEEEZNS1_11reduce_implILb1ES3_NS6_12zip_iteratorINS7_INS6_11hip_rocprim26transform_input_iterator_tIbNSD_35transform_pair_of_input_iterators_tIbNS6_6detail15normal_iteratorINS6_10device_ptrIKdEEEESL_NS6_8equal_toIdEEEENSG_9not_fun_tINSD_8identityEEEEENSD_19counting_iterator_tIlEES8_S8_S8_S8_S8_S8_S8_S8_EEEEPS9_S9_NSD_9__find_if7functorIS9_EEEE10hipError_tPvRmT1_T2_T3_mT4_P12ihipStream_tbEUlT_E0_NS1_11comp_targetILNS1_3genE5ELNS1_11target_archE942ELNS1_3gpuE9ELNS1_3repE0EEENS1_30default_config_static_selectorELNS0_4arch9wavefront6targetE0EEEvS14_.has_dyn_sized_stack, 0
	.set _ZN7rocprim17ROCPRIM_400000_NS6detail17trampoline_kernelINS0_14default_configENS1_22reduce_config_selectorIN6thrust23THRUST_200600_302600_NS5tupleIblNS6_9null_typeES8_S8_S8_S8_S8_S8_S8_EEEEZNS1_11reduce_implILb1ES3_NS6_12zip_iteratorINS7_INS6_11hip_rocprim26transform_input_iterator_tIbNSD_35transform_pair_of_input_iterators_tIbNS6_6detail15normal_iteratorINS6_10device_ptrIKdEEEESL_NS6_8equal_toIdEEEENSG_9not_fun_tINSD_8identityEEEEENSD_19counting_iterator_tIlEES8_S8_S8_S8_S8_S8_S8_S8_EEEEPS9_S9_NSD_9__find_if7functorIS9_EEEE10hipError_tPvRmT1_T2_T3_mT4_P12ihipStream_tbEUlT_E0_NS1_11comp_targetILNS1_3genE5ELNS1_11target_archE942ELNS1_3gpuE9ELNS1_3repE0EEENS1_30default_config_static_selectorELNS0_4arch9wavefront6targetE0EEEvS14_.has_recursion, 0
	.set _ZN7rocprim17ROCPRIM_400000_NS6detail17trampoline_kernelINS0_14default_configENS1_22reduce_config_selectorIN6thrust23THRUST_200600_302600_NS5tupleIblNS6_9null_typeES8_S8_S8_S8_S8_S8_S8_EEEEZNS1_11reduce_implILb1ES3_NS6_12zip_iteratorINS7_INS6_11hip_rocprim26transform_input_iterator_tIbNSD_35transform_pair_of_input_iterators_tIbNS6_6detail15normal_iteratorINS6_10device_ptrIKdEEEESL_NS6_8equal_toIdEEEENSG_9not_fun_tINSD_8identityEEEEENSD_19counting_iterator_tIlEES8_S8_S8_S8_S8_S8_S8_S8_EEEEPS9_S9_NSD_9__find_if7functorIS9_EEEE10hipError_tPvRmT1_T2_T3_mT4_P12ihipStream_tbEUlT_E0_NS1_11comp_targetILNS1_3genE5ELNS1_11target_archE942ELNS1_3gpuE9ELNS1_3repE0EEENS1_30default_config_static_selectorELNS0_4arch9wavefront6targetE0EEEvS14_.has_indirect_call, 0
	.section	.AMDGPU.csdata,"",@progbits
; Kernel info:
; codeLenInByte = 0
; TotalNumSgprs: 0
; NumVgprs: 0
; ScratchSize: 0
; MemoryBound: 0
; FloatMode: 240
; IeeeMode: 1
; LDSByteSize: 0 bytes/workgroup (compile time only)
; SGPRBlocks: 0
; VGPRBlocks: 0
; NumSGPRsForWavesPerEU: 1
; NumVGPRsForWavesPerEU: 1
; NamedBarCnt: 0
; Occupancy: 16
; WaveLimiterHint : 0
; COMPUTE_PGM_RSRC2:SCRATCH_EN: 0
; COMPUTE_PGM_RSRC2:USER_SGPR: 2
; COMPUTE_PGM_RSRC2:TRAP_HANDLER: 0
; COMPUTE_PGM_RSRC2:TGID_X_EN: 1
; COMPUTE_PGM_RSRC2:TGID_Y_EN: 0
; COMPUTE_PGM_RSRC2:TGID_Z_EN: 0
; COMPUTE_PGM_RSRC2:TIDIG_COMP_CNT: 0
	.section	.text._ZN7rocprim17ROCPRIM_400000_NS6detail17trampoline_kernelINS0_14default_configENS1_22reduce_config_selectorIN6thrust23THRUST_200600_302600_NS5tupleIblNS6_9null_typeES8_S8_S8_S8_S8_S8_S8_EEEEZNS1_11reduce_implILb1ES3_NS6_12zip_iteratorINS7_INS6_11hip_rocprim26transform_input_iterator_tIbNSD_35transform_pair_of_input_iterators_tIbNS6_6detail15normal_iteratorINS6_10device_ptrIKdEEEESL_NS6_8equal_toIdEEEENSG_9not_fun_tINSD_8identityEEEEENSD_19counting_iterator_tIlEES8_S8_S8_S8_S8_S8_S8_S8_EEEEPS9_S9_NSD_9__find_if7functorIS9_EEEE10hipError_tPvRmT1_T2_T3_mT4_P12ihipStream_tbEUlT_E0_NS1_11comp_targetILNS1_3genE4ELNS1_11target_archE910ELNS1_3gpuE8ELNS1_3repE0EEENS1_30default_config_static_selectorELNS0_4arch9wavefront6targetE0EEEvS14_,"axG",@progbits,_ZN7rocprim17ROCPRIM_400000_NS6detail17trampoline_kernelINS0_14default_configENS1_22reduce_config_selectorIN6thrust23THRUST_200600_302600_NS5tupleIblNS6_9null_typeES8_S8_S8_S8_S8_S8_S8_EEEEZNS1_11reduce_implILb1ES3_NS6_12zip_iteratorINS7_INS6_11hip_rocprim26transform_input_iterator_tIbNSD_35transform_pair_of_input_iterators_tIbNS6_6detail15normal_iteratorINS6_10device_ptrIKdEEEESL_NS6_8equal_toIdEEEENSG_9not_fun_tINSD_8identityEEEEENSD_19counting_iterator_tIlEES8_S8_S8_S8_S8_S8_S8_S8_EEEEPS9_S9_NSD_9__find_if7functorIS9_EEEE10hipError_tPvRmT1_T2_T3_mT4_P12ihipStream_tbEUlT_E0_NS1_11comp_targetILNS1_3genE4ELNS1_11target_archE910ELNS1_3gpuE8ELNS1_3repE0EEENS1_30default_config_static_selectorELNS0_4arch9wavefront6targetE0EEEvS14_,comdat
	.protected	_ZN7rocprim17ROCPRIM_400000_NS6detail17trampoline_kernelINS0_14default_configENS1_22reduce_config_selectorIN6thrust23THRUST_200600_302600_NS5tupleIblNS6_9null_typeES8_S8_S8_S8_S8_S8_S8_EEEEZNS1_11reduce_implILb1ES3_NS6_12zip_iteratorINS7_INS6_11hip_rocprim26transform_input_iterator_tIbNSD_35transform_pair_of_input_iterators_tIbNS6_6detail15normal_iteratorINS6_10device_ptrIKdEEEESL_NS6_8equal_toIdEEEENSG_9not_fun_tINSD_8identityEEEEENSD_19counting_iterator_tIlEES8_S8_S8_S8_S8_S8_S8_S8_EEEEPS9_S9_NSD_9__find_if7functorIS9_EEEE10hipError_tPvRmT1_T2_T3_mT4_P12ihipStream_tbEUlT_E0_NS1_11comp_targetILNS1_3genE4ELNS1_11target_archE910ELNS1_3gpuE8ELNS1_3repE0EEENS1_30default_config_static_selectorELNS0_4arch9wavefront6targetE0EEEvS14_ ; -- Begin function _ZN7rocprim17ROCPRIM_400000_NS6detail17trampoline_kernelINS0_14default_configENS1_22reduce_config_selectorIN6thrust23THRUST_200600_302600_NS5tupleIblNS6_9null_typeES8_S8_S8_S8_S8_S8_S8_EEEEZNS1_11reduce_implILb1ES3_NS6_12zip_iteratorINS7_INS6_11hip_rocprim26transform_input_iterator_tIbNSD_35transform_pair_of_input_iterators_tIbNS6_6detail15normal_iteratorINS6_10device_ptrIKdEEEESL_NS6_8equal_toIdEEEENSG_9not_fun_tINSD_8identityEEEEENSD_19counting_iterator_tIlEES8_S8_S8_S8_S8_S8_S8_S8_EEEEPS9_S9_NSD_9__find_if7functorIS9_EEEE10hipError_tPvRmT1_T2_T3_mT4_P12ihipStream_tbEUlT_E0_NS1_11comp_targetILNS1_3genE4ELNS1_11target_archE910ELNS1_3gpuE8ELNS1_3repE0EEENS1_30default_config_static_selectorELNS0_4arch9wavefront6targetE0EEEvS14_
	.globl	_ZN7rocprim17ROCPRIM_400000_NS6detail17trampoline_kernelINS0_14default_configENS1_22reduce_config_selectorIN6thrust23THRUST_200600_302600_NS5tupleIblNS6_9null_typeES8_S8_S8_S8_S8_S8_S8_EEEEZNS1_11reduce_implILb1ES3_NS6_12zip_iteratorINS7_INS6_11hip_rocprim26transform_input_iterator_tIbNSD_35transform_pair_of_input_iterators_tIbNS6_6detail15normal_iteratorINS6_10device_ptrIKdEEEESL_NS6_8equal_toIdEEEENSG_9not_fun_tINSD_8identityEEEEENSD_19counting_iterator_tIlEES8_S8_S8_S8_S8_S8_S8_S8_EEEEPS9_S9_NSD_9__find_if7functorIS9_EEEE10hipError_tPvRmT1_T2_T3_mT4_P12ihipStream_tbEUlT_E0_NS1_11comp_targetILNS1_3genE4ELNS1_11target_archE910ELNS1_3gpuE8ELNS1_3repE0EEENS1_30default_config_static_selectorELNS0_4arch9wavefront6targetE0EEEvS14_
	.p2align	8
	.type	_ZN7rocprim17ROCPRIM_400000_NS6detail17trampoline_kernelINS0_14default_configENS1_22reduce_config_selectorIN6thrust23THRUST_200600_302600_NS5tupleIblNS6_9null_typeES8_S8_S8_S8_S8_S8_S8_EEEEZNS1_11reduce_implILb1ES3_NS6_12zip_iteratorINS7_INS6_11hip_rocprim26transform_input_iterator_tIbNSD_35transform_pair_of_input_iterators_tIbNS6_6detail15normal_iteratorINS6_10device_ptrIKdEEEESL_NS6_8equal_toIdEEEENSG_9not_fun_tINSD_8identityEEEEENSD_19counting_iterator_tIlEES8_S8_S8_S8_S8_S8_S8_S8_EEEEPS9_S9_NSD_9__find_if7functorIS9_EEEE10hipError_tPvRmT1_T2_T3_mT4_P12ihipStream_tbEUlT_E0_NS1_11comp_targetILNS1_3genE4ELNS1_11target_archE910ELNS1_3gpuE8ELNS1_3repE0EEENS1_30default_config_static_selectorELNS0_4arch9wavefront6targetE0EEEvS14_,@function
_ZN7rocprim17ROCPRIM_400000_NS6detail17trampoline_kernelINS0_14default_configENS1_22reduce_config_selectorIN6thrust23THRUST_200600_302600_NS5tupleIblNS6_9null_typeES8_S8_S8_S8_S8_S8_S8_EEEEZNS1_11reduce_implILb1ES3_NS6_12zip_iteratorINS7_INS6_11hip_rocprim26transform_input_iterator_tIbNSD_35transform_pair_of_input_iterators_tIbNS6_6detail15normal_iteratorINS6_10device_ptrIKdEEEESL_NS6_8equal_toIdEEEENSG_9not_fun_tINSD_8identityEEEEENSD_19counting_iterator_tIlEES8_S8_S8_S8_S8_S8_S8_S8_EEEEPS9_S9_NSD_9__find_if7functorIS9_EEEE10hipError_tPvRmT1_T2_T3_mT4_P12ihipStream_tbEUlT_E0_NS1_11comp_targetILNS1_3genE4ELNS1_11target_archE910ELNS1_3gpuE8ELNS1_3repE0EEENS1_30default_config_static_selectorELNS0_4arch9wavefront6targetE0EEEvS14_: ; @_ZN7rocprim17ROCPRIM_400000_NS6detail17trampoline_kernelINS0_14default_configENS1_22reduce_config_selectorIN6thrust23THRUST_200600_302600_NS5tupleIblNS6_9null_typeES8_S8_S8_S8_S8_S8_S8_EEEEZNS1_11reduce_implILb1ES3_NS6_12zip_iteratorINS7_INS6_11hip_rocprim26transform_input_iterator_tIbNSD_35transform_pair_of_input_iterators_tIbNS6_6detail15normal_iteratorINS6_10device_ptrIKdEEEESL_NS6_8equal_toIdEEEENSG_9not_fun_tINSD_8identityEEEEENSD_19counting_iterator_tIlEES8_S8_S8_S8_S8_S8_S8_S8_EEEEPS9_S9_NSD_9__find_if7functorIS9_EEEE10hipError_tPvRmT1_T2_T3_mT4_P12ihipStream_tbEUlT_E0_NS1_11comp_targetILNS1_3genE4ELNS1_11target_archE910ELNS1_3gpuE8ELNS1_3repE0EEENS1_30default_config_static_selectorELNS0_4arch9wavefront6targetE0EEEvS14_
; %bb.0:
	.section	.rodata,"a",@progbits
	.p2align	6, 0x0
	.amdhsa_kernel _ZN7rocprim17ROCPRIM_400000_NS6detail17trampoline_kernelINS0_14default_configENS1_22reduce_config_selectorIN6thrust23THRUST_200600_302600_NS5tupleIblNS6_9null_typeES8_S8_S8_S8_S8_S8_S8_EEEEZNS1_11reduce_implILb1ES3_NS6_12zip_iteratorINS7_INS6_11hip_rocprim26transform_input_iterator_tIbNSD_35transform_pair_of_input_iterators_tIbNS6_6detail15normal_iteratorINS6_10device_ptrIKdEEEESL_NS6_8equal_toIdEEEENSG_9not_fun_tINSD_8identityEEEEENSD_19counting_iterator_tIlEES8_S8_S8_S8_S8_S8_S8_S8_EEEEPS9_S9_NSD_9__find_if7functorIS9_EEEE10hipError_tPvRmT1_T2_T3_mT4_P12ihipStream_tbEUlT_E0_NS1_11comp_targetILNS1_3genE4ELNS1_11target_archE910ELNS1_3gpuE8ELNS1_3repE0EEENS1_30default_config_static_selectorELNS0_4arch9wavefront6targetE0EEEvS14_
		.amdhsa_group_segment_fixed_size 0
		.amdhsa_private_segment_fixed_size 0
		.amdhsa_kernarg_size 104
		.amdhsa_user_sgpr_count 2
		.amdhsa_user_sgpr_dispatch_ptr 0
		.amdhsa_user_sgpr_queue_ptr 0
		.amdhsa_user_sgpr_kernarg_segment_ptr 1
		.amdhsa_user_sgpr_dispatch_id 0
		.amdhsa_user_sgpr_kernarg_preload_length 0
		.amdhsa_user_sgpr_kernarg_preload_offset 0
		.amdhsa_user_sgpr_private_segment_size 0
		.amdhsa_wavefront_size32 1
		.amdhsa_uses_dynamic_stack 0
		.amdhsa_enable_private_segment 0
		.amdhsa_system_sgpr_workgroup_id_x 1
		.amdhsa_system_sgpr_workgroup_id_y 0
		.amdhsa_system_sgpr_workgroup_id_z 0
		.amdhsa_system_sgpr_workgroup_info 0
		.amdhsa_system_vgpr_workitem_id 0
		.amdhsa_next_free_vgpr 1
		.amdhsa_next_free_sgpr 1
		.amdhsa_named_barrier_count 0
		.amdhsa_reserve_vcc 0
		.amdhsa_float_round_mode_32 0
		.amdhsa_float_round_mode_16_64 0
		.amdhsa_float_denorm_mode_32 3
		.amdhsa_float_denorm_mode_16_64 3
		.amdhsa_fp16_overflow 0
		.amdhsa_memory_ordered 1
		.amdhsa_forward_progress 1
		.amdhsa_inst_pref_size 0
		.amdhsa_round_robin_scheduling 0
		.amdhsa_exception_fp_ieee_invalid_op 0
		.amdhsa_exception_fp_denorm_src 0
		.amdhsa_exception_fp_ieee_div_zero 0
		.amdhsa_exception_fp_ieee_overflow 0
		.amdhsa_exception_fp_ieee_underflow 0
		.amdhsa_exception_fp_ieee_inexact 0
		.amdhsa_exception_int_div_zero 0
	.end_amdhsa_kernel
	.section	.text._ZN7rocprim17ROCPRIM_400000_NS6detail17trampoline_kernelINS0_14default_configENS1_22reduce_config_selectorIN6thrust23THRUST_200600_302600_NS5tupleIblNS6_9null_typeES8_S8_S8_S8_S8_S8_S8_EEEEZNS1_11reduce_implILb1ES3_NS6_12zip_iteratorINS7_INS6_11hip_rocprim26transform_input_iterator_tIbNSD_35transform_pair_of_input_iterators_tIbNS6_6detail15normal_iteratorINS6_10device_ptrIKdEEEESL_NS6_8equal_toIdEEEENSG_9not_fun_tINSD_8identityEEEEENSD_19counting_iterator_tIlEES8_S8_S8_S8_S8_S8_S8_S8_EEEEPS9_S9_NSD_9__find_if7functorIS9_EEEE10hipError_tPvRmT1_T2_T3_mT4_P12ihipStream_tbEUlT_E0_NS1_11comp_targetILNS1_3genE4ELNS1_11target_archE910ELNS1_3gpuE8ELNS1_3repE0EEENS1_30default_config_static_selectorELNS0_4arch9wavefront6targetE0EEEvS14_,"axG",@progbits,_ZN7rocprim17ROCPRIM_400000_NS6detail17trampoline_kernelINS0_14default_configENS1_22reduce_config_selectorIN6thrust23THRUST_200600_302600_NS5tupleIblNS6_9null_typeES8_S8_S8_S8_S8_S8_S8_EEEEZNS1_11reduce_implILb1ES3_NS6_12zip_iteratorINS7_INS6_11hip_rocprim26transform_input_iterator_tIbNSD_35transform_pair_of_input_iterators_tIbNS6_6detail15normal_iteratorINS6_10device_ptrIKdEEEESL_NS6_8equal_toIdEEEENSG_9not_fun_tINSD_8identityEEEEENSD_19counting_iterator_tIlEES8_S8_S8_S8_S8_S8_S8_S8_EEEEPS9_S9_NSD_9__find_if7functorIS9_EEEE10hipError_tPvRmT1_T2_T3_mT4_P12ihipStream_tbEUlT_E0_NS1_11comp_targetILNS1_3genE4ELNS1_11target_archE910ELNS1_3gpuE8ELNS1_3repE0EEENS1_30default_config_static_selectorELNS0_4arch9wavefront6targetE0EEEvS14_,comdat
.Lfunc_end39:
	.size	_ZN7rocprim17ROCPRIM_400000_NS6detail17trampoline_kernelINS0_14default_configENS1_22reduce_config_selectorIN6thrust23THRUST_200600_302600_NS5tupleIblNS6_9null_typeES8_S8_S8_S8_S8_S8_S8_EEEEZNS1_11reduce_implILb1ES3_NS6_12zip_iteratorINS7_INS6_11hip_rocprim26transform_input_iterator_tIbNSD_35transform_pair_of_input_iterators_tIbNS6_6detail15normal_iteratorINS6_10device_ptrIKdEEEESL_NS6_8equal_toIdEEEENSG_9not_fun_tINSD_8identityEEEEENSD_19counting_iterator_tIlEES8_S8_S8_S8_S8_S8_S8_S8_EEEEPS9_S9_NSD_9__find_if7functorIS9_EEEE10hipError_tPvRmT1_T2_T3_mT4_P12ihipStream_tbEUlT_E0_NS1_11comp_targetILNS1_3genE4ELNS1_11target_archE910ELNS1_3gpuE8ELNS1_3repE0EEENS1_30default_config_static_selectorELNS0_4arch9wavefront6targetE0EEEvS14_, .Lfunc_end39-_ZN7rocprim17ROCPRIM_400000_NS6detail17trampoline_kernelINS0_14default_configENS1_22reduce_config_selectorIN6thrust23THRUST_200600_302600_NS5tupleIblNS6_9null_typeES8_S8_S8_S8_S8_S8_S8_EEEEZNS1_11reduce_implILb1ES3_NS6_12zip_iteratorINS7_INS6_11hip_rocprim26transform_input_iterator_tIbNSD_35transform_pair_of_input_iterators_tIbNS6_6detail15normal_iteratorINS6_10device_ptrIKdEEEESL_NS6_8equal_toIdEEEENSG_9not_fun_tINSD_8identityEEEEENSD_19counting_iterator_tIlEES8_S8_S8_S8_S8_S8_S8_S8_EEEEPS9_S9_NSD_9__find_if7functorIS9_EEEE10hipError_tPvRmT1_T2_T3_mT4_P12ihipStream_tbEUlT_E0_NS1_11comp_targetILNS1_3genE4ELNS1_11target_archE910ELNS1_3gpuE8ELNS1_3repE0EEENS1_30default_config_static_selectorELNS0_4arch9wavefront6targetE0EEEvS14_
                                        ; -- End function
	.set _ZN7rocprim17ROCPRIM_400000_NS6detail17trampoline_kernelINS0_14default_configENS1_22reduce_config_selectorIN6thrust23THRUST_200600_302600_NS5tupleIblNS6_9null_typeES8_S8_S8_S8_S8_S8_S8_EEEEZNS1_11reduce_implILb1ES3_NS6_12zip_iteratorINS7_INS6_11hip_rocprim26transform_input_iterator_tIbNSD_35transform_pair_of_input_iterators_tIbNS6_6detail15normal_iteratorINS6_10device_ptrIKdEEEESL_NS6_8equal_toIdEEEENSG_9not_fun_tINSD_8identityEEEEENSD_19counting_iterator_tIlEES8_S8_S8_S8_S8_S8_S8_S8_EEEEPS9_S9_NSD_9__find_if7functorIS9_EEEE10hipError_tPvRmT1_T2_T3_mT4_P12ihipStream_tbEUlT_E0_NS1_11comp_targetILNS1_3genE4ELNS1_11target_archE910ELNS1_3gpuE8ELNS1_3repE0EEENS1_30default_config_static_selectorELNS0_4arch9wavefront6targetE0EEEvS14_.num_vgpr, 0
	.set _ZN7rocprim17ROCPRIM_400000_NS6detail17trampoline_kernelINS0_14default_configENS1_22reduce_config_selectorIN6thrust23THRUST_200600_302600_NS5tupleIblNS6_9null_typeES8_S8_S8_S8_S8_S8_S8_EEEEZNS1_11reduce_implILb1ES3_NS6_12zip_iteratorINS7_INS6_11hip_rocprim26transform_input_iterator_tIbNSD_35transform_pair_of_input_iterators_tIbNS6_6detail15normal_iteratorINS6_10device_ptrIKdEEEESL_NS6_8equal_toIdEEEENSG_9not_fun_tINSD_8identityEEEEENSD_19counting_iterator_tIlEES8_S8_S8_S8_S8_S8_S8_S8_EEEEPS9_S9_NSD_9__find_if7functorIS9_EEEE10hipError_tPvRmT1_T2_T3_mT4_P12ihipStream_tbEUlT_E0_NS1_11comp_targetILNS1_3genE4ELNS1_11target_archE910ELNS1_3gpuE8ELNS1_3repE0EEENS1_30default_config_static_selectorELNS0_4arch9wavefront6targetE0EEEvS14_.num_agpr, 0
	.set _ZN7rocprim17ROCPRIM_400000_NS6detail17trampoline_kernelINS0_14default_configENS1_22reduce_config_selectorIN6thrust23THRUST_200600_302600_NS5tupleIblNS6_9null_typeES8_S8_S8_S8_S8_S8_S8_EEEEZNS1_11reduce_implILb1ES3_NS6_12zip_iteratorINS7_INS6_11hip_rocprim26transform_input_iterator_tIbNSD_35transform_pair_of_input_iterators_tIbNS6_6detail15normal_iteratorINS6_10device_ptrIKdEEEESL_NS6_8equal_toIdEEEENSG_9not_fun_tINSD_8identityEEEEENSD_19counting_iterator_tIlEES8_S8_S8_S8_S8_S8_S8_S8_EEEEPS9_S9_NSD_9__find_if7functorIS9_EEEE10hipError_tPvRmT1_T2_T3_mT4_P12ihipStream_tbEUlT_E0_NS1_11comp_targetILNS1_3genE4ELNS1_11target_archE910ELNS1_3gpuE8ELNS1_3repE0EEENS1_30default_config_static_selectorELNS0_4arch9wavefront6targetE0EEEvS14_.numbered_sgpr, 0
	.set _ZN7rocprim17ROCPRIM_400000_NS6detail17trampoline_kernelINS0_14default_configENS1_22reduce_config_selectorIN6thrust23THRUST_200600_302600_NS5tupleIblNS6_9null_typeES8_S8_S8_S8_S8_S8_S8_EEEEZNS1_11reduce_implILb1ES3_NS6_12zip_iteratorINS7_INS6_11hip_rocprim26transform_input_iterator_tIbNSD_35transform_pair_of_input_iterators_tIbNS6_6detail15normal_iteratorINS6_10device_ptrIKdEEEESL_NS6_8equal_toIdEEEENSG_9not_fun_tINSD_8identityEEEEENSD_19counting_iterator_tIlEES8_S8_S8_S8_S8_S8_S8_S8_EEEEPS9_S9_NSD_9__find_if7functorIS9_EEEE10hipError_tPvRmT1_T2_T3_mT4_P12ihipStream_tbEUlT_E0_NS1_11comp_targetILNS1_3genE4ELNS1_11target_archE910ELNS1_3gpuE8ELNS1_3repE0EEENS1_30default_config_static_selectorELNS0_4arch9wavefront6targetE0EEEvS14_.num_named_barrier, 0
	.set _ZN7rocprim17ROCPRIM_400000_NS6detail17trampoline_kernelINS0_14default_configENS1_22reduce_config_selectorIN6thrust23THRUST_200600_302600_NS5tupleIblNS6_9null_typeES8_S8_S8_S8_S8_S8_S8_EEEEZNS1_11reduce_implILb1ES3_NS6_12zip_iteratorINS7_INS6_11hip_rocprim26transform_input_iterator_tIbNSD_35transform_pair_of_input_iterators_tIbNS6_6detail15normal_iteratorINS6_10device_ptrIKdEEEESL_NS6_8equal_toIdEEEENSG_9not_fun_tINSD_8identityEEEEENSD_19counting_iterator_tIlEES8_S8_S8_S8_S8_S8_S8_S8_EEEEPS9_S9_NSD_9__find_if7functorIS9_EEEE10hipError_tPvRmT1_T2_T3_mT4_P12ihipStream_tbEUlT_E0_NS1_11comp_targetILNS1_3genE4ELNS1_11target_archE910ELNS1_3gpuE8ELNS1_3repE0EEENS1_30default_config_static_selectorELNS0_4arch9wavefront6targetE0EEEvS14_.private_seg_size, 0
	.set _ZN7rocprim17ROCPRIM_400000_NS6detail17trampoline_kernelINS0_14default_configENS1_22reduce_config_selectorIN6thrust23THRUST_200600_302600_NS5tupleIblNS6_9null_typeES8_S8_S8_S8_S8_S8_S8_EEEEZNS1_11reduce_implILb1ES3_NS6_12zip_iteratorINS7_INS6_11hip_rocprim26transform_input_iterator_tIbNSD_35transform_pair_of_input_iterators_tIbNS6_6detail15normal_iteratorINS6_10device_ptrIKdEEEESL_NS6_8equal_toIdEEEENSG_9not_fun_tINSD_8identityEEEEENSD_19counting_iterator_tIlEES8_S8_S8_S8_S8_S8_S8_S8_EEEEPS9_S9_NSD_9__find_if7functorIS9_EEEE10hipError_tPvRmT1_T2_T3_mT4_P12ihipStream_tbEUlT_E0_NS1_11comp_targetILNS1_3genE4ELNS1_11target_archE910ELNS1_3gpuE8ELNS1_3repE0EEENS1_30default_config_static_selectorELNS0_4arch9wavefront6targetE0EEEvS14_.uses_vcc, 0
	.set _ZN7rocprim17ROCPRIM_400000_NS6detail17trampoline_kernelINS0_14default_configENS1_22reduce_config_selectorIN6thrust23THRUST_200600_302600_NS5tupleIblNS6_9null_typeES8_S8_S8_S8_S8_S8_S8_EEEEZNS1_11reduce_implILb1ES3_NS6_12zip_iteratorINS7_INS6_11hip_rocprim26transform_input_iterator_tIbNSD_35transform_pair_of_input_iterators_tIbNS6_6detail15normal_iteratorINS6_10device_ptrIKdEEEESL_NS6_8equal_toIdEEEENSG_9not_fun_tINSD_8identityEEEEENSD_19counting_iterator_tIlEES8_S8_S8_S8_S8_S8_S8_S8_EEEEPS9_S9_NSD_9__find_if7functorIS9_EEEE10hipError_tPvRmT1_T2_T3_mT4_P12ihipStream_tbEUlT_E0_NS1_11comp_targetILNS1_3genE4ELNS1_11target_archE910ELNS1_3gpuE8ELNS1_3repE0EEENS1_30default_config_static_selectorELNS0_4arch9wavefront6targetE0EEEvS14_.uses_flat_scratch, 0
	.set _ZN7rocprim17ROCPRIM_400000_NS6detail17trampoline_kernelINS0_14default_configENS1_22reduce_config_selectorIN6thrust23THRUST_200600_302600_NS5tupleIblNS6_9null_typeES8_S8_S8_S8_S8_S8_S8_EEEEZNS1_11reduce_implILb1ES3_NS6_12zip_iteratorINS7_INS6_11hip_rocprim26transform_input_iterator_tIbNSD_35transform_pair_of_input_iterators_tIbNS6_6detail15normal_iteratorINS6_10device_ptrIKdEEEESL_NS6_8equal_toIdEEEENSG_9not_fun_tINSD_8identityEEEEENSD_19counting_iterator_tIlEES8_S8_S8_S8_S8_S8_S8_S8_EEEEPS9_S9_NSD_9__find_if7functorIS9_EEEE10hipError_tPvRmT1_T2_T3_mT4_P12ihipStream_tbEUlT_E0_NS1_11comp_targetILNS1_3genE4ELNS1_11target_archE910ELNS1_3gpuE8ELNS1_3repE0EEENS1_30default_config_static_selectorELNS0_4arch9wavefront6targetE0EEEvS14_.has_dyn_sized_stack, 0
	.set _ZN7rocprim17ROCPRIM_400000_NS6detail17trampoline_kernelINS0_14default_configENS1_22reduce_config_selectorIN6thrust23THRUST_200600_302600_NS5tupleIblNS6_9null_typeES8_S8_S8_S8_S8_S8_S8_EEEEZNS1_11reduce_implILb1ES3_NS6_12zip_iteratorINS7_INS6_11hip_rocprim26transform_input_iterator_tIbNSD_35transform_pair_of_input_iterators_tIbNS6_6detail15normal_iteratorINS6_10device_ptrIKdEEEESL_NS6_8equal_toIdEEEENSG_9not_fun_tINSD_8identityEEEEENSD_19counting_iterator_tIlEES8_S8_S8_S8_S8_S8_S8_S8_EEEEPS9_S9_NSD_9__find_if7functorIS9_EEEE10hipError_tPvRmT1_T2_T3_mT4_P12ihipStream_tbEUlT_E0_NS1_11comp_targetILNS1_3genE4ELNS1_11target_archE910ELNS1_3gpuE8ELNS1_3repE0EEENS1_30default_config_static_selectorELNS0_4arch9wavefront6targetE0EEEvS14_.has_recursion, 0
	.set _ZN7rocprim17ROCPRIM_400000_NS6detail17trampoline_kernelINS0_14default_configENS1_22reduce_config_selectorIN6thrust23THRUST_200600_302600_NS5tupleIblNS6_9null_typeES8_S8_S8_S8_S8_S8_S8_EEEEZNS1_11reduce_implILb1ES3_NS6_12zip_iteratorINS7_INS6_11hip_rocprim26transform_input_iterator_tIbNSD_35transform_pair_of_input_iterators_tIbNS6_6detail15normal_iteratorINS6_10device_ptrIKdEEEESL_NS6_8equal_toIdEEEENSG_9not_fun_tINSD_8identityEEEEENSD_19counting_iterator_tIlEES8_S8_S8_S8_S8_S8_S8_S8_EEEEPS9_S9_NSD_9__find_if7functorIS9_EEEE10hipError_tPvRmT1_T2_T3_mT4_P12ihipStream_tbEUlT_E0_NS1_11comp_targetILNS1_3genE4ELNS1_11target_archE910ELNS1_3gpuE8ELNS1_3repE0EEENS1_30default_config_static_selectorELNS0_4arch9wavefront6targetE0EEEvS14_.has_indirect_call, 0
	.section	.AMDGPU.csdata,"",@progbits
; Kernel info:
; codeLenInByte = 0
; TotalNumSgprs: 0
; NumVgprs: 0
; ScratchSize: 0
; MemoryBound: 0
; FloatMode: 240
; IeeeMode: 1
; LDSByteSize: 0 bytes/workgroup (compile time only)
; SGPRBlocks: 0
; VGPRBlocks: 0
; NumSGPRsForWavesPerEU: 1
; NumVGPRsForWavesPerEU: 1
; NamedBarCnt: 0
; Occupancy: 16
; WaveLimiterHint : 0
; COMPUTE_PGM_RSRC2:SCRATCH_EN: 0
; COMPUTE_PGM_RSRC2:USER_SGPR: 2
; COMPUTE_PGM_RSRC2:TRAP_HANDLER: 0
; COMPUTE_PGM_RSRC2:TGID_X_EN: 1
; COMPUTE_PGM_RSRC2:TGID_Y_EN: 0
; COMPUTE_PGM_RSRC2:TGID_Z_EN: 0
; COMPUTE_PGM_RSRC2:TIDIG_COMP_CNT: 0
	.section	.text._ZN7rocprim17ROCPRIM_400000_NS6detail17trampoline_kernelINS0_14default_configENS1_22reduce_config_selectorIN6thrust23THRUST_200600_302600_NS5tupleIblNS6_9null_typeES8_S8_S8_S8_S8_S8_S8_EEEEZNS1_11reduce_implILb1ES3_NS6_12zip_iteratorINS7_INS6_11hip_rocprim26transform_input_iterator_tIbNSD_35transform_pair_of_input_iterators_tIbNS6_6detail15normal_iteratorINS6_10device_ptrIKdEEEESL_NS6_8equal_toIdEEEENSG_9not_fun_tINSD_8identityEEEEENSD_19counting_iterator_tIlEES8_S8_S8_S8_S8_S8_S8_S8_EEEEPS9_S9_NSD_9__find_if7functorIS9_EEEE10hipError_tPvRmT1_T2_T3_mT4_P12ihipStream_tbEUlT_E0_NS1_11comp_targetILNS1_3genE3ELNS1_11target_archE908ELNS1_3gpuE7ELNS1_3repE0EEENS1_30default_config_static_selectorELNS0_4arch9wavefront6targetE0EEEvS14_,"axG",@progbits,_ZN7rocprim17ROCPRIM_400000_NS6detail17trampoline_kernelINS0_14default_configENS1_22reduce_config_selectorIN6thrust23THRUST_200600_302600_NS5tupleIblNS6_9null_typeES8_S8_S8_S8_S8_S8_S8_EEEEZNS1_11reduce_implILb1ES3_NS6_12zip_iteratorINS7_INS6_11hip_rocprim26transform_input_iterator_tIbNSD_35transform_pair_of_input_iterators_tIbNS6_6detail15normal_iteratorINS6_10device_ptrIKdEEEESL_NS6_8equal_toIdEEEENSG_9not_fun_tINSD_8identityEEEEENSD_19counting_iterator_tIlEES8_S8_S8_S8_S8_S8_S8_S8_EEEEPS9_S9_NSD_9__find_if7functorIS9_EEEE10hipError_tPvRmT1_T2_T3_mT4_P12ihipStream_tbEUlT_E0_NS1_11comp_targetILNS1_3genE3ELNS1_11target_archE908ELNS1_3gpuE7ELNS1_3repE0EEENS1_30default_config_static_selectorELNS0_4arch9wavefront6targetE0EEEvS14_,comdat
	.protected	_ZN7rocprim17ROCPRIM_400000_NS6detail17trampoline_kernelINS0_14default_configENS1_22reduce_config_selectorIN6thrust23THRUST_200600_302600_NS5tupleIblNS6_9null_typeES8_S8_S8_S8_S8_S8_S8_EEEEZNS1_11reduce_implILb1ES3_NS6_12zip_iteratorINS7_INS6_11hip_rocprim26transform_input_iterator_tIbNSD_35transform_pair_of_input_iterators_tIbNS6_6detail15normal_iteratorINS6_10device_ptrIKdEEEESL_NS6_8equal_toIdEEEENSG_9not_fun_tINSD_8identityEEEEENSD_19counting_iterator_tIlEES8_S8_S8_S8_S8_S8_S8_S8_EEEEPS9_S9_NSD_9__find_if7functorIS9_EEEE10hipError_tPvRmT1_T2_T3_mT4_P12ihipStream_tbEUlT_E0_NS1_11comp_targetILNS1_3genE3ELNS1_11target_archE908ELNS1_3gpuE7ELNS1_3repE0EEENS1_30default_config_static_selectorELNS0_4arch9wavefront6targetE0EEEvS14_ ; -- Begin function _ZN7rocprim17ROCPRIM_400000_NS6detail17trampoline_kernelINS0_14default_configENS1_22reduce_config_selectorIN6thrust23THRUST_200600_302600_NS5tupleIblNS6_9null_typeES8_S8_S8_S8_S8_S8_S8_EEEEZNS1_11reduce_implILb1ES3_NS6_12zip_iteratorINS7_INS6_11hip_rocprim26transform_input_iterator_tIbNSD_35transform_pair_of_input_iterators_tIbNS6_6detail15normal_iteratorINS6_10device_ptrIKdEEEESL_NS6_8equal_toIdEEEENSG_9not_fun_tINSD_8identityEEEEENSD_19counting_iterator_tIlEES8_S8_S8_S8_S8_S8_S8_S8_EEEEPS9_S9_NSD_9__find_if7functorIS9_EEEE10hipError_tPvRmT1_T2_T3_mT4_P12ihipStream_tbEUlT_E0_NS1_11comp_targetILNS1_3genE3ELNS1_11target_archE908ELNS1_3gpuE7ELNS1_3repE0EEENS1_30default_config_static_selectorELNS0_4arch9wavefront6targetE0EEEvS14_
	.globl	_ZN7rocprim17ROCPRIM_400000_NS6detail17trampoline_kernelINS0_14default_configENS1_22reduce_config_selectorIN6thrust23THRUST_200600_302600_NS5tupleIblNS6_9null_typeES8_S8_S8_S8_S8_S8_S8_EEEEZNS1_11reduce_implILb1ES3_NS6_12zip_iteratorINS7_INS6_11hip_rocprim26transform_input_iterator_tIbNSD_35transform_pair_of_input_iterators_tIbNS6_6detail15normal_iteratorINS6_10device_ptrIKdEEEESL_NS6_8equal_toIdEEEENSG_9not_fun_tINSD_8identityEEEEENSD_19counting_iterator_tIlEES8_S8_S8_S8_S8_S8_S8_S8_EEEEPS9_S9_NSD_9__find_if7functorIS9_EEEE10hipError_tPvRmT1_T2_T3_mT4_P12ihipStream_tbEUlT_E0_NS1_11comp_targetILNS1_3genE3ELNS1_11target_archE908ELNS1_3gpuE7ELNS1_3repE0EEENS1_30default_config_static_selectorELNS0_4arch9wavefront6targetE0EEEvS14_
	.p2align	8
	.type	_ZN7rocprim17ROCPRIM_400000_NS6detail17trampoline_kernelINS0_14default_configENS1_22reduce_config_selectorIN6thrust23THRUST_200600_302600_NS5tupleIblNS6_9null_typeES8_S8_S8_S8_S8_S8_S8_EEEEZNS1_11reduce_implILb1ES3_NS6_12zip_iteratorINS7_INS6_11hip_rocprim26transform_input_iterator_tIbNSD_35transform_pair_of_input_iterators_tIbNS6_6detail15normal_iteratorINS6_10device_ptrIKdEEEESL_NS6_8equal_toIdEEEENSG_9not_fun_tINSD_8identityEEEEENSD_19counting_iterator_tIlEES8_S8_S8_S8_S8_S8_S8_S8_EEEEPS9_S9_NSD_9__find_if7functorIS9_EEEE10hipError_tPvRmT1_T2_T3_mT4_P12ihipStream_tbEUlT_E0_NS1_11comp_targetILNS1_3genE3ELNS1_11target_archE908ELNS1_3gpuE7ELNS1_3repE0EEENS1_30default_config_static_selectorELNS0_4arch9wavefront6targetE0EEEvS14_,@function
_ZN7rocprim17ROCPRIM_400000_NS6detail17trampoline_kernelINS0_14default_configENS1_22reduce_config_selectorIN6thrust23THRUST_200600_302600_NS5tupleIblNS6_9null_typeES8_S8_S8_S8_S8_S8_S8_EEEEZNS1_11reduce_implILb1ES3_NS6_12zip_iteratorINS7_INS6_11hip_rocprim26transform_input_iterator_tIbNSD_35transform_pair_of_input_iterators_tIbNS6_6detail15normal_iteratorINS6_10device_ptrIKdEEEESL_NS6_8equal_toIdEEEENSG_9not_fun_tINSD_8identityEEEEENSD_19counting_iterator_tIlEES8_S8_S8_S8_S8_S8_S8_S8_EEEEPS9_S9_NSD_9__find_if7functorIS9_EEEE10hipError_tPvRmT1_T2_T3_mT4_P12ihipStream_tbEUlT_E0_NS1_11comp_targetILNS1_3genE3ELNS1_11target_archE908ELNS1_3gpuE7ELNS1_3repE0EEENS1_30default_config_static_selectorELNS0_4arch9wavefront6targetE0EEEvS14_: ; @_ZN7rocprim17ROCPRIM_400000_NS6detail17trampoline_kernelINS0_14default_configENS1_22reduce_config_selectorIN6thrust23THRUST_200600_302600_NS5tupleIblNS6_9null_typeES8_S8_S8_S8_S8_S8_S8_EEEEZNS1_11reduce_implILb1ES3_NS6_12zip_iteratorINS7_INS6_11hip_rocprim26transform_input_iterator_tIbNSD_35transform_pair_of_input_iterators_tIbNS6_6detail15normal_iteratorINS6_10device_ptrIKdEEEESL_NS6_8equal_toIdEEEENSG_9not_fun_tINSD_8identityEEEEENSD_19counting_iterator_tIlEES8_S8_S8_S8_S8_S8_S8_S8_EEEEPS9_S9_NSD_9__find_if7functorIS9_EEEE10hipError_tPvRmT1_T2_T3_mT4_P12ihipStream_tbEUlT_E0_NS1_11comp_targetILNS1_3genE3ELNS1_11target_archE908ELNS1_3gpuE7ELNS1_3repE0EEENS1_30default_config_static_selectorELNS0_4arch9wavefront6targetE0EEEvS14_
; %bb.0:
	.section	.rodata,"a",@progbits
	.p2align	6, 0x0
	.amdhsa_kernel _ZN7rocprim17ROCPRIM_400000_NS6detail17trampoline_kernelINS0_14default_configENS1_22reduce_config_selectorIN6thrust23THRUST_200600_302600_NS5tupleIblNS6_9null_typeES8_S8_S8_S8_S8_S8_S8_EEEEZNS1_11reduce_implILb1ES3_NS6_12zip_iteratorINS7_INS6_11hip_rocprim26transform_input_iterator_tIbNSD_35transform_pair_of_input_iterators_tIbNS6_6detail15normal_iteratorINS6_10device_ptrIKdEEEESL_NS6_8equal_toIdEEEENSG_9not_fun_tINSD_8identityEEEEENSD_19counting_iterator_tIlEES8_S8_S8_S8_S8_S8_S8_S8_EEEEPS9_S9_NSD_9__find_if7functorIS9_EEEE10hipError_tPvRmT1_T2_T3_mT4_P12ihipStream_tbEUlT_E0_NS1_11comp_targetILNS1_3genE3ELNS1_11target_archE908ELNS1_3gpuE7ELNS1_3repE0EEENS1_30default_config_static_selectorELNS0_4arch9wavefront6targetE0EEEvS14_
		.amdhsa_group_segment_fixed_size 0
		.amdhsa_private_segment_fixed_size 0
		.amdhsa_kernarg_size 104
		.amdhsa_user_sgpr_count 2
		.amdhsa_user_sgpr_dispatch_ptr 0
		.amdhsa_user_sgpr_queue_ptr 0
		.amdhsa_user_sgpr_kernarg_segment_ptr 1
		.amdhsa_user_sgpr_dispatch_id 0
		.amdhsa_user_sgpr_kernarg_preload_length 0
		.amdhsa_user_sgpr_kernarg_preload_offset 0
		.amdhsa_user_sgpr_private_segment_size 0
		.amdhsa_wavefront_size32 1
		.amdhsa_uses_dynamic_stack 0
		.amdhsa_enable_private_segment 0
		.amdhsa_system_sgpr_workgroup_id_x 1
		.amdhsa_system_sgpr_workgroup_id_y 0
		.amdhsa_system_sgpr_workgroup_id_z 0
		.amdhsa_system_sgpr_workgroup_info 0
		.amdhsa_system_vgpr_workitem_id 0
		.amdhsa_next_free_vgpr 1
		.amdhsa_next_free_sgpr 1
		.amdhsa_named_barrier_count 0
		.amdhsa_reserve_vcc 0
		.amdhsa_float_round_mode_32 0
		.amdhsa_float_round_mode_16_64 0
		.amdhsa_float_denorm_mode_32 3
		.amdhsa_float_denorm_mode_16_64 3
		.amdhsa_fp16_overflow 0
		.amdhsa_memory_ordered 1
		.amdhsa_forward_progress 1
		.amdhsa_inst_pref_size 0
		.amdhsa_round_robin_scheduling 0
		.amdhsa_exception_fp_ieee_invalid_op 0
		.amdhsa_exception_fp_denorm_src 0
		.amdhsa_exception_fp_ieee_div_zero 0
		.amdhsa_exception_fp_ieee_overflow 0
		.amdhsa_exception_fp_ieee_underflow 0
		.amdhsa_exception_fp_ieee_inexact 0
		.amdhsa_exception_int_div_zero 0
	.end_amdhsa_kernel
	.section	.text._ZN7rocprim17ROCPRIM_400000_NS6detail17trampoline_kernelINS0_14default_configENS1_22reduce_config_selectorIN6thrust23THRUST_200600_302600_NS5tupleIblNS6_9null_typeES8_S8_S8_S8_S8_S8_S8_EEEEZNS1_11reduce_implILb1ES3_NS6_12zip_iteratorINS7_INS6_11hip_rocprim26transform_input_iterator_tIbNSD_35transform_pair_of_input_iterators_tIbNS6_6detail15normal_iteratorINS6_10device_ptrIKdEEEESL_NS6_8equal_toIdEEEENSG_9not_fun_tINSD_8identityEEEEENSD_19counting_iterator_tIlEES8_S8_S8_S8_S8_S8_S8_S8_EEEEPS9_S9_NSD_9__find_if7functorIS9_EEEE10hipError_tPvRmT1_T2_T3_mT4_P12ihipStream_tbEUlT_E0_NS1_11comp_targetILNS1_3genE3ELNS1_11target_archE908ELNS1_3gpuE7ELNS1_3repE0EEENS1_30default_config_static_selectorELNS0_4arch9wavefront6targetE0EEEvS14_,"axG",@progbits,_ZN7rocprim17ROCPRIM_400000_NS6detail17trampoline_kernelINS0_14default_configENS1_22reduce_config_selectorIN6thrust23THRUST_200600_302600_NS5tupleIblNS6_9null_typeES8_S8_S8_S8_S8_S8_S8_EEEEZNS1_11reduce_implILb1ES3_NS6_12zip_iteratorINS7_INS6_11hip_rocprim26transform_input_iterator_tIbNSD_35transform_pair_of_input_iterators_tIbNS6_6detail15normal_iteratorINS6_10device_ptrIKdEEEESL_NS6_8equal_toIdEEEENSG_9not_fun_tINSD_8identityEEEEENSD_19counting_iterator_tIlEES8_S8_S8_S8_S8_S8_S8_S8_EEEEPS9_S9_NSD_9__find_if7functorIS9_EEEE10hipError_tPvRmT1_T2_T3_mT4_P12ihipStream_tbEUlT_E0_NS1_11comp_targetILNS1_3genE3ELNS1_11target_archE908ELNS1_3gpuE7ELNS1_3repE0EEENS1_30default_config_static_selectorELNS0_4arch9wavefront6targetE0EEEvS14_,comdat
.Lfunc_end40:
	.size	_ZN7rocprim17ROCPRIM_400000_NS6detail17trampoline_kernelINS0_14default_configENS1_22reduce_config_selectorIN6thrust23THRUST_200600_302600_NS5tupleIblNS6_9null_typeES8_S8_S8_S8_S8_S8_S8_EEEEZNS1_11reduce_implILb1ES3_NS6_12zip_iteratorINS7_INS6_11hip_rocprim26transform_input_iterator_tIbNSD_35transform_pair_of_input_iterators_tIbNS6_6detail15normal_iteratorINS6_10device_ptrIKdEEEESL_NS6_8equal_toIdEEEENSG_9not_fun_tINSD_8identityEEEEENSD_19counting_iterator_tIlEES8_S8_S8_S8_S8_S8_S8_S8_EEEEPS9_S9_NSD_9__find_if7functorIS9_EEEE10hipError_tPvRmT1_T2_T3_mT4_P12ihipStream_tbEUlT_E0_NS1_11comp_targetILNS1_3genE3ELNS1_11target_archE908ELNS1_3gpuE7ELNS1_3repE0EEENS1_30default_config_static_selectorELNS0_4arch9wavefront6targetE0EEEvS14_, .Lfunc_end40-_ZN7rocprim17ROCPRIM_400000_NS6detail17trampoline_kernelINS0_14default_configENS1_22reduce_config_selectorIN6thrust23THRUST_200600_302600_NS5tupleIblNS6_9null_typeES8_S8_S8_S8_S8_S8_S8_EEEEZNS1_11reduce_implILb1ES3_NS6_12zip_iteratorINS7_INS6_11hip_rocprim26transform_input_iterator_tIbNSD_35transform_pair_of_input_iterators_tIbNS6_6detail15normal_iteratorINS6_10device_ptrIKdEEEESL_NS6_8equal_toIdEEEENSG_9not_fun_tINSD_8identityEEEEENSD_19counting_iterator_tIlEES8_S8_S8_S8_S8_S8_S8_S8_EEEEPS9_S9_NSD_9__find_if7functorIS9_EEEE10hipError_tPvRmT1_T2_T3_mT4_P12ihipStream_tbEUlT_E0_NS1_11comp_targetILNS1_3genE3ELNS1_11target_archE908ELNS1_3gpuE7ELNS1_3repE0EEENS1_30default_config_static_selectorELNS0_4arch9wavefront6targetE0EEEvS14_
                                        ; -- End function
	.set _ZN7rocprim17ROCPRIM_400000_NS6detail17trampoline_kernelINS0_14default_configENS1_22reduce_config_selectorIN6thrust23THRUST_200600_302600_NS5tupleIblNS6_9null_typeES8_S8_S8_S8_S8_S8_S8_EEEEZNS1_11reduce_implILb1ES3_NS6_12zip_iteratorINS7_INS6_11hip_rocprim26transform_input_iterator_tIbNSD_35transform_pair_of_input_iterators_tIbNS6_6detail15normal_iteratorINS6_10device_ptrIKdEEEESL_NS6_8equal_toIdEEEENSG_9not_fun_tINSD_8identityEEEEENSD_19counting_iterator_tIlEES8_S8_S8_S8_S8_S8_S8_S8_EEEEPS9_S9_NSD_9__find_if7functorIS9_EEEE10hipError_tPvRmT1_T2_T3_mT4_P12ihipStream_tbEUlT_E0_NS1_11comp_targetILNS1_3genE3ELNS1_11target_archE908ELNS1_3gpuE7ELNS1_3repE0EEENS1_30default_config_static_selectorELNS0_4arch9wavefront6targetE0EEEvS14_.num_vgpr, 0
	.set _ZN7rocprim17ROCPRIM_400000_NS6detail17trampoline_kernelINS0_14default_configENS1_22reduce_config_selectorIN6thrust23THRUST_200600_302600_NS5tupleIblNS6_9null_typeES8_S8_S8_S8_S8_S8_S8_EEEEZNS1_11reduce_implILb1ES3_NS6_12zip_iteratorINS7_INS6_11hip_rocprim26transform_input_iterator_tIbNSD_35transform_pair_of_input_iterators_tIbNS6_6detail15normal_iteratorINS6_10device_ptrIKdEEEESL_NS6_8equal_toIdEEEENSG_9not_fun_tINSD_8identityEEEEENSD_19counting_iterator_tIlEES8_S8_S8_S8_S8_S8_S8_S8_EEEEPS9_S9_NSD_9__find_if7functorIS9_EEEE10hipError_tPvRmT1_T2_T3_mT4_P12ihipStream_tbEUlT_E0_NS1_11comp_targetILNS1_3genE3ELNS1_11target_archE908ELNS1_3gpuE7ELNS1_3repE0EEENS1_30default_config_static_selectorELNS0_4arch9wavefront6targetE0EEEvS14_.num_agpr, 0
	.set _ZN7rocprim17ROCPRIM_400000_NS6detail17trampoline_kernelINS0_14default_configENS1_22reduce_config_selectorIN6thrust23THRUST_200600_302600_NS5tupleIblNS6_9null_typeES8_S8_S8_S8_S8_S8_S8_EEEEZNS1_11reduce_implILb1ES3_NS6_12zip_iteratorINS7_INS6_11hip_rocprim26transform_input_iterator_tIbNSD_35transform_pair_of_input_iterators_tIbNS6_6detail15normal_iteratorINS6_10device_ptrIKdEEEESL_NS6_8equal_toIdEEEENSG_9not_fun_tINSD_8identityEEEEENSD_19counting_iterator_tIlEES8_S8_S8_S8_S8_S8_S8_S8_EEEEPS9_S9_NSD_9__find_if7functorIS9_EEEE10hipError_tPvRmT1_T2_T3_mT4_P12ihipStream_tbEUlT_E0_NS1_11comp_targetILNS1_3genE3ELNS1_11target_archE908ELNS1_3gpuE7ELNS1_3repE0EEENS1_30default_config_static_selectorELNS0_4arch9wavefront6targetE0EEEvS14_.numbered_sgpr, 0
	.set _ZN7rocprim17ROCPRIM_400000_NS6detail17trampoline_kernelINS0_14default_configENS1_22reduce_config_selectorIN6thrust23THRUST_200600_302600_NS5tupleIblNS6_9null_typeES8_S8_S8_S8_S8_S8_S8_EEEEZNS1_11reduce_implILb1ES3_NS6_12zip_iteratorINS7_INS6_11hip_rocprim26transform_input_iterator_tIbNSD_35transform_pair_of_input_iterators_tIbNS6_6detail15normal_iteratorINS6_10device_ptrIKdEEEESL_NS6_8equal_toIdEEEENSG_9not_fun_tINSD_8identityEEEEENSD_19counting_iterator_tIlEES8_S8_S8_S8_S8_S8_S8_S8_EEEEPS9_S9_NSD_9__find_if7functorIS9_EEEE10hipError_tPvRmT1_T2_T3_mT4_P12ihipStream_tbEUlT_E0_NS1_11comp_targetILNS1_3genE3ELNS1_11target_archE908ELNS1_3gpuE7ELNS1_3repE0EEENS1_30default_config_static_selectorELNS0_4arch9wavefront6targetE0EEEvS14_.num_named_barrier, 0
	.set _ZN7rocprim17ROCPRIM_400000_NS6detail17trampoline_kernelINS0_14default_configENS1_22reduce_config_selectorIN6thrust23THRUST_200600_302600_NS5tupleIblNS6_9null_typeES8_S8_S8_S8_S8_S8_S8_EEEEZNS1_11reduce_implILb1ES3_NS6_12zip_iteratorINS7_INS6_11hip_rocprim26transform_input_iterator_tIbNSD_35transform_pair_of_input_iterators_tIbNS6_6detail15normal_iteratorINS6_10device_ptrIKdEEEESL_NS6_8equal_toIdEEEENSG_9not_fun_tINSD_8identityEEEEENSD_19counting_iterator_tIlEES8_S8_S8_S8_S8_S8_S8_S8_EEEEPS9_S9_NSD_9__find_if7functorIS9_EEEE10hipError_tPvRmT1_T2_T3_mT4_P12ihipStream_tbEUlT_E0_NS1_11comp_targetILNS1_3genE3ELNS1_11target_archE908ELNS1_3gpuE7ELNS1_3repE0EEENS1_30default_config_static_selectorELNS0_4arch9wavefront6targetE0EEEvS14_.private_seg_size, 0
	.set _ZN7rocprim17ROCPRIM_400000_NS6detail17trampoline_kernelINS0_14default_configENS1_22reduce_config_selectorIN6thrust23THRUST_200600_302600_NS5tupleIblNS6_9null_typeES8_S8_S8_S8_S8_S8_S8_EEEEZNS1_11reduce_implILb1ES3_NS6_12zip_iteratorINS7_INS6_11hip_rocprim26transform_input_iterator_tIbNSD_35transform_pair_of_input_iterators_tIbNS6_6detail15normal_iteratorINS6_10device_ptrIKdEEEESL_NS6_8equal_toIdEEEENSG_9not_fun_tINSD_8identityEEEEENSD_19counting_iterator_tIlEES8_S8_S8_S8_S8_S8_S8_S8_EEEEPS9_S9_NSD_9__find_if7functorIS9_EEEE10hipError_tPvRmT1_T2_T3_mT4_P12ihipStream_tbEUlT_E0_NS1_11comp_targetILNS1_3genE3ELNS1_11target_archE908ELNS1_3gpuE7ELNS1_3repE0EEENS1_30default_config_static_selectorELNS0_4arch9wavefront6targetE0EEEvS14_.uses_vcc, 0
	.set _ZN7rocprim17ROCPRIM_400000_NS6detail17trampoline_kernelINS0_14default_configENS1_22reduce_config_selectorIN6thrust23THRUST_200600_302600_NS5tupleIblNS6_9null_typeES8_S8_S8_S8_S8_S8_S8_EEEEZNS1_11reduce_implILb1ES3_NS6_12zip_iteratorINS7_INS6_11hip_rocprim26transform_input_iterator_tIbNSD_35transform_pair_of_input_iterators_tIbNS6_6detail15normal_iteratorINS6_10device_ptrIKdEEEESL_NS6_8equal_toIdEEEENSG_9not_fun_tINSD_8identityEEEEENSD_19counting_iterator_tIlEES8_S8_S8_S8_S8_S8_S8_S8_EEEEPS9_S9_NSD_9__find_if7functorIS9_EEEE10hipError_tPvRmT1_T2_T3_mT4_P12ihipStream_tbEUlT_E0_NS1_11comp_targetILNS1_3genE3ELNS1_11target_archE908ELNS1_3gpuE7ELNS1_3repE0EEENS1_30default_config_static_selectorELNS0_4arch9wavefront6targetE0EEEvS14_.uses_flat_scratch, 0
	.set _ZN7rocprim17ROCPRIM_400000_NS6detail17trampoline_kernelINS0_14default_configENS1_22reduce_config_selectorIN6thrust23THRUST_200600_302600_NS5tupleIblNS6_9null_typeES8_S8_S8_S8_S8_S8_S8_EEEEZNS1_11reduce_implILb1ES3_NS6_12zip_iteratorINS7_INS6_11hip_rocprim26transform_input_iterator_tIbNSD_35transform_pair_of_input_iterators_tIbNS6_6detail15normal_iteratorINS6_10device_ptrIKdEEEESL_NS6_8equal_toIdEEEENSG_9not_fun_tINSD_8identityEEEEENSD_19counting_iterator_tIlEES8_S8_S8_S8_S8_S8_S8_S8_EEEEPS9_S9_NSD_9__find_if7functorIS9_EEEE10hipError_tPvRmT1_T2_T3_mT4_P12ihipStream_tbEUlT_E0_NS1_11comp_targetILNS1_3genE3ELNS1_11target_archE908ELNS1_3gpuE7ELNS1_3repE0EEENS1_30default_config_static_selectorELNS0_4arch9wavefront6targetE0EEEvS14_.has_dyn_sized_stack, 0
	.set _ZN7rocprim17ROCPRIM_400000_NS6detail17trampoline_kernelINS0_14default_configENS1_22reduce_config_selectorIN6thrust23THRUST_200600_302600_NS5tupleIblNS6_9null_typeES8_S8_S8_S8_S8_S8_S8_EEEEZNS1_11reduce_implILb1ES3_NS6_12zip_iteratorINS7_INS6_11hip_rocprim26transform_input_iterator_tIbNSD_35transform_pair_of_input_iterators_tIbNS6_6detail15normal_iteratorINS6_10device_ptrIKdEEEESL_NS6_8equal_toIdEEEENSG_9not_fun_tINSD_8identityEEEEENSD_19counting_iterator_tIlEES8_S8_S8_S8_S8_S8_S8_S8_EEEEPS9_S9_NSD_9__find_if7functorIS9_EEEE10hipError_tPvRmT1_T2_T3_mT4_P12ihipStream_tbEUlT_E0_NS1_11comp_targetILNS1_3genE3ELNS1_11target_archE908ELNS1_3gpuE7ELNS1_3repE0EEENS1_30default_config_static_selectorELNS0_4arch9wavefront6targetE0EEEvS14_.has_recursion, 0
	.set _ZN7rocprim17ROCPRIM_400000_NS6detail17trampoline_kernelINS0_14default_configENS1_22reduce_config_selectorIN6thrust23THRUST_200600_302600_NS5tupleIblNS6_9null_typeES8_S8_S8_S8_S8_S8_S8_EEEEZNS1_11reduce_implILb1ES3_NS6_12zip_iteratorINS7_INS6_11hip_rocprim26transform_input_iterator_tIbNSD_35transform_pair_of_input_iterators_tIbNS6_6detail15normal_iteratorINS6_10device_ptrIKdEEEESL_NS6_8equal_toIdEEEENSG_9not_fun_tINSD_8identityEEEEENSD_19counting_iterator_tIlEES8_S8_S8_S8_S8_S8_S8_S8_EEEEPS9_S9_NSD_9__find_if7functorIS9_EEEE10hipError_tPvRmT1_T2_T3_mT4_P12ihipStream_tbEUlT_E0_NS1_11comp_targetILNS1_3genE3ELNS1_11target_archE908ELNS1_3gpuE7ELNS1_3repE0EEENS1_30default_config_static_selectorELNS0_4arch9wavefront6targetE0EEEvS14_.has_indirect_call, 0
	.section	.AMDGPU.csdata,"",@progbits
; Kernel info:
; codeLenInByte = 0
; TotalNumSgprs: 0
; NumVgprs: 0
; ScratchSize: 0
; MemoryBound: 0
; FloatMode: 240
; IeeeMode: 1
; LDSByteSize: 0 bytes/workgroup (compile time only)
; SGPRBlocks: 0
; VGPRBlocks: 0
; NumSGPRsForWavesPerEU: 1
; NumVGPRsForWavesPerEU: 1
; NamedBarCnt: 0
; Occupancy: 16
; WaveLimiterHint : 0
; COMPUTE_PGM_RSRC2:SCRATCH_EN: 0
; COMPUTE_PGM_RSRC2:USER_SGPR: 2
; COMPUTE_PGM_RSRC2:TRAP_HANDLER: 0
; COMPUTE_PGM_RSRC2:TGID_X_EN: 1
; COMPUTE_PGM_RSRC2:TGID_Y_EN: 0
; COMPUTE_PGM_RSRC2:TGID_Z_EN: 0
; COMPUTE_PGM_RSRC2:TIDIG_COMP_CNT: 0
	.section	.text._ZN7rocprim17ROCPRIM_400000_NS6detail17trampoline_kernelINS0_14default_configENS1_22reduce_config_selectorIN6thrust23THRUST_200600_302600_NS5tupleIblNS6_9null_typeES8_S8_S8_S8_S8_S8_S8_EEEEZNS1_11reduce_implILb1ES3_NS6_12zip_iteratorINS7_INS6_11hip_rocprim26transform_input_iterator_tIbNSD_35transform_pair_of_input_iterators_tIbNS6_6detail15normal_iteratorINS6_10device_ptrIKdEEEESL_NS6_8equal_toIdEEEENSG_9not_fun_tINSD_8identityEEEEENSD_19counting_iterator_tIlEES8_S8_S8_S8_S8_S8_S8_S8_EEEEPS9_S9_NSD_9__find_if7functorIS9_EEEE10hipError_tPvRmT1_T2_T3_mT4_P12ihipStream_tbEUlT_E0_NS1_11comp_targetILNS1_3genE2ELNS1_11target_archE906ELNS1_3gpuE6ELNS1_3repE0EEENS1_30default_config_static_selectorELNS0_4arch9wavefront6targetE0EEEvS14_,"axG",@progbits,_ZN7rocprim17ROCPRIM_400000_NS6detail17trampoline_kernelINS0_14default_configENS1_22reduce_config_selectorIN6thrust23THRUST_200600_302600_NS5tupleIblNS6_9null_typeES8_S8_S8_S8_S8_S8_S8_EEEEZNS1_11reduce_implILb1ES3_NS6_12zip_iteratorINS7_INS6_11hip_rocprim26transform_input_iterator_tIbNSD_35transform_pair_of_input_iterators_tIbNS6_6detail15normal_iteratorINS6_10device_ptrIKdEEEESL_NS6_8equal_toIdEEEENSG_9not_fun_tINSD_8identityEEEEENSD_19counting_iterator_tIlEES8_S8_S8_S8_S8_S8_S8_S8_EEEEPS9_S9_NSD_9__find_if7functorIS9_EEEE10hipError_tPvRmT1_T2_T3_mT4_P12ihipStream_tbEUlT_E0_NS1_11comp_targetILNS1_3genE2ELNS1_11target_archE906ELNS1_3gpuE6ELNS1_3repE0EEENS1_30default_config_static_selectorELNS0_4arch9wavefront6targetE0EEEvS14_,comdat
	.protected	_ZN7rocprim17ROCPRIM_400000_NS6detail17trampoline_kernelINS0_14default_configENS1_22reduce_config_selectorIN6thrust23THRUST_200600_302600_NS5tupleIblNS6_9null_typeES8_S8_S8_S8_S8_S8_S8_EEEEZNS1_11reduce_implILb1ES3_NS6_12zip_iteratorINS7_INS6_11hip_rocprim26transform_input_iterator_tIbNSD_35transform_pair_of_input_iterators_tIbNS6_6detail15normal_iteratorINS6_10device_ptrIKdEEEESL_NS6_8equal_toIdEEEENSG_9not_fun_tINSD_8identityEEEEENSD_19counting_iterator_tIlEES8_S8_S8_S8_S8_S8_S8_S8_EEEEPS9_S9_NSD_9__find_if7functorIS9_EEEE10hipError_tPvRmT1_T2_T3_mT4_P12ihipStream_tbEUlT_E0_NS1_11comp_targetILNS1_3genE2ELNS1_11target_archE906ELNS1_3gpuE6ELNS1_3repE0EEENS1_30default_config_static_selectorELNS0_4arch9wavefront6targetE0EEEvS14_ ; -- Begin function _ZN7rocprim17ROCPRIM_400000_NS6detail17trampoline_kernelINS0_14default_configENS1_22reduce_config_selectorIN6thrust23THRUST_200600_302600_NS5tupleIblNS6_9null_typeES8_S8_S8_S8_S8_S8_S8_EEEEZNS1_11reduce_implILb1ES3_NS6_12zip_iteratorINS7_INS6_11hip_rocprim26transform_input_iterator_tIbNSD_35transform_pair_of_input_iterators_tIbNS6_6detail15normal_iteratorINS6_10device_ptrIKdEEEESL_NS6_8equal_toIdEEEENSG_9not_fun_tINSD_8identityEEEEENSD_19counting_iterator_tIlEES8_S8_S8_S8_S8_S8_S8_S8_EEEEPS9_S9_NSD_9__find_if7functorIS9_EEEE10hipError_tPvRmT1_T2_T3_mT4_P12ihipStream_tbEUlT_E0_NS1_11comp_targetILNS1_3genE2ELNS1_11target_archE906ELNS1_3gpuE6ELNS1_3repE0EEENS1_30default_config_static_selectorELNS0_4arch9wavefront6targetE0EEEvS14_
	.globl	_ZN7rocprim17ROCPRIM_400000_NS6detail17trampoline_kernelINS0_14default_configENS1_22reduce_config_selectorIN6thrust23THRUST_200600_302600_NS5tupleIblNS6_9null_typeES8_S8_S8_S8_S8_S8_S8_EEEEZNS1_11reduce_implILb1ES3_NS6_12zip_iteratorINS7_INS6_11hip_rocprim26transform_input_iterator_tIbNSD_35transform_pair_of_input_iterators_tIbNS6_6detail15normal_iteratorINS6_10device_ptrIKdEEEESL_NS6_8equal_toIdEEEENSG_9not_fun_tINSD_8identityEEEEENSD_19counting_iterator_tIlEES8_S8_S8_S8_S8_S8_S8_S8_EEEEPS9_S9_NSD_9__find_if7functorIS9_EEEE10hipError_tPvRmT1_T2_T3_mT4_P12ihipStream_tbEUlT_E0_NS1_11comp_targetILNS1_3genE2ELNS1_11target_archE906ELNS1_3gpuE6ELNS1_3repE0EEENS1_30default_config_static_selectorELNS0_4arch9wavefront6targetE0EEEvS14_
	.p2align	8
	.type	_ZN7rocprim17ROCPRIM_400000_NS6detail17trampoline_kernelINS0_14default_configENS1_22reduce_config_selectorIN6thrust23THRUST_200600_302600_NS5tupleIblNS6_9null_typeES8_S8_S8_S8_S8_S8_S8_EEEEZNS1_11reduce_implILb1ES3_NS6_12zip_iteratorINS7_INS6_11hip_rocprim26transform_input_iterator_tIbNSD_35transform_pair_of_input_iterators_tIbNS6_6detail15normal_iteratorINS6_10device_ptrIKdEEEESL_NS6_8equal_toIdEEEENSG_9not_fun_tINSD_8identityEEEEENSD_19counting_iterator_tIlEES8_S8_S8_S8_S8_S8_S8_S8_EEEEPS9_S9_NSD_9__find_if7functorIS9_EEEE10hipError_tPvRmT1_T2_T3_mT4_P12ihipStream_tbEUlT_E0_NS1_11comp_targetILNS1_3genE2ELNS1_11target_archE906ELNS1_3gpuE6ELNS1_3repE0EEENS1_30default_config_static_selectorELNS0_4arch9wavefront6targetE0EEEvS14_,@function
_ZN7rocprim17ROCPRIM_400000_NS6detail17trampoline_kernelINS0_14default_configENS1_22reduce_config_selectorIN6thrust23THRUST_200600_302600_NS5tupleIblNS6_9null_typeES8_S8_S8_S8_S8_S8_S8_EEEEZNS1_11reduce_implILb1ES3_NS6_12zip_iteratorINS7_INS6_11hip_rocprim26transform_input_iterator_tIbNSD_35transform_pair_of_input_iterators_tIbNS6_6detail15normal_iteratorINS6_10device_ptrIKdEEEESL_NS6_8equal_toIdEEEENSG_9not_fun_tINSD_8identityEEEEENSD_19counting_iterator_tIlEES8_S8_S8_S8_S8_S8_S8_S8_EEEEPS9_S9_NSD_9__find_if7functorIS9_EEEE10hipError_tPvRmT1_T2_T3_mT4_P12ihipStream_tbEUlT_E0_NS1_11comp_targetILNS1_3genE2ELNS1_11target_archE906ELNS1_3gpuE6ELNS1_3repE0EEENS1_30default_config_static_selectorELNS0_4arch9wavefront6targetE0EEEvS14_: ; @_ZN7rocprim17ROCPRIM_400000_NS6detail17trampoline_kernelINS0_14default_configENS1_22reduce_config_selectorIN6thrust23THRUST_200600_302600_NS5tupleIblNS6_9null_typeES8_S8_S8_S8_S8_S8_S8_EEEEZNS1_11reduce_implILb1ES3_NS6_12zip_iteratorINS7_INS6_11hip_rocprim26transform_input_iterator_tIbNSD_35transform_pair_of_input_iterators_tIbNS6_6detail15normal_iteratorINS6_10device_ptrIKdEEEESL_NS6_8equal_toIdEEEENSG_9not_fun_tINSD_8identityEEEEENSD_19counting_iterator_tIlEES8_S8_S8_S8_S8_S8_S8_S8_EEEEPS9_S9_NSD_9__find_if7functorIS9_EEEE10hipError_tPvRmT1_T2_T3_mT4_P12ihipStream_tbEUlT_E0_NS1_11comp_targetILNS1_3genE2ELNS1_11target_archE906ELNS1_3gpuE6ELNS1_3repE0EEENS1_30default_config_static_selectorELNS0_4arch9wavefront6targetE0EEEvS14_
; %bb.0:
	.section	.rodata,"a",@progbits
	.p2align	6, 0x0
	.amdhsa_kernel _ZN7rocprim17ROCPRIM_400000_NS6detail17trampoline_kernelINS0_14default_configENS1_22reduce_config_selectorIN6thrust23THRUST_200600_302600_NS5tupleIblNS6_9null_typeES8_S8_S8_S8_S8_S8_S8_EEEEZNS1_11reduce_implILb1ES3_NS6_12zip_iteratorINS7_INS6_11hip_rocprim26transform_input_iterator_tIbNSD_35transform_pair_of_input_iterators_tIbNS6_6detail15normal_iteratorINS6_10device_ptrIKdEEEESL_NS6_8equal_toIdEEEENSG_9not_fun_tINSD_8identityEEEEENSD_19counting_iterator_tIlEES8_S8_S8_S8_S8_S8_S8_S8_EEEEPS9_S9_NSD_9__find_if7functorIS9_EEEE10hipError_tPvRmT1_T2_T3_mT4_P12ihipStream_tbEUlT_E0_NS1_11comp_targetILNS1_3genE2ELNS1_11target_archE906ELNS1_3gpuE6ELNS1_3repE0EEENS1_30default_config_static_selectorELNS0_4arch9wavefront6targetE0EEEvS14_
		.amdhsa_group_segment_fixed_size 0
		.amdhsa_private_segment_fixed_size 0
		.amdhsa_kernarg_size 104
		.amdhsa_user_sgpr_count 2
		.amdhsa_user_sgpr_dispatch_ptr 0
		.amdhsa_user_sgpr_queue_ptr 0
		.amdhsa_user_sgpr_kernarg_segment_ptr 1
		.amdhsa_user_sgpr_dispatch_id 0
		.amdhsa_user_sgpr_kernarg_preload_length 0
		.amdhsa_user_sgpr_kernarg_preload_offset 0
		.amdhsa_user_sgpr_private_segment_size 0
		.amdhsa_wavefront_size32 1
		.amdhsa_uses_dynamic_stack 0
		.amdhsa_enable_private_segment 0
		.amdhsa_system_sgpr_workgroup_id_x 1
		.amdhsa_system_sgpr_workgroup_id_y 0
		.amdhsa_system_sgpr_workgroup_id_z 0
		.amdhsa_system_sgpr_workgroup_info 0
		.amdhsa_system_vgpr_workitem_id 0
		.amdhsa_next_free_vgpr 1
		.amdhsa_next_free_sgpr 1
		.amdhsa_named_barrier_count 0
		.amdhsa_reserve_vcc 0
		.amdhsa_float_round_mode_32 0
		.amdhsa_float_round_mode_16_64 0
		.amdhsa_float_denorm_mode_32 3
		.amdhsa_float_denorm_mode_16_64 3
		.amdhsa_fp16_overflow 0
		.amdhsa_memory_ordered 1
		.amdhsa_forward_progress 1
		.amdhsa_inst_pref_size 0
		.amdhsa_round_robin_scheduling 0
		.amdhsa_exception_fp_ieee_invalid_op 0
		.amdhsa_exception_fp_denorm_src 0
		.amdhsa_exception_fp_ieee_div_zero 0
		.amdhsa_exception_fp_ieee_overflow 0
		.amdhsa_exception_fp_ieee_underflow 0
		.amdhsa_exception_fp_ieee_inexact 0
		.amdhsa_exception_int_div_zero 0
	.end_amdhsa_kernel
	.section	.text._ZN7rocprim17ROCPRIM_400000_NS6detail17trampoline_kernelINS0_14default_configENS1_22reduce_config_selectorIN6thrust23THRUST_200600_302600_NS5tupleIblNS6_9null_typeES8_S8_S8_S8_S8_S8_S8_EEEEZNS1_11reduce_implILb1ES3_NS6_12zip_iteratorINS7_INS6_11hip_rocprim26transform_input_iterator_tIbNSD_35transform_pair_of_input_iterators_tIbNS6_6detail15normal_iteratorINS6_10device_ptrIKdEEEESL_NS6_8equal_toIdEEEENSG_9not_fun_tINSD_8identityEEEEENSD_19counting_iterator_tIlEES8_S8_S8_S8_S8_S8_S8_S8_EEEEPS9_S9_NSD_9__find_if7functorIS9_EEEE10hipError_tPvRmT1_T2_T3_mT4_P12ihipStream_tbEUlT_E0_NS1_11comp_targetILNS1_3genE2ELNS1_11target_archE906ELNS1_3gpuE6ELNS1_3repE0EEENS1_30default_config_static_selectorELNS0_4arch9wavefront6targetE0EEEvS14_,"axG",@progbits,_ZN7rocprim17ROCPRIM_400000_NS6detail17trampoline_kernelINS0_14default_configENS1_22reduce_config_selectorIN6thrust23THRUST_200600_302600_NS5tupleIblNS6_9null_typeES8_S8_S8_S8_S8_S8_S8_EEEEZNS1_11reduce_implILb1ES3_NS6_12zip_iteratorINS7_INS6_11hip_rocprim26transform_input_iterator_tIbNSD_35transform_pair_of_input_iterators_tIbNS6_6detail15normal_iteratorINS6_10device_ptrIKdEEEESL_NS6_8equal_toIdEEEENSG_9not_fun_tINSD_8identityEEEEENSD_19counting_iterator_tIlEES8_S8_S8_S8_S8_S8_S8_S8_EEEEPS9_S9_NSD_9__find_if7functorIS9_EEEE10hipError_tPvRmT1_T2_T3_mT4_P12ihipStream_tbEUlT_E0_NS1_11comp_targetILNS1_3genE2ELNS1_11target_archE906ELNS1_3gpuE6ELNS1_3repE0EEENS1_30default_config_static_selectorELNS0_4arch9wavefront6targetE0EEEvS14_,comdat
.Lfunc_end41:
	.size	_ZN7rocprim17ROCPRIM_400000_NS6detail17trampoline_kernelINS0_14default_configENS1_22reduce_config_selectorIN6thrust23THRUST_200600_302600_NS5tupleIblNS6_9null_typeES8_S8_S8_S8_S8_S8_S8_EEEEZNS1_11reduce_implILb1ES3_NS6_12zip_iteratorINS7_INS6_11hip_rocprim26transform_input_iterator_tIbNSD_35transform_pair_of_input_iterators_tIbNS6_6detail15normal_iteratorINS6_10device_ptrIKdEEEESL_NS6_8equal_toIdEEEENSG_9not_fun_tINSD_8identityEEEEENSD_19counting_iterator_tIlEES8_S8_S8_S8_S8_S8_S8_S8_EEEEPS9_S9_NSD_9__find_if7functorIS9_EEEE10hipError_tPvRmT1_T2_T3_mT4_P12ihipStream_tbEUlT_E0_NS1_11comp_targetILNS1_3genE2ELNS1_11target_archE906ELNS1_3gpuE6ELNS1_3repE0EEENS1_30default_config_static_selectorELNS0_4arch9wavefront6targetE0EEEvS14_, .Lfunc_end41-_ZN7rocprim17ROCPRIM_400000_NS6detail17trampoline_kernelINS0_14default_configENS1_22reduce_config_selectorIN6thrust23THRUST_200600_302600_NS5tupleIblNS6_9null_typeES8_S8_S8_S8_S8_S8_S8_EEEEZNS1_11reduce_implILb1ES3_NS6_12zip_iteratorINS7_INS6_11hip_rocprim26transform_input_iterator_tIbNSD_35transform_pair_of_input_iterators_tIbNS6_6detail15normal_iteratorINS6_10device_ptrIKdEEEESL_NS6_8equal_toIdEEEENSG_9not_fun_tINSD_8identityEEEEENSD_19counting_iterator_tIlEES8_S8_S8_S8_S8_S8_S8_S8_EEEEPS9_S9_NSD_9__find_if7functorIS9_EEEE10hipError_tPvRmT1_T2_T3_mT4_P12ihipStream_tbEUlT_E0_NS1_11comp_targetILNS1_3genE2ELNS1_11target_archE906ELNS1_3gpuE6ELNS1_3repE0EEENS1_30default_config_static_selectorELNS0_4arch9wavefront6targetE0EEEvS14_
                                        ; -- End function
	.set _ZN7rocprim17ROCPRIM_400000_NS6detail17trampoline_kernelINS0_14default_configENS1_22reduce_config_selectorIN6thrust23THRUST_200600_302600_NS5tupleIblNS6_9null_typeES8_S8_S8_S8_S8_S8_S8_EEEEZNS1_11reduce_implILb1ES3_NS6_12zip_iteratorINS7_INS6_11hip_rocprim26transform_input_iterator_tIbNSD_35transform_pair_of_input_iterators_tIbNS6_6detail15normal_iteratorINS6_10device_ptrIKdEEEESL_NS6_8equal_toIdEEEENSG_9not_fun_tINSD_8identityEEEEENSD_19counting_iterator_tIlEES8_S8_S8_S8_S8_S8_S8_S8_EEEEPS9_S9_NSD_9__find_if7functorIS9_EEEE10hipError_tPvRmT1_T2_T3_mT4_P12ihipStream_tbEUlT_E0_NS1_11comp_targetILNS1_3genE2ELNS1_11target_archE906ELNS1_3gpuE6ELNS1_3repE0EEENS1_30default_config_static_selectorELNS0_4arch9wavefront6targetE0EEEvS14_.num_vgpr, 0
	.set _ZN7rocprim17ROCPRIM_400000_NS6detail17trampoline_kernelINS0_14default_configENS1_22reduce_config_selectorIN6thrust23THRUST_200600_302600_NS5tupleIblNS6_9null_typeES8_S8_S8_S8_S8_S8_S8_EEEEZNS1_11reduce_implILb1ES3_NS6_12zip_iteratorINS7_INS6_11hip_rocprim26transform_input_iterator_tIbNSD_35transform_pair_of_input_iterators_tIbNS6_6detail15normal_iteratorINS6_10device_ptrIKdEEEESL_NS6_8equal_toIdEEEENSG_9not_fun_tINSD_8identityEEEEENSD_19counting_iterator_tIlEES8_S8_S8_S8_S8_S8_S8_S8_EEEEPS9_S9_NSD_9__find_if7functorIS9_EEEE10hipError_tPvRmT1_T2_T3_mT4_P12ihipStream_tbEUlT_E0_NS1_11comp_targetILNS1_3genE2ELNS1_11target_archE906ELNS1_3gpuE6ELNS1_3repE0EEENS1_30default_config_static_selectorELNS0_4arch9wavefront6targetE0EEEvS14_.num_agpr, 0
	.set _ZN7rocprim17ROCPRIM_400000_NS6detail17trampoline_kernelINS0_14default_configENS1_22reduce_config_selectorIN6thrust23THRUST_200600_302600_NS5tupleIblNS6_9null_typeES8_S8_S8_S8_S8_S8_S8_EEEEZNS1_11reduce_implILb1ES3_NS6_12zip_iteratorINS7_INS6_11hip_rocprim26transform_input_iterator_tIbNSD_35transform_pair_of_input_iterators_tIbNS6_6detail15normal_iteratorINS6_10device_ptrIKdEEEESL_NS6_8equal_toIdEEEENSG_9not_fun_tINSD_8identityEEEEENSD_19counting_iterator_tIlEES8_S8_S8_S8_S8_S8_S8_S8_EEEEPS9_S9_NSD_9__find_if7functorIS9_EEEE10hipError_tPvRmT1_T2_T3_mT4_P12ihipStream_tbEUlT_E0_NS1_11comp_targetILNS1_3genE2ELNS1_11target_archE906ELNS1_3gpuE6ELNS1_3repE0EEENS1_30default_config_static_selectorELNS0_4arch9wavefront6targetE0EEEvS14_.numbered_sgpr, 0
	.set _ZN7rocprim17ROCPRIM_400000_NS6detail17trampoline_kernelINS0_14default_configENS1_22reduce_config_selectorIN6thrust23THRUST_200600_302600_NS5tupleIblNS6_9null_typeES8_S8_S8_S8_S8_S8_S8_EEEEZNS1_11reduce_implILb1ES3_NS6_12zip_iteratorINS7_INS6_11hip_rocprim26transform_input_iterator_tIbNSD_35transform_pair_of_input_iterators_tIbNS6_6detail15normal_iteratorINS6_10device_ptrIKdEEEESL_NS6_8equal_toIdEEEENSG_9not_fun_tINSD_8identityEEEEENSD_19counting_iterator_tIlEES8_S8_S8_S8_S8_S8_S8_S8_EEEEPS9_S9_NSD_9__find_if7functorIS9_EEEE10hipError_tPvRmT1_T2_T3_mT4_P12ihipStream_tbEUlT_E0_NS1_11comp_targetILNS1_3genE2ELNS1_11target_archE906ELNS1_3gpuE6ELNS1_3repE0EEENS1_30default_config_static_selectorELNS0_4arch9wavefront6targetE0EEEvS14_.num_named_barrier, 0
	.set _ZN7rocprim17ROCPRIM_400000_NS6detail17trampoline_kernelINS0_14default_configENS1_22reduce_config_selectorIN6thrust23THRUST_200600_302600_NS5tupleIblNS6_9null_typeES8_S8_S8_S8_S8_S8_S8_EEEEZNS1_11reduce_implILb1ES3_NS6_12zip_iteratorINS7_INS6_11hip_rocprim26transform_input_iterator_tIbNSD_35transform_pair_of_input_iterators_tIbNS6_6detail15normal_iteratorINS6_10device_ptrIKdEEEESL_NS6_8equal_toIdEEEENSG_9not_fun_tINSD_8identityEEEEENSD_19counting_iterator_tIlEES8_S8_S8_S8_S8_S8_S8_S8_EEEEPS9_S9_NSD_9__find_if7functorIS9_EEEE10hipError_tPvRmT1_T2_T3_mT4_P12ihipStream_tbEUlT_E0_NS1_11comp_targetILNS1_3genE2ELNS1_11target_archE906ELNS1_3gpuE6ELNS1_3repE0EEENS1_30default_config_static_selectorELNS0_4arch9wavefront6targetE0EEEvS14_.private_seg_size, 0
	.set _ZN7rocprim17ROCPRIM_400000_NS6detail17trampoline_kernelINS0_14default_configENS1_22reduce_config_selectorIN6thrust23THRUST_200600_302600_NS5tupleIblNS6_9null_typeES8_S8_S8_S8_S8_S8_S8_EEEEZNS1_11reduce_implILb1ES3_NS6_12zip_iteratorINS7_INS6_11hip_rocprim26transform_input_iterator_tIbNSD_35transform_pair_of_input_iterators_tIbNS6_6detail15normal_iteratorINS6_10device_ptrIKdEEEESL_NS6_8equal_toIdEEEENSG_9not_fun_tINSD_8identityEEEEENSD_19counting_iterator_tIlEES8_S8_S8_S8_S8_S8_S8_S8_EEEEPS9_S9_NSD_9__find_if7functorIS9_EEEE10hipError_tPvRmT1_T2_T3_mT4_P12ihipStream_tbEUlT_E0_NS1_11comp_targetILNS1_3genE2ELNS1_11target_archE906ELNS1_3gpuE6ELNS1_3repE0EEENS1_30default_config_static_selectorELNS0_4arch9wavefront6targetE0EEEvS14_.uses_vcc, 0
	.set _ZN7rocprim17ROCPRIM_400000_NS6detail17trampoline_kernelINS0_14default_configENS1_22reduce_config_selectorIN6thrust23THRUST_200600_302600_NS5tupleIblNS6_9null_typeES8_S8_S8_S8_S8_S8_S8_EEEEZNS1_11reduce_implILb1ES3_NS6_12zip_iteratorINS7_INS6_11hip_rocprim26transform_input_iterator_tIbNSD_35transform_pair_of_input_iterators_tIbNS6_6detail15normal_iteratorINS6_10device_ptrIKdEEEESL_NS6_8equal_toIdEEEENSG_9not_fun_tINSD_8identityEEEEENSD_19counting_iterator_tIlEES8_S8_S8_S8_S8_S8_S8_S8_EEEEPS9_S9_NSD_9__find_if7functorIS9_EEEE10hipError_tPvRmT1_T2_T3_mT4_P12ihipStream_tbEUlT_E0_NS1_11comp_targetILNS1_3genE2ELNS1_11target_archE906ELNS1_3gpuE6ELNS1_3repE0EEENS1_30default_config_static_selectorELNS0_4arch9wavefront6targetE0EEEvS14_.uses_flat_scratch, 0
	.set _ZN7rocprim17ROCPRIM_400000_NS6detail17trampoline_kernelINS0_14default_configENS1_22reduce_config_selectorIN6thrust23THRUST_200600_302600_NS5tupleIblNS6_9null_typeES8_S8_S8_S8_S8_S8_S8_EEEEZNS1_11reduce_implILb1ES3_NS6_12zip_iteratorINS7_INS6_11hip_rocprim26transform_input_iterator_tIbNSD_35transform_pair_of_input_iterators_tIbNS6_6detail15normal_iteratorINS6_10device_ptrIKdEEEESL_NS6_8equal_toIdEEEENSG_9not_fun_tINSD_8identityEEEEENSD_19counting_iterator_tIlEES8_S8_S8_S8_S8_S8_S8_S8_EEEEPS9_S9_NSD_9__find_if7functorIS9_EEEE10hipError_tPvRmT1_T2_T3_mT4_P12ihipStream_tbEUlT_E0_NS1_11comp_targetILNS1_3genE2ELNS1_11target_archE906ELNS1_3gpuE6ELNS1_3repE0EEENS1_30default_config_static_selectorELNS0_4arch9wavefront6targetE0EEEvS14_.has_dyn_sized_stack, 0
	.set _ZN7rocprim17ROCPRIM_400000_NS6detail17trampoline_kernelINS0_14default_configENS1_22reduce_config_selectorIN6thrust23THRUST_200600_302600_NS5tupleIblNS6_9null_typeES8_S8_S8_S8_S8_S8_S8_EEEEZNS1_11reduce_implILb1ES3_NS6_12zip_iteratorINS7_INS6_11hip_rocprim26transform_input_iterator_tIbNSD_35transform_pair_of_input_iterators_tIbNS6_6detail15normal_iteratorINS6_10device_ptrIKdEEEESL_NS6_8equal_toIdEEEENSG_9not_fun_tINSD_8identityEEEEENSD_19counting_iterator_tIlEES8_S8_S8_S8_S8_S8_S8_S8_EEEEPS9_S9_NSD_9__find_if7functorIS9_EEEE10hipError_tPvRmT1_T2_T3_mT4_P12ihipStream_tbEUlT_E0_NS1_11comp_targetILNS1_3genE2ELNS1_11target_archE906ELNS1_3gpuE6ELNS1_3repE0EEENS1_30default_config_static_selectorELNS0_4arch9wavefront6targetE0EEEvS14_.has_recursion, 0
	.set _ZN7rocprim17ROCPRIM_400000_NS6detail17trampoline_kernelINS0_14default_configENS1_22reduce_config_selectorIN6thrust23THRUST_200600_302600_NS5tupleIblNS6_9null_typeES8_S8_S8_S8_S8_S8_S8_EEEEZNS1_11reduce_implILb1ES3_NS6_12zip_iteratorINS7_INS6_11hip_rocprim26transform_input_iterator_tIbNSD_35transform_pair_of_input_iterators_tIbNS6_6detail15normal_iteratorINS6_10device_ptrIKdEEEESL_NS6_8equal_toIdEEEENSG_9not_fun_tINSD_8identityEEEEENSD_19counting_iterator_tIlEES8_S8_S8_S8_S8_S8_S8_S8_EEEEPS9_S9_NSD_9__find_if7functorIS9_EEEE10hipError_tPvRmT1_T2_T3_mT4_P12ihipStream_tbEUlT_E0_NS1_11comp_targetILNS1_3genE2ELNS1_11target_archE906ELNS1_3gpuE6ELNS1_3repE0EEENS1_30default_config_static_selectorELNS0_4arch9wavefront6targetE0EEEvS14_.has_indirect_call, 0
	.section	.AMDGPU.csdata,"",@progbits
; Kernel info:
; codeLenInByte = 0
; TotalNumSgprs: 0
; NumVgprs: 0
; ScratchSize: 0
; MemoryBound: 0
; FloatMode: 240
; IeeeMode: 1
; LDSByteSize: 0 bytes/workgroup (compile time only)
; SGPRBlocks: 0
; VGPRBlocks: 0
; NumSGPRsForWavesPerEU: 1
; NumVGPRsForWavesPerEU: 1
; NamedBarCnt: 0
; Occupancy: 16
; WaveLimiterHint : 0
; COMPUTE_PGM_RSRC2:SCRATCH_EN: 0
; COMPUTE_PGM_RSRC2:USER_SGPR: 2
; COMPUTE_PGM_RSRC2:TRAP_HANDLER: 0
; COMPUTE_PGM_RSRC2:TGID_X_EN: 1
; COMPUTE_PGM_RSRC2:TGID_Y_EN: 0
; COMPUTE_PGM_RSRC2:TGID_Z_EN: 0
; COMPUTE_PGM_RSRC2:TIDIG_COMP_CNT: 0
	.section	.text._ZN7rocprim17ROCPRIM_400000_NS6detail17trampoline_kernelINS0_14default_configENS1_22reduce_config_selectorIN6thrust23THRUST_200600_302600_NS5tupleIblNS6_9null_typeES8_S8_S8_S8_S8_S8_S8_EEEEZNS1_11reduce_implILb1ES3_NS6_12zip_iteratorINS7_INS6_11hip_rocprim26transform_input_iterator_tIbNSD_35transform_pair_of_input_iterators_tIbNS6_6detail15normal_iteratorINS6_10device_ptrIKdEEEESL_NS6_8equal_toIdEEEENSG_9not_fun_tINSD_8identityEEEEENSD_19counting_iterator_tIlEES8_S8_S8_S8_S8_S8_S8_S8_EEEEPS9_S9_NSD_9__find_if7functorIS9_EEEE10hipError_tPvRmT1_T2_T3_mT4_P12ihipStream_tbEUlT_E0_NS1_11comp_targetILNS1_3genE10ELNS1_11target_archE1201ELNS1_3gpuE5ELNS1_3repE0EEENS1_30default_config_static_selectorELNS0_4arch9wavefront6targetE0EEEvS14_,"axG",@progbits,_ZN7rocprim17ROCPRIM_400000_NS6detail17trampoline_kernelINS0_14default_configENS1_22reduce_config_selectorIN6thrust23THRUST_200600_302600_NS5tupleIblNS6_9null_typeES8_S8_S8_S8_S8_S8_S8_EEEEZNS1_11reduce_implILb1ES3_NS6_12zip_iteratorINS7_INS6_11hip_rocprim26transform_input_iterator_tIbNSD_35transform_pair_of_input_iterators_tIbNS6_6detail15normal_iteratorINS6_10device_ptrIKdEEEESL_NS6_8equal_toIdEEEENSG_9not_fun_tINSD_8identityEEEEENSD_19counting_iterator_tIlEES8_S8_S8_S8_S8_S8_S8_S8_EEEEPS9_S9_NSD_9__find_if7functorIS9_EEEE10hipError_tPvRmT1_T2_T3_mT4_P12ihipStream_tbEUlT_E0_NS1_11comp_targetILNS1_3genE10ELNS1_11target_archE1201ELNS1_3gpuE5ELNS1_3repE0EEENS1_30default_config_static_selectorELNS0_4arch9wavefront6targetE0EEEvS14_,comdat
	.protected	_ZN7rocprim17ROCPRIM_400000_NS6detail17trampoline_kernelINS0_14default_configENS1_22reduce_config_selectorIN6thrust23THRUST_200600_302600_NS5tupleIblNS6_9null_typeES8_S8_S8_S8_S8_S8_S8_EEEEZNS1_11reduce_implILb1ES3_NS6_12zip_iteratorINS7_INS6_11hip_rocprim26transform_input_iterator_tIbNSD_35transform_pair_of_input_iterators_tIbNS6_6detail15normal_iteratorINS6_10device_ptrIKdEEEESL_NS6_8equal_toIdEEEENSG_9not_fun_tINSD_8identityEEEEENSD_19counting_iterator_tIlEES8_S8_S8_S8_S8_S8_S8_S8_EEEEPS9_S9_NSD_9__find_if7functorIS9_EEEE10hipError_tPvRmT1_T2_T3_mT4_P12ihipStream_tbEUlT_E0_NS1_11comp_targetILNS1_3genE10ELNS1_11target_archE1201ELNS1_3gpuE5ELNS1_3repE0EEENS1_30default_config_static_selectorELNS0_4arch9wavefront6targetE0EEEvS14_ ; -- Begin function _ZN7rocprim17ROCPRIM_400000_NS6detail17trampoline_kernelINS0_14default_configENS1_22reduce_config_selectorIN6thrust23THRUST_200600_302600_NS5tupleIblNS6_9null_typeES8_S8_S8_S8_S8_S8_S8_EEEEZNS1_11reduce_implILb1ES3_NS6_12zip_iteratorINS7_INS6_11hip_rocprim26transform_input_iterator_tIbNSD_35transform_pair_of_input_iterators_tIbNS6_6detail15normal_iteratorINS6_10device_ptrIKdEEEESL_NS6_8equal_toIdEEEENSG_9not_fun_tINSD_8identityEEEEENSD_19counting_iterator_tIlEES8_S8_S8_S8_S8_S8_S8_S8_EEEEPS9_S9_NSD_9__find_if7functorIS9_EEEE10hipError_tPvRmT1_T2_T3_mT4_P12ihipStream_tbEUlT_E0_NS1_11comp_targetILNS1_3genE10ELNS1_11target_archE1201ELNS1_3gpuE5ELNS1_3repE0EEENS1_30default_config_static_selectorELNS0_4arch9wavefront6targetE0EEEvS14_
	.globl	_ZN7rocprim17ROCPRIM_400000_NS6detail17trampoline_kernelINS0_14default_configENS1_22reduce_config_selectorIN6thrust23THRUST_200600_302600_NS5tupleIblNS6_9null_typeES8_S8_S8_S8_S8_S8_S8_EEEEZNS1_11reduce_implILb1ES3_NS6_12zip_iteratorINS7_INS6_11hip_rocprim26transform_input_iterator_tIbNSD_35transform_pair_of_input_iterators_tIbNS6_6detail15normal_iteratorINS6_10device_ptrIKdEEEESL_NS6_8equal_toIdEEEENSG_9not_fun_tINSD_8identityEEEEENSD_19counting_iterator_tIlEES8_S8_S8_S8_S8_S8_S8_S8_EEEEPS9_S9_NSD_9__find_if7functorIS9_EEEE10hipError_tPvRmT1_T2_T3_mT4_P12ihipStream_tbEUlT_E0_NS1_11comp_targetILNS1_3genE10ELNS1_11target_archE1201ELNS1_3gpuE5ELNS1_3repE0EEENS1_30default_config_static_selectorELNS0_4arch9wavefront6targetE0EEEvS14_
	.p2align	8
	.type	_ZN7rocprim17ROCPRIM_400000_NS6detail17trampoline_kernelINS0_14default_configENS1_22reduce_config_selectorIN6thrust23THRUST_200600_302600_NS5tupleIblNS6_9null_typeES8_S8_S8_S8_S8_S8_S8_EEEEZNS1_11reduce_implILb1ES3_NS6_12zip_iteratorINS7_INS6_11hip_rocprim26transform_input_iterator_tIbNSD_35transform_pair_of_input_iterators_tIbNS6_6detail15normal_iteratorINS6_10device_ptrIKdEEEESL_NS6_8equal_toIdEEEENSG_9not_fun_tINSD_8identityEEEEENSD_19counting_iterator_tIlEES8_S8_S8_S8_S8_S8_S8_S8_EEEEPS9_S9_NSD_9__find_if7functorIS9_EEEE10hipError_tPvRmT1_T2_T3_mT4_P12ihipStream_tbEUlT_E0_NS1_11comp_targetILNS1_3genE10ELNS1_11target_archE1201ELNS1_3gpuE5ELNS1_3repE0EEENS1_30default_config_static_selectorELNS0_4arch9wavefront6targetE0EEEvS14_,@function
_ZN7rocprim17ROCPRIM_400000_NS6detail17trampoline_kernelINS0_14default_configENS1_22reduce_config_selectorIN6thrust23THRUST_200600_302600_NS5tupleIblNS6_9null_typeES8_S8_S8_S8_S8_S8_S8_EEEEZNS1_11reduce_implILb1ES3_NS6_12zip_iteratorINS7_INS6_11hip_rocprim26transform_input_iterator_tIbNSD_35transform_pair_of_input_iterators_tIbNS6_6detail15normal_iteratorINS6_10device_ptrIKdEEEESL_NS6_8equal_toIdEEEENSG_9not_fun_tINSD_8identityEEEEENSD_19counting_iterator_tIlEES8_S8_S8_S8_S8_S8_S8_S8_EEEEPS9_S9_NSD_9__find_if7functorIS9_EEEE10hipError_tPvRmT1_T2_T3_mT4_P12ihipStream_tbEUlT_E0_NS1_11comp_targetILNS1_3genE10ELNS1_11target_archE1201ELNS1_3gpuE5ELNS1_3repE0EEENS1_30default_config_static_selectorELNS0_4arch9wavefront6targetE0EEEvS14_: ; @_ZN7rocprim17ROCPRIM_400000_NS6detail17trampoline_kernelINS0_14default_configENS1_22reduce_config_selectorIN6thrust23THRUST_200600_302600_NS5tupleIblNS6_9null_typeES8_S8_S8_S8_S8_S8_S8_EEEEZNS1_11reduce_implILb1ES3_NS6_12zip_iteratorINS7_INS6_11hip_rocprim26transform_input_iterator_tIbNSD_35transform_pair_of_input_iterators_tIbNS6_6detail15normal_iteratorINS6_10device_ptrIKdEEEESL_NS6_8equal_toIdEEEENSG_9not_fun_tINSD_8identityEEEEENSD_19counting_iterator_tIlEES8_S8_S8_S8_S8_S8_S8_S8_EEEEPS9_S9_NSD_9__find_if7functorIS9_EEEE10hipError_tPvRmT1_T2_T3_mT4_P12ihipStream_tbEUlT_E0_NS1_11comp_targetILNS1_3genE10ELNS1_11target_archE1201ELNS1_3gpuE5ELNS1_3repE0EEENS1_30default_config_static_selectorELNS0_4arch9wavefront6targetE0EEEvS14_
; %bb.0:
	.section	.rodata,"a",@progbits
	.p2align	6, 0x0
	.amdhsa_kernel _ZN7rocprim17ROCPRIM_400000_NS6detail17trampoline_kernelINS0_14default_configENS1_22reduce_config_selectorIN6thrust23THRUST_200600_302600_NS5tupleIblNS6_9null_typeES8_S8_S8_S8_S8_S8_S8_EEEEZNS1_11reduce_implILb1ES3_NS6_12zip_iteratorINS7_INS6_11hip_rocprim26transform_input_iterator_tIbNSD_35transform_pair_of_input_iterators_tIbNS6_6detail15normal_iteratorINS6_10device_ptrIKdEEEESL_NS6_8equal_toIdEEEENSG_9not_fun_tINSD_8identityEEEEENSD_19counting_iterator_tIlEES8_S8_S8_S8_S8_S8_S8_S8_EEEEPS9_S9_NSD_9__find_if7functorIS9_EEEE10hipError_tPvRmT1_T2_T3_mT4_P12ihipStream_tbEUlT_E0_NS1_11comp_targetILNS1_3genE10ELNS1_11target_archE1201ELNS1_3gpuE5ELNS1_3repE0EEENS1_30default_config_static_selectorELNS0_4arch9wavefront6targetE0EEEvS14_
		.amdhsa_group_segment_fixed_size 0
		.amdhsa_private_segment_fixed_size 0
		.amdhsa_kernarg_size 104
		.amdhsa_user_sgpr_count 2
		.amdhsa_user_sgpr_dispatch_ptr 0
		.amdhsa_user_sgpr_queue_ptr 0
		.amdhsa_user_sgpr_kernarg_segment_ptr 1
		.amdhsa_user_sgpr_dispatch_id 0
		.amdhsa_user_sgpr_kernarg_preload_length 0
		.amdhsa_user_sgpr_kernarg_preload_offset 0
		.amdhsa_user_sgpr_private_segment_size 0
		.amdhsa_wavefront_size32 1
		.amdhsa_uses_dynamic_stack 0
		.amdhsa_enable_private_segment 0
		.amdhsa_system_sgpr_workgroup_id_x 1
		.amdhsa_system_sgpr_workgroup_id_y 0
		.amdhsa_system_sgpr_workgroup_id_z 0
		.amdhsa_system_sgpr_workgroup_info 0
		.amdhsa_system_vgpr_workitem_id 0
		.amdhsa_next_free_vgpr 1
		.amdhsa_next_free_sgpr 1
		.amdhsa_named_barrier_count 0
		.amdhsa_reserve_vcc 0
		.amdhsa_float_round_mode_32 0
		.amdhsa_float_round_mode_16_64 0
		.amdhsa_float_denorm_mode_32 3
		.amdhsa_float_denorm_mode_16_64 3
		.amdhsa_fp16_overflow 0
		.amdhsa_memory_ordered 1
		.amdhsa_forward_progress 1
		.amdhsa_inst_pref_size 0
		.amdhsa_round_robin_scheduling 0
		.amdhsa_exception_fp_ieee_invalid_op 0
		.amdhsa_exception_fp_denorm_src 0
		.amdhsa_exception_fp_ieee_div_zero 0
		.amdhsa_exception_fp_ieee_overflow 0
		.amdhsa_exception_fp_ieee_underflow 0
		.amdhsa_exception_fp_ieee_inexact 0
		.amdhsa_exception_int_div_zero 0
	.end_amdhsa_kernel
	.section	.text._ZN7rocprim17ROCPRIM_400000_NS6detail17trampoline_kernelINS0_14default_configENS1_22reduce_config_selectorIN6thrust23THRUST_200600_302600_NS5tupleIblNS6_9null_typeES8_S8_S8_S8_S8_S8_S8_EEEEZNS1_11reduce_implILb1ES3_NS6_12zip_iteratorINS7_INS6_11hip_rocprim26transform_input_iterator_tIbNSD_35transform_pair_of_input_iterators_tIbNS6_6detail15normal_iteratorINS6_10device_ptrIKdEEEESL_NS6_8equal_toIdEEEENSG_9not_fun_tINSD_8identityEEEEENSD_19counting_iterator_tIlEES8_S8_S8_S8_S8_S8_S8_S8_EEEEPS9_S9_NSD_9__find_if7functorIS9_EEEE10hipError_tPvRmT1_T2_T3_mT4_P12ihipStream_tbEUlT_E0_NS1_11comp_targetILNS1_3genE10ELNS1_11target_archE1201ELNS1_3gpuE5ELNS1_3repE0EEENS1_30default_config_static_selectorELNS0_4arch9wavefront6targetE0EEEvS14_,"axG",@progbits,_ZN7rocprim17ROCPRIM_400000_NS6detail17trampoline_kernelINS0_14default_configENS1_22reduce_config_selectorIN6thrust23THRUST_200600_302600_NS5tupleIblNS6_9null_typeES8_S8_S8_S8_S8_S8_S8_EEEEZNS1_11reduce_implILb1ES3_NS6_12zip_iteratorINS7_INS6_11hip_rocprim26transform_input_iterator_tIbNSD_35transform_pair_of_input_iterators_tIbNS6_6detail15normal_iteratorINS6_10device_ptrIKdEEEESL_NS6_8equal_toIdEEEENSG_9not_fun_tINSD_8identityEEEEENSD_19counting_iterator_tIlEES8_S8_S8_S8_S8_S8_S8_S8_EEEEPS9_S9_NSD_9__find_if7functorIS9_EEEE10hipError_tPvRmT1_T2_T3_mT4_P12ihipStream_tbEUlT_E0_NS1_11comp_targetILNS1_3genE10ELNS1_11target_archE1201ELNS1_3gpuE5ELNS1_3repE0EEENS1_30default_config_static_selectorELNS0_4arch9wavefront6targetE0EEEvS14_,comdat
.Lfunc_end42:
	.size	_ZN7rocprim17ROCPRIM_400000_NS6detail17trampoline_kernelINS0_14default_configENS1_22reduce_config_selectorIN6thrust23THRUST_200600_302600_NS5tupleIblNS6_9null_typeES8_S8_S8_S8_S8_S8_S8_EEEEZNS1_11reduce_implILb1ES3_NS6_12zip_iteratorINS7_INS6_11hip_rocprim26transform_input_iterator_tIbNSD_35transform_pair_of_input_iterators_tIbNS6_6detail15normal_iteratorINS6_10device_ptrIKdEEEESL_NS6_8equal_toIdEEEENSG_9not_fun_tINSD_8identityEEEEENSD_19counting_iterator_tIlEES8_S8_S8_S8_S8_S8_S8_S8_EEEEPS9_S9_NSD_9__find_if7functorIS9_EEEE10hipError_tPvRmT1_T2_T3_mT4_P12ihipStream_tbEUlT_E0_NS1_11comp_targetILNS1_3genE10ELNS1_11target_archE1201ELNS1_3gpuE5ELNS1_3repE0EEENS1_30default_config_static_selectorELNS0_4arch9wavefront6targetE0EEEvS14_, .Lfunc_end42-_ZN7rocprim17ROCPRIM_400000_NS6detail17trampoline_kernelINS0_14default_configENS1_22reduce_config_selectorIN6thrust23THRUST_200600_302600_NS5tupleIblNS6_9null_typeES8_S8_S8_S8_S8_S8_S8_EEEEZNS1_11reduce_implILb1ES3_NS6_12zip_iteratorINS7_INS6_11hip_rocprim26transform_input_iterator_tIbNSD_35transform_pair_of_input_iterators_tIbNS6_6detail15normal_iteratorINS6_10device_ptrIKdEEEESL_NS6_8equal_toIdEEEENSG_9not_fun_tINSD_8identityEEEEENSD_19counting_iterator_tIlEES8_S8_S8_S8_S8_S8_S8_S8_EEEEPS9_S9_NSD_9__find_if7functorIS9_EEEE10hipError_tPvRmT1_T2_T3_mT4_P12ihipStream_tbEUlT_E0_NS1_11comp_targetILNS1_3genE10ELNS1_11target_archE1201ELNS1_3gpuE5ELNS1_3repE0EEENS1_30default_config_static_selectorELNS0_4arch9wavefront6targetE0EEEvS14_
                                        ; -- End function
	.set _ZN7rocprim17ROCPRIM_400000_NS6detail17trampoline_kernelINS0_14default_configENS1_22reduce_config_selectorIN6thrust23THRUST_200600_302600_NS5tupleIblNS6_9null_typeES8_S8_S8_S8_S8_S8_S8_EEEEZNS1_11reduce_implILb1ES3_NS6_12zip_iteratorINS7_INS6_11hip_rocprim26transform_input_iterator_tIbNSD_35transform_pair_of_input_iterators_tIbNS6_6detail15normal_iteratorINS6_10device_ptrIKdEEEESL_NS6_8equal_toIdEEEENSG_9not_fun_tINSD_8identityEEEEENSD_19counting_iterator_tIlEES8_S8_S8_S8_S8_S8_S8_S8_EEEEPS9_S9_NSD_9__find_if7functorIS9_EEEE10hipError_tPvRmT1_T2_T3_mT4_P12ihipStream_tbEUlT_E0_NS1_11comp_targetILNS1_3genE10ELNS1_11target_archE1201ELNS1_3gpuE5ELNS1_3repE0EEENS1_30default_config_static_selectorELNS0_4arch9wavefront6targetE0EEEvS14_.num_vgpr, 0
	.set _ZN7rocprim17ROCPRIM_400000_NS6detail17trampoline_kernelINS0_14default_configENS1_22reduce_config_selectorIN6thrust23THRUST_200600_302600_NS5tupleIblNS6_9null_typeES8_S8_S8_S8_S8_S8_S8_EEEEZNS1_11reduce_implILb1ES3_NS6_12zip_iteratorINS7_INS6_11hip_rocprim26transform_input_iterator_tIbNSD_35transform_pair_of_input_iterators_tIbNS6_6detail15normal_iteratorINS6_10device_ptrIKdEEEESL_NS6_8equal_toIdEEEENSG_9not_fun_tINSD_8identityEEEEENSD_19counting_iterator_tIlEES8_S8_S8_S8_S8_S8_S8_S8_EEEEPS9_S9_NSD_9__find_if7functorIS9_EEEE10hipError_tPvRmT1_T2_T3_mT4_P12ihipStream_tbEUlT_E0_NS1_11comp_targetILNS1_3genE10ELNS1_11target_archE1201ELNS1_3gpuE5ELNS1_3repE0EEENS1_30default_config_static_selectorELNS0_4arch9wavefront6targetE0EEEvS14_.num_agpr, 0
	.set _ZN7rocprim17ROCPRIM_400000_NS6detail17trampoline_kernelINS0_14default_configENS1_22reduce_config_selectorIN6thrust23THRUST_200600_302600_NS5tupleIblNS6_9null_typeES8_S8_S8_S8_S8_S8_S8_EEEEZNS1_11reduce_implILb1ES3_NS6_12zip_iteratorINS7_INS6_11hip_rocprim26transform_input_iterator_tIbNSD_35transform_pair_of_input_iterators_tIbNS6_6detail15normal_iteratorINS6_10device_ptrIKdEEEESL_NS6_8equal_toIdEEEENSG_9not_fun_tINSD_8identityEEEEENSD_19counting_iterator_tIlEES8_S8_S8_S8_S8_S8_S8_S8_EEEEPS9_S9_NSD_9__find_if7functorIS9_EEEE10hipError_tPvRmT1_T2_T3_mT4_P12ihipStream_tbEUlT_E0_NS1_11comp_targetILNS1_3genE10ELNS1_11target_archE1201ELNS1_3gpuE5ELNS1_3repE0EEENS1_30default_config_static_selectorELNS0_4arch9wavefront6targetE0EEEvS14_.numbered_sgpr, 0
	.set _ZN7rocprim17ROCPRIM_400000_NS6detail17trampoline_kernelINS0_14default_configENS1_22reduce_config_selectorIN6thrust23THRUST_200600_302600_NS5tupleIblNS6_9null_typeES8_S8_S8_S8_S8_S8_S8_EEEEZNS1_11reduce_implILb1ES3_NS6_12zip_iteratorINS7_INS6_11hip_rocprim26transform_input_iterator_tIbNSD_35transform_pair_of_input_iterators_tIbNS6_6detail15normal_iteratorINS6_10device_ptrIKdEEEESL_NS6_8equal_toIdEEEENSG_9not_fun_tINSD_8identityEEEEENSD_19counting_iterator_tIlEES8_S8_S8_S8_S8_S8_S8_S8_EEEEPS9_S9_NSD_9__find_if7functorIS9_EEEE10hipError_tPvRmT1_T2_T3_mT4_P12ihipStream_tbEUlT_E0_NS1_11comp_targetILNS1_3genE10ELNS1_11target_archE1201ELNS1_3gpuE5ELNS1_3repE0EEENS1_30default_config_static_selectorELNS0_4arch9wavefront6targetE0EEEvS14_.num_named_barrier, 0
	.set _ZN7rocprim17ROCPRIM_400000_NS6detail17trampoline_kernelINS0_14default_configENS1_22reduce_config_selectorIN6thrust23THRUST_200600_302600_NS5tupleIblNS6_9null_typeES8_S8_S8_S8_S8_S8_S8_EEEEZNS1_11reduce_implILb1ES3_NS6_12zip_iteratorINS7_INS6_11hip_rocprim26transform_input_iterator_tIbNSD_35transform_pair_of_input_iterators_tIbNS6_6detail15normal_iteratorINS6_10device_ptrIKdEEEESL_NS6_8equal_toIdEEEENSG_9not_fun_tINSD_8identityEEEEENSD_19counting_iterator_tIlEES8_S8_S8_S8_S8_S8_S8_S8_EEEEPS9_S9_NSD_9__find_if7functorIS9_EEEE10hipError_tPvRmT1_T2_T3_mT4_P12ihipStream_tbEUlT_E0_NS1_11comp_targetILNS1_3genE10ELNS1_11target_archE1201ELNS1_3gpuE5ELNS1_3repE0EEENS1_30default_config_static_selectorELNS0_4arch9wavefront6targetE0EEEvS14_.private_seg_size, 0
	.set _ZN7rocprim17ROCPRIM_400000_NS6detail17trampoline_kernelINS0_14default_configENS1_22reduce_config_selectorIN6thrust23THRUST_200600_302600_NS5tupleIblNS6_9null_typeES8_S8_S8_S8_S8_S8_S8_EEEEZNS1_11reduce_implILb1ES3_NS6_12zip_iteratorINS7_INS6_11hip_rocprim26transform_input_iterator_tIbNSD_35transform_pair_of_input_iterators_tIbNS6_6detail15normal_iteratorINS6_10device_ptrIKdEEEESL_NS6_8equal_toIdEEEENSG_9not_fun_tINSD_8identityEEEEENSD_19counting_iterator_tIlEES8_S8_S8_S8_S8_S8_S8_S8_EEEEPS9_S9_NSD_9__find_if7functorIS9_EEEE10hipError_tPvRmT1_T2_T3_mT4_P12ihipStream_tbEUlT_E0_NS1_11comp_targetILNS1_3genE10ELNS1_11target_archE1201ELNS1_3gpuE5ELNS1_3repE0EEENS1_30default_config_static_selectorELNS0_4arch9wavefront6targetE0EEEvS14_.uses_vcc, 0
	.set _ZN7rocprim17ROCPRIM_400000_NS6detail17trampoline_kernelINS0_14default_configENS1_22reduce_config_selectorIN6thrust23THRUST_200600_302600_NS5tupleIblNS6_9null_typeES8_S8_S8_S8_S8_S8_S8_EEEEZNS1_11reduce_implILb1ES3_NS6_12zip_iteratorINS7_INS6_11hip_rocprim26transform_input_iterator_tIbNSD_35transform_pair_of_input_iterators_tIbNS6_6detail15normal_iteratorINS6_10device_ptrIKdEEEESL_NS6_8equal_toIdEEEENSG_9not_fun_tINSD_8identityEEEEENSD_19counting_iterator_tIlEES8_S8_S8_S8_S8_S8_S8_S8_EEEEPS9_S9_NSD_9__find_if7functorIS9_EEEE10hipError_tPvRmT1_T2_T3_mT4_P12ihipStream_tbEUlT_E0_NS1_11comp_targetILNS1_3genE10ELNS1_11target_archE1201ELNS1_3gpuE5ELNS1_3repE0EEENS1_30default_config_static_selectorELNS0_4arch9wavefront6targetE0EEEvS14_.uses_flat_scratch, 0
	.set _ZN7rocprim17ROCPRIM_400000_NS6detail17trampoline_kernelINS0_14default_configENS1_22reduce_config_selectorIN6thrust23THRUST_200600_302600_NS5tupleIblNS6_9null_typeES8_S8_S8_S8_S8_S8_S8_EEEEZNS1_11reduce_implILb1ES3_NS6_12zip_iteratorINS7_INS6_11hip_rocprim26transform_input_iterator_tIbNSD_35transform_pair_of_input_iterators_tIbNS6_6detail15normal_iteratorINS6_10device_ptrIKdEEEESL_NS6_8equal_toIdEEEENSG_9not_fun_tINSD_8identityEEEEENSD_19counting_iterator_tIlEES8_S8_S8_S8_S8_S8_S8_S8_EEEEPS9_S9_NSD_9__find_if7functorIS9_EEEE10hipError_tPvRmT1_T2_T3_mT4_P12ihipStream_tbEUlT_E0_NS1_11comp_targetILNS1_3genE10ELNS1_11target_archE1201ELNS1_3gpuE5ELNS1_3repE0EEENS1_30default_config_static_selectorELNS0_4arch9wavefront6targetE0EEEvS14_.has_dyn_sized_stack, 0
	.set _ZN7rocprim17ROCPRIM_400000_NS6detail17trampoline_kernelINS0_14default_configENS1_22reduce_config_selectorIN6thrust23THRUST_200600_302600_NS5tupleIblNS6_9null_typeES8_S8_S8_S8_S8_S8_S8_EEEEZNS1_11reduce_implILb1ES3_NS6_12zip_iteratorINS7_INS6_11hip_rocprim26transform_input_iterator_tIbNSD_35transform_pair_of_input_iterators_tIbNS6_6detail15normal_iteratorINS6_10device_ptrIKdEEEESL_NS6_8equal_toIdEEEENSG_9not_fun_tINSD_8identityEEEEENSD_19counting_iterator_tIlEES8_S8_S8_S8_S8_S8_S8_S8_EEEEPS9_S9_NSD_9__find_if7functorIS9_EEEE10hipError_tPvRmT1_T2_T3_mT4_P12ihipStream_tbEUlT_E0_NS1_11comp_targetILNS1_3genE10ELNS1_11target_archE1201ELNS1_3gpuE5ELNS1_3repE0EEENS1_30default_config_static_selectorELNS0_4arch9wavefront6targetE0EEEvS14_.has_recursion, 0
	.set _ZN7rocprim17ROCPRIM_400000_NS6detail17trampoline_kernelINS0_14default_configENS1_22reduce_config_selectorIN6thrust23THRUST_200600_302600_NS5tupleIblNS6_9null_typeES8_S8_S8_S8_S8_S8_S8_EEEEZNS1_11reduce_implILb1ES3_NS6_12zip_iteratorINS7_INS6_11hip_rocprim26transform_input_iterator_tIbNSD_35transform_pair_of_input_iterators_tIbNS6_6detail15normal_iteratorINS6_10device_ptrIKdEEEESL_NS6_8equal_toIdEEEENSG_9not_fun_tINSD_8identityEEEEENSD_19counting_iterator_tIlEES8_S8_S8_S8_S8_S8_S8_S8_EEEEPS9_S9_NSD_9__find_if7functorIS9_EEEE10hipError_tPvRmT1_T2_T3_mT4_P12ihipStream_tbEUlT_E0_NS1_11comp_targetILNS1_3genE10ELNS1_11target_archE1201ELNS1_3gpuE5ELNS1_3repE0EEENS1_30default_config_static_selectorELNS0_4arch9wavefront6targetE0EEEvS14_.has_indirect_call, 0
	.section	.AMDGPU.csdata,"",@progbits
; Kernel info:
; codeLenInByte = 0
; TotalNumSgprs: 0
; NumVgprs: 0
; ScratchSize: 0
; MemoryBound: 0
; FloatMode: 240
; IeeeMode: 1
; LDSByteSize: 0 bytes/workgroup (compile time only)
; SGPRBlocks: 0
; VGPRBlocks: 0
; NumSGPRsForWavesPerEU: 1
; NumVGPRsForWavesPerEU: 1
; NamedBarCnt: 0
; Occupancy: 16
; WaveLimiterHint : 0
; COMPUTE_PGM_RSRC2:SCRATCH_EN: 0
; COMPUTE_PGM_RSRC2:USER_SGPR: 2
; COMPUTE_PGM_RSRC2:TRAP_HANDLER: 0
; COMPUTE_PGM_RSRC2:TGID_X_EN: 1
; COMPUTE_PGM_RSRC2:TGID_Y_EN: 0
; COMPUTE_PGM_RSRC2:TGID_Z_EN: 0
; COMPUTE_PGM_RSRC2:TIDIG_COMP_CNT: 0
	.section	.text._ZN7rocprim17ROCPRIM_400000_NS6detail17trampoline_kernelINS0_14default_configENS1_22reduce_config_selectorIN6thrust23THRUST_200600_302600_NS5tupleIblNS6_9null_typeES8_S8_S8_S8_S8_S8_S8_EEEEZNS1_11reduce_implILb1ES3_NS6_12zip_iteratorINS7_INS6_11hip_rocprim26transform_input_iterator_tIbNSD_35transform_pair_of_input_iterators_tIbNS6_6detail15normal_iteratorINS6_10device_ptrIKdEEEESL_NS6_8equal_toIdEEEENSG_9not_fun_tINSD_8identityEEEEENSD_19counting_iterator_tIlEES8_S8_S8_S8_S8_S8_S8_S8_EEEEPS9_S9_NSD_9__find_if7functorIS9_EEEE10hipError_tPvRmT1_T2_T3_mT4_P12ihipStream_tbEUlT_E0_NS1_11comp_targetILNS1_3genE10ELNS1_11target_archE1200ELNS1_3gpuE4ELNS1_3repE0EEENS1_30default_config_static_selectorELNS0_4arch9wavefront6targetE0EEEvS14_,"axG",@progbits,_ZN7rocprim17ROCPRIM_400000_NS6detail17trampoline_kernelINS0_14default_configENS1_22reduce_config_selectorIN6thrust23THRUST_200600_302600_NS5tupleIblNS6_9null_typeES8_S8_S8_S8_S8_S8_S8_EEEEZNS1_11reduce_implILb1ES3_NS6_12zip_iteratorINS7_INS6_11hip_rocprim26transform_input_iterator_tIbNSD_35transform_pair_of_input_iterators_tIbNS6_6detail15normal_iteratorINS6_10device_ptrIKdEEEESL_NS6_8equal_toIdEEEENSG_9not_fun_tINSD_8identityEEEEENSD_19counting_iterator_tIlEES8_S8_S8_S8_S8_S8_S8_S8_EEEEPS9_S9_NSD_9__find_if7functorIS9_EEEE10hipError_tPvRmT1_T2_T3_mT4_P12ihipStream_tbEUlT_E0_NS1_11comp_targetILNS1_3genE10ELNS1_11target_archE1200ELNS1_3gpuE4ELNS1_3repE0EEENS1_30default_config_static_selectorELNS0_4arch9wavefront6targetE0EEEvS14_,comdat
	.protected	_ZN7rocprim17ROCPRIM_400000_NS6detail17trampoline_kernelINS0_14default_configENS1_22reduce_config_selectorIN6thrust23THRUST_200600_302600_NS5tupleIblNS6_9null_typeES8_S8_S8_S8_S8_S8_S8_EEEEZNS1_11reduce_implILb1ES3_NS6_12zip_iteratorINS7_INS6_11hip_rocprim26transform_input_iterator_tIbNSD_35transform_pair_of_input_iterators_tIbNS6_6detail15normal_iteratorINS6_10device_ptrIKdEEEESL_NS6_8equal_toIdEEEENSG_9not_fun_tINSD_8identityEEEEENSD_19counting_iterator_tIlEES8_S8_S8_S8_S8_S8_S8_S8_EEEEPS9_S9_NSD_9__find_if7functorIS9_EEEE10hipError_tPvRmT1_T2_T3_mT4_P12ihipStream_tbEUlT_E0_NS1_11comp_targetILNS1_3genE10ELNS1_11target_archE1200ELNS1_3gpuE4ELNS1_3repE0EEENS1_30default_config_static_selectorELNS0_4arch9wavefront6targetE0EEEvS14_ ; -- Begin function _ZN7rocprim17ROCPRIM_400000_NS6detail17trampoline_kernelINS0_14default_configENS1_22reduce_config_selectorIN6thrust23THRUST_200600_302600_NS5tupleIblNS6_9null_typeES8_S8_S8_S8_S8_S8_S8_EEEEZNS1_11reduce_implILb1ES3_NS6_12zip_iteratorINS7_INS6_11hip_rocprim26transform_input_iterator_tIbNSD_35transform_pair_of_input_iterators_tIbNS6_6detail15normal_iteratorINS6_10device_ptrIKdEEEESL_NS6_8equal_toIdEEEENSG_9not_fun_tINSD_8identityEEEEENSD_19counting_iterator_tIlEES8_S8_S8_S8_S8_S8_S8_S8_EEEEPS9_S9_NSD_9__find_if7functorIS9_EEEE10hipError_tPvRmT1_T2_T3_mT4_P12ihipStream_tbEUlT_E0_NS1_11comp_targetILNS1_3genE10ELNS1_11target_archE1200ELNS1_3gpuE4ELNS1_3repE0EEENS1_30default_config_static_selectorELNS0_4arch9wavefront6targetE0EEEvS14_
	.globl	_ZN7rocprim17ROCPRIM_400000_NS6detail17trampoline_kernelINS0_14default_configENS1_22reduce_config_selectorIN6thrust23THRUST_200600_302600_NS5tupleIblNS6_9null_typeES8_S8_S8_S8_S8_S8_S8_EEEEZNS1_11reduce_implILb1ES3_NS6_12zip_iteratorINS7_INS6_11hip_rocprim26transform_input_iterator_tIbNSD_35transform_pair_of_input_iterators_tIbNS6_6detail15normal_iteratorINS6_10device_ptrIKdEEEESL_NS6_8equal_toIdEEEENSG_9not_fun_tINSD_8identityEEEEENSD_19counting_iterator_tIlEES8_S8_S8_S8_S8_S8_S8_S8_EEEEPS9_S9_NSD_9__find_if7functorIS9_EEEE10hipError_tPvRmT1_T2_T3_mT4_P12ihipStream_tbEUlT_E0_NS1_11comp_targetILNS1_3genE10ELNS1_11target_archE1200ELNS1_3gpuE4ELNS1_3repE0EEENS1_30default_config_static_selectorELNS0_4arch9wavefront6targetE0EEEvS14_
	.p2align	8
	.type	_ZN7rocprim17ROCPRIM_400000_NS6detail17trampoline_kernelINS0_14default_configENS1_22reduce_config_selectorIN6thrust23THRUST_200600_302600_NS5tupleIblNS6_9null_typeES8_S8_S8_S8_S8_S8_S8_EEEEZNS1_11reduce_implILb1ES3_NS6_12zip_iteratorINS7_INS6_11hip_rocprim26transform_input_iterator_tIbNSD_35transform_pair_of_input_iterators_tIbNS6_6detail15normal_iteratorINS6_10device_ptrIKdEEEESL_NS6_8equal_toIdEEEENSG_9not_fun_tINSD_8identityEEEEENSD_19counting_iterator_tIlEES8_S8_S8_S8_S8_S8_S8_S8_EEEEPS9_S9_NSD_9__find_if7functorIS9_EEEE10hipError_tPvRmT1_T2_T3_mT4_P12ihipStream_tbEUlT_E0_NS1_11comp_targetILNS1_3genE10ELNS1_11target_archE1200ELNS1_3gpuE4ELNS1_3repE0EEENS1_30default_config_static_selectorELNS0_4arch9wavefront6targetE0EEEvS14_,@function
_ZN7rocprim17ROCPRIM_400000_NS6detail17trampoline_kernelINS0_14default_configENS1_22reduce_config_selectorIN6thrust23THRUST_200600_302600_NS5tupleIblNS6_9null_typeES8_S8_S8_S8_S8_S8_S8_EEEEZNS1_11reduce_implILb1ES3_NS6_12zip_iteratorINS7_INS6_11hip_rocprim26transform_input_iterator_tIbNSD_35transform_pair_of_input_iterators_tIbNS6_6detail15normal_iteratorINS6_10device_ptrIKdEEEESL_NS6_8equal_toIdEEEENSG_9not_fun_tINSD_8identityEEEEENSD_19counting_iterator_tIlEES8_S8_S8_S8_S8_S8_S8_S8_EEEEPS9_S9_NSD_9__find_if7functorIS9_EEEE10hipError_tPvRmT1_T2_T3_mT4_P12ihipStream_tbEUlT_E0_NS1_11comp_targetILNS1_3genE10ELNS1_11target_archE1200ELNS1_3gpuE4ELNS1_3repE0EEENS1_30default_config_static_selectorELNS0_4arch9wavefront6targetE0EEEvS14_: ; @_ZN7rocprim17ROCPRIM_400000_NS6detail17trampoline_kernelINS0_14default_configENS1_22reduce_config_selectorIN6thrust23THRUST_200600_302600_NS5tupleIblNS6_9null_typeES8_S8_S8_S8_S8_S8_S8_EEEEZNS1_11reduce_implILb1ES3_NS6_12zip_iteratorINS7_INS6_11hip_rocprim26transform_input_iterator_tIbNSD_35transform_pair_of_input_iterators_tIbNS6_6detail15normal_iteratorINS6_10device_ptrIKdEEEESL_NS6_8equal_toIdEEEENSG_9not_fun_tINSD_8identityEEEEENSD_19counting_iterator_tIlEES8_S8_S8_S8_S8_S8_S8_S8_EEEEPS9_S9_NSD_9__find_if7functorIS9_EEEE10hipError_tPvRmT1_T2_T3_mT4_P12ihipStream_tbEUlT_E0_NS1_11comp_targetILNS1_3genE10ELNS1_11target_archE1200ELNS1_3gpuE4ELNS1_3repE0EEENS1_30default_config_static_selectorELNS0_4arch9wavefront6targetE0EEEvS14_
; %bb.0:
	.section	.rodata,"a",@progbits
	.p2align	6, 0x0
	.amdhsa_kernel _ZN7rocprim17ROCPRIM_400000_NS6detail17trampoline_kernelINS0_14default_configENS1_22reduce_config_selectorIN6thrust23THRUST_200600_302600_NS5tupleIblNS6_9null_typeES8_S8_S8_S8_S8_S8_S8_EEEEZNS1_11reduce_implILb1ES3_NS6_12zip_iteratorINS7_INS6_11hip_rocprim26transform_input_iterator_tIbNSD_35transform_pair_of_input_iterators_tIbNS6_6detail15normal_iteratorINS6_10device_ptrIKdEEEESL_NS6_8equal_toIdEEEENSG_9not_fun_tINSD_8identityEEEEENSD_19counting_iterator_tIlEES8_S8_S8_S8_S8_S8_S8_S8_EEEEPS9_S9_NSD_9__find_if7functorIS9_EEEE10hipError_tPvRmT1_T2_T3_mT4_P12ihipStream_tbEUlT_E0_NS1_11comp_targetILNS1_3genE10ELNS1_11target_archE1200ELNS1_3gpuE4ELNS1_3repE0EEENS1_30default_config_static_selectorELNS0_4arch9wavefront6targetE0EEEvS14_
		.amdhsa_group_segment_fixed_size 0
		.amdhsa_private_segment_fixed_size 0
		.amdhsa_kernarg_size 104
		.amdhsa_user_sgpr_count 2
		.amdhsa_user_sgpr_dispatch_ptr 0
		.amdhsa_user_sgpr_queue_ptr 0
		.amdhsa_user_sgpr_kernarg_segment_ptr 1
		.amdhsa_user_sgpr_dispatch_id 0
		.amdhsa_user_sgpr_kernarg_preload_length 0
		.amdhsa_user_sgpr_kernarg_preload_offset 0
		.amdhsa_user_sgpr_private_segment_size 0
		.amdhsa_wavefront_size32 1
		.amdhsa_uses_dynamic_stack 0
		.amdhsa_enable_private_segment 0
		.amdhsa_system_sgpr_workgroup_id_x 1
		.amdhsa_system_sgpr_workgroup_id_y 0
		.amdhsa_system_sgpr_workgroup_id_z 0
		.amdhsa_system_sgpr_workgroup_info 0
		.amdhsa_system_vgpr_workitem_id 0
		.amdhsa_next_free_vgpr 1
		.amdhsa_next_free_sgpr 1
		.amdhsa_named_barrier_count 0
		.amdhsa_reserve_vcc 0
		.amdhsa_float_round_mode_32 0
		.amdhsa_float_round_mode_16_64 0
		.amdhsa_float_denorm_mode_32 3
		.amdhsa_float_denorm_mode_16_64 3
		.amdhsa_fp16_overflow 0
		.amdhsa_memory_ordered 1
		.amdhsa_forward_progress 1
		.amdhsa_inst_pref_size 0
		.amdhsa_round_robin_scheduling 0
		.amdhsa_exception_fp_ieee_invalid_op 0
		.amdhsa_exception_fp_denorm_src 0
		.amdhsa_exception_fp_ieee_div_zero 0
		.amdhsa_exception_fp_ieee_overflow 0
		.amdhsa_exception_fp_ieee_underflow 0
		.amdhsa_exception_fp_ieee_inexact 0
		.amdhsa_exception_int_div_zero 0
	.end_amdhsa_kernel
	.section	.text._ZN7rocprim17ROCPRIM_400000_NS6detail17trampoline_kernelINS0_14default_configENS1_22reduce_config_selectorIN6thrust23THRUST_200600_302600_NS5tupleIblNS6_9null_typeES8_S8_S8_S8_S8_S8_S8_EEEEZNS1_11reduce_implILb1ES3_NS6_12zip_iteratorINS7_INS6_11hip_rocprim26transform_input_iterator_tIbNSD_35transform_pair_of_input_iterators_tIbNS6_6detail15normal_iteratorINS6_10device_ptrIKdEEEESL_NS6_8equal_toIdEEEENSG_9not_fun_tINSD_8identityEEEEENSD_19counting_iterator_tIlEES8_S8_S8_S8_S8_S8_S8_S8_EEEEPS9_S9_NSD_9__find_if7functorIS9_EEEE10hipError_tPvRmT1_T2_T3_mT4_P12ihipStream_tbEUlT_E0_NS1_11comp_targetILNS1_3genE10ELNS1_11target_archE1200ELNS1_3gpuE4ELNS1_3repE0EEENS1_30default_config_static_selectorELNS0_4arch9wavefront6targetE0EEEvS14_,"axG",@progbits,_ZN7rocprim17ROCPRIM_400000_NS6detail17trampoline_kernelINS0_14default_configENS1_22reduce_config_selectorIN6thrust23THRUST_200600_302600_NS5tupleIblNS6_9null_typeES8_S8_S8_S8_S8_S8_S8_EEEEZNS1_11reduce_implILb1ES3_NS6_12zip_iteratorINS7_INS6_11hip_rocprim26transform_input_iterator_tIbNSD_35transform_pair_of_input_iterators_tIbNS6_6detail15normal_iteratorINS6_10device_ptrIKdEEEESL_NS6_8equal_toIdEEEENSG_9not_fun_tINSD_8identityEEEEENSD_19counting_iterator_tIlEES8_S8_S8_S8_S8_S8_S8_S8_EEEEPS9_S9_NSD_9__find_if7functorIS9_EEEE10hipError_tPvRmT1_T2_T3_mT4_P12ihipStream_tbEUlT_E0_NS1_11comp_targetILNS1_3genE10ELNS1_11target_archE1200ELNS1_3gpuE4ELNS1_3repE0EEENS1_30default_config_static_selectorELNS0_4arch9wavefront6targetE0EEEvS14_,comdat
.Lfunc_end43:
	.size	_ZN7rocprim17ROCPRIM_400000_NS6detail17trampoline_kernelINS0_14default_configENS1_22reduce_config_selectorIN6thrust23THRUST_200600_302600_NS5tupleIblNS6_9null_typeES8_S8_S8_S8_S8_S8_S8_EEEEZNS1_11reduce_implILb1ES3_NS6_12zip_iteratorINS7_INS6_11hip_rocprim26transform_input_iterator_tIbNSD_35transform_pair_of_input_iterators_tIbNS6_6detail15normal_iteratorINS6_10device_ptrIKdEEEESL_NS6_8equal_toIdEEEENSG_9not_fun_tINSD_8identityEEEEENSD_19counting_iterator_tIlEES8_S8_S8_S8_S8_S8_S8_S8_EEEEPS9_S9_NSD_9__find_if7functorIS9_EEEE10hipError_tPvRmT1_T2_T3_mT4_P12ihipStream_tbEUlT_E0_NS1_11comp_targetILNS1_3genE10ELNS1_11target_archE1200ELNS1_3gpuE4ELNS1_3repE0EEENS1_30default_config_static_selectorELNS0_4arch9wavefront6targetE0EEEvS14_, .Lfunc_end43-_ZN7rocprim17ROCPRIM_400000_NS6detail17trampoline_kernelINS0_14default_configENS1_22reduce_config_selectorIN6thrust23THRUST_200600_302600_NS5tupleIblNS6_9null_typeES8_S8_S8_S8_S8_S8_S8_EEEEZNS1_11reduce_implILb1ES3_NS6_12zip_iteratorINS7_INS6_11hip_rocprim26transform_input_iterator_tIbNSD_35transform_pair_of_input_iterators_tIbNS6_6detail15normal_iteratorINS6_10device_ptrIKdEEEESL_NS6_8equal_toIdEEEENSG_9not_fun_tINSD_8identityEEEEENSD_19counting_iterator_tIlEES8_S8_S8_S8_S8_S8_S8_S8_EEEEPS9_S9_NSD_9__find_if7functorIS9_EEEE10hipError_tPvRmT1_T2_T3_mT4_P12ihipStream_tbEUlT_E0_NS1_11comp_targetILNS1_3genE10ELNS1_11target_archE1200ELNS1_3gpuE4ELNS1_3repE0EEENS1_30default_config_static_selectorELNS0_4arch9wavefront6targetE0EEEvS14_
                                        ; -- End function
	.set _ZN7rocprim17ROCPRIM_400000_NS6detail17trampoline_kernelINS0_14default_configENS1_22reduce_config_selectorIN6thrust23THRUST_200600_302600_NS5tupleIblNS6_9null_typeES8_S8_S8_S8_S8_S8_S8_EEEEZNS1_11reduce_implILb1ES3_NS6_12zip_iteratorINS7_INS6_11hip_rocprim26transform_input_iterator_tIbNSD_35transform_pair_of_input_iterators_tIbNS6_6detail15normal_iteratorINS6_10device_ptrIKdEEEESL_NS6_8equal_toIdEEEENSG_9not_fun_tINSD_8identityEEEEENSD_19counting_iterator_tIlEES8_S8_S8_S8_S8_S8_S8_S8_EEEEPS9_S9_NSD_9__find_if7functorIS9_EEEE10hipError_tPvRmT1_T2_T3_mT4_P12ihipStream_tbEUlT_E0_NS1_11comp_targetILNS1_3genE10ELNS1_11target_archE1200ELNS1_3gpuE4ELNS1_3repE0EEENS1_30default_config_static_selectorELNS0_4arch9wavefront6targetE0EEEvS14_.num_vgpr, 0
	.set _ZN7rocprim17ROCPRIM_400000_NS6detail17trampoline_kernelINS0_14default_configENS1_22reduce_config_selectorIN6thrust23THRUST_200600_302600_NS5tupleIblNS6_9null_typeES8_S8_S8_S8_S8_S8_S8_EEEEZNS1_11reduce_implILb1ES3_NS6_12zip_iteratorINS7_INS6_11hip_rocprim26transform_input_iterator_tIbNSD_35transform_pair_of_input_iterators_tIbNS6_6detail15normal_iteratorINS6_10device_ptrIKdEEEESL_NS6_8equal_toIdEEEENSG_9not_fun_tINSD_8identityEEEEENSD_19counting_iterator_tIlEES8_S8_S8_S8_S8_S8_S8_S8_EEEEPS9_S9_NSD_9__find_if7functorIS9_EEEE10hipError_tPvRmT1_T2_T3_mT4_P12ihipStream_tbEUlT_E0_NS1_11comp_targetILNS1_3genE10ELNS1_11target_archE1200ELNS1_3gpuE4ELNS1_3repE0EEENS1_30default_config_static_selectorELNS0_4arch9wavefront6targetE0EEEvS14_.num_agpr, 0
	.set _ZN7rocprim17ROCPRIM_400000_NS6detail17trampoline_kernelINS0_14default_configENS1_22reduce_config_selectorIN6thrust23THRUST_200600_302600_NS5tupleIblNS6_9null_typeES8_S8_S8_S8_S8_S8_S8_EEEEZNS1_11reduce_implILb1ES3_NS6_12zip_iteratorINS7_INS6_11hip_rocprim26transform_input_iterator_tIbNSD_35transform_pair_of_input_iterators_tIbNS6_6detail15normal_iteratorINS6_10device_ptrIKdEEEESL_NS6_8equal_toIdEEEENSG_9not_fun_tINSD_8identityEEEEENSD_19counting_iterator_tIlEES8_S8_S8_S8_S8_S8_S8_S8_EEEEPS9_S9_NSD_9__find_if7functorIS9_EEEE10hipError_tPvRmT1_T2_T3_mT4_P12ihipStream_tbEUlT_E0_NS1_11comp_targetILNS1_3genE10ELNS1_11target_archE1200ELNS1_3gpuE4ELNS1_3repE0EEENS1_30default_config_static_selectorELNS0_4arch9wavefront6targetE0EEEvS14_.numbered_sgpr, 0
	.set _ZN7rocprim17ROCPRIM_400000_NS6detail17trampoline_kernelINS0_14default_configENS1_22reduce_config_selectorIN6thrust23THRUST_200600_302600_NS5tupleIblNS6_9null_typeES8_S8_S8_S8_S8_S8_S8_EEEEZNS1_11reduce_implILb1ES3_NS6_12zip_iteratorINS7_INS6_11hip_rocprim26transform_input_iterator_tIbNSD_35transform_pair_of_input_iterators_tIbNS6_6detail15normal_iteratorINS6_10device_ptrIKdEEEESL_NS6_8equal_toIdEEEENSG_9not_fun_tINSD_8identityEEEEENSD_19counting_iterator_tIlEES8_S8_S8_S8_S8_S8_S8_S8_EEEEPS9_S9_NSD_9__find_if7functorIS9_EEEE10hipError_tPvRmT1_T2_T3_mT4_P12ihipStream_tbEUlT_E0_NS1_11comp_targetILNS1_3genE10ELNS1_11target_archE1200ELNS1_3gpuE4ELNS1_3repE0EEENS1_30default_config_static_selectorELNS0_4arch9wavefront6targetE0EEEvS14_.num_named_barrier, 0
	.set _ZN7rocprim17ROCPRIM_400000_NS6detail17trampoline_kernelINS0_14default_configENS1_22reduce_config_selectorIN6thrust23THRUST_200600_302600_NS5tupleIblNS6_9null_typeES8_S8_S8_S8_S8_S8_S8_EEEEZNS1_11reduce_implILb1ES3_NS6_12zip_iteratorINS7_INS6_11hip_rocprim26transform_input_iterator_tIbNSD_35transform_pair_of_input_iterators_tIbNS6_6detail15normal_iteratorINS6_10device_ptrIKdEEEESL_NS6_8equal_toIdEEEENSG_9not_fun_tINSD_8identityEEEEENSD_19counting_iterator_tIlEES8_S8_S8_S8_S8_S8_S8_S8_EEEEPS9_S9_NSD_9__find_if7functorIS9_EEEE10hipError_tPvRmT1_T2_T3_mT4_P12ihipStream_tbEUlT_E0_NS1_11comp_targetILNS1_3genE10ELNS1_11target_archE1200ELNS1_3gpuE4ELNS1_3repE0EEENS1_30default_config_static_selectorELNS0_4arch9wavefront6targetE0EEEvS14_.private_seg_size, 0
	.set _ZN7rocprim17ROCPRIM_400000_NS6detail17trampoline_kernelINS0_14default_configENS1_22reduce_config_selectorIN6thrust23THRUST_200600_302600_NS5tupleIblNS6_9null_typeES8_S8_S8_S8_S8_S8_S8_EEEEZNS1_11reduce_implILb1ES3_NS6_12zip_iteratorINS7_INS6_11hip_rocprim26transform_input_iterator_tIbNSD_35transform_pair_of_input_iterators_tIbNS6_6detail15normal_iteratorINS6_10device_ptrIKdEEEESL_NS6_8equal_toIdEEEENSG_9not_fun_tINSD_8identityEEEEENSD_19counting_iterator_tIlEES8_S8_S8_S8_S8_S8_S8_S8_EEEEPS9_S9_NSD_9__find_if7functorIS9_EEEE10hipError_tPvRmT1_T2_T3_mT4_P12ihipStream_tbEUlT_E0_NS1_11comp_targetILNS1_3genE10ELNS1_11target_archE1200ELNS1_3gpuE4ELNS1_3repE0EEENS1_30default_config_static_selectorELNS0_4arch9wavefront6targetE0EEEvS14_.uses_vcc, 0
	.set _ZN7rocprim17ROCPRIM_400000_NS6detail17trampoline_kernelINS0_14default_configENS1_22reduce_config_selectorIN6thrust23THRUST_200600_302600_NS5tupleIblNS6_9null_typeES8_S8_S8_S8_S8_S8_S8_EEEEZNS1_11reduce_implILb1ES3_NS6_12zip_iteratorINS7_INS6_11hip_rocprim26transform_input_iterator_tIbNSD_35transform_pair_of_input_iterators_tIbNS6_6detail15normal_iteratorINS6_10device_ptrIKdEEEESL_NS6_8equal_toIdEEEENSG_9not_fun_tINSD_8identityEEEEENSD_19counting_iterator_tIlEES8_S8_S8_S8_S8_S8_S8_S8_EEEEPS9_S9_NSD_9__find_if7functorIS9_EEEE10hipError_tPvRmT1_T2_T3_mT4_P12ihipStream_tbEUlT_E0_NS1_11comp_targetILNS1_3genE10ELNS1_11target_archE1200ELNS1_3gpuE4ELNS1_3repE0EEENS1_30default_config_static_selectorELNS0_4arch9wavefront6targetE0EEEvS14_.uses_flat_scratch, 0
	.set _ZN7rocprim17ROCPRIM_400000_NS6detail17trampoline_kernelINS0_14default_configENS1_22reduce_config_selectorIN6thrust23THRUST_200600_302600_NS5tupleIblNS6_9null_typeES8_S8_S8_S8_S8_S8_S8_EEEEZNS1_11reduce_implILb1ES3_NS6_12zip_iteratorINS7_INS6_11hip_rocprim26transform_input_iterator_tIbNSD_35transform_pair_of_input_iterators_tIbNS6_6detail15normal_iteratorINS6_10device_ptrIKdEEEESL_NS6_8equal_toIdEEEENSG_9not_fun_tINSD_8identityEEEEENSD_19counting_iterator_tIlEES8_S8_S8_S8_S8_S8_S8_S8_EEEEPS9_S9_NSD_9__find_if7functorIS9_EEEE10hipError_tPvRmT1_T2_T3_mT4_P12ihipStream_tbEUlT_E0_NS1_11comp_targetILNS1_3genE10ELNS1_11target_archE1200ELNS1_3gpuE4ELNS1_3repE0EEENS1_30default_config_static_selectorELNS0_4arch9wavefront6targetE0EEEvS14_.has_dyn_sized_stack, 0
	.set _ZN7rocprim17ROCPRIM_400000_NS6detail17trampoline_kernelINS0_14default_configENS1_22reduce_config_selectorIN6thrust23THRUST_200600_302600_NS5tupleIblNS6_9null_typeES8_S8_S8_S8_S8_S8_S8_EEEEZNS1_11reduce_implILb1ES3_NS6_12zip_iteratorINS7_INS6_11hip_rocprim26transform_input_iterator_tIbNSD_35transform_pair_of_input_iterators_tIbNS6_6detail15normal_iteratorINS6_10device_ptrIKdEEEESL_NS6_8equal_toIdEEEENSG_9not_fun_tINSD_8identityEEEEENSD_19counting_iterator_tIlEES8_S8_S8_S8_S8_S8_S8_S8_EEEEPS9_S9_NSD_9__find_if7functorIS9_EEEE10hipError_tPvRmT1_T2_T3_mT4_P12ihipStream_tbEUlT_E0_NS1_11comp_targetILNS1_3genE10ELNS1_11target_archE1200ELNS1_3gpuE4ELNS1_3repE0EEENS1_30default_config_static_selectorELNS0_4arch9wavefront6targetE0EEEvS14_.has_recursion, 0
	.set _ZN7rocprim17ROCPRIM_400000_NS6detail17trampoline_kernelINS0_14default_configENS1_22reduce_config_selectorIN6thrust23THRUST_200600_302600_NS5tupleIblNS6_9null_typeES8_S8_S8_S8_S8_S8_S8_EEEEZNS1_11reduce_implILb1ES3_NS6_12zip_iteratorINS7_INS6_11hip_rocprim26transform_input_iterator_tIbNSD_35transform_pair_of_input_iterators_tIbNS6_6detail15normal_iteratorINS6_10device_ptrIKdEEEESL_NS6_8equal_toIdEEEENSG_9not_fun_tINSD_8identityEEEEENSD_19counting_iterator_tIlEES8_S8_S8_S8_S8_S8_S8_S8_EEEEPS9_S9_NSD_9__find_if7functorIS9_EEEE10hipError_tPvRmT1_T2_T3_mT4_P12ihipStream_tbEUlT_E0_NS1_11comp_targetILNS1_3genE10ELNS1_11target_archE1200ELNS1_3gpuE4ELNS1_3repE0EEENS1_30default_config_static_selectorELNS0_4arch9wavefront6targetE0EEEvS14_.has_indirect_call, 0
	.section	.AMDGPU.csdata,"",@progbits
; Kernel info:
; codeLenInByte = 0
; TotalNumSgprs: 0
; NumVgprs: 0
; ScratchSize: 0
; MemoryBound: 0
; FloatMode: 240
; IeeeMode: 1
; LDSByteSize: 0 bytes/workgroup (compile time only)
; SGPRBlocks: 0
; VGPRBlocks: 0
; NumSGPRsForWavesPerEU: 1
; NumVGPRsForWavesPerEU: 1
; NamedBarCnt: 0
; Occupancy: 16
; WaveLimiterHint : 0
; COMPUTE_PGM_RSRC2:SCRATCH_EN: 0
; COMPUTE_PGM_RSRC2:USER_SGPR: 2
; COMPUTE_PGM_RSRC2:TRAP_HANDLER: 0
; COMPUTE_PGM_RSRC2:TGID_X_EN: 1
; COMPUTE_PGM_RSRC2:TGID_Y_EN: 0
; COMPUTE_PGM_RSRC2:TGID_Z_EN: 0
; COMPUTE_PGM_RSRC2:TIDIG_COMP_CNT: 0
	.section	.text._ZN7rocprim17ROCPRIM_400000_NS6detail17trampoline_kernelINS0_14default_configENS1_22reduce_config_selectorIN6thrust23THRUST_200600_302600_NS5tupleIblNS6_9null_typeES8_S8_S8_S8_S8_S8_S8_EEEEZNS1_11reduce_implILb1ES3_NS6_12zip_iteratorINS7_INS6_11hip_rocprim26transform_input_iterator_tIbNSD_35transform_pair_of_input_iterators_tIbNS6_6detail15normal_iteratorINS6_10device_ptrIKdEEEESL_NS6_8equal_toIdEEEENSG_9not_fun_tINSD_8identityEEEEENSD_19counting_iterator_tIlEES8_S8_S8_S8_S8_S8_S8_S8_EEEEPS9_S9_NSD_9__find_if7functorIS9_EEEE10hipError_tPvRmT1_T2_T3_mT4_P12ihipStream_tbEUlT_E0_NS1_11comp_targetILNS1_3genE9ELNS1_11target_archE1100ELNS1_3gpuE3ELNS1_3repE0EEENS1_30default_config_static_selectorELNS0_4arch9wavefront6targetE0EEEvS14_,"axG",@progbits,_ZN7rocprim17ROCPRIM_400000_NS6detail17trampoline_kernelINS0_14default_configENS1_22reduce_config_selectorIN6thrust23THRUST_200600_302600_NS5tupleIblNS6_9null_typeES8_S8_S8_S8_S8_S8_S8_EEEEZNS1_11reduce_implILb1ES3_NS6_12zip_iteratorINS7_INS6_11hip_rocprim26transform_input_iterator_tIbNSD_35transform_pair_of_input_iterators_tIbNS6_6detail15normal_iteratorINS6_10device_ptrIKdEEEESL_NS6_8equal_toIdEEEENSG_9not_fun_tINSD_8identityEEEEENSD_19counting_iterator_tIlEES8_S8_S8_S8_S8_S8_S8_S8_EEEEPS9_S9_NSD_9__find_if7functorIS9_EEEE10hipError_tPvRmT1_T2_T3_mT4_P12ihipStream_tbEUlT_E0_NS1_11comp_targetILNS1_3genE9ELNS1_11target_archE1100ELNS1_3gpuE3ELNS1_3repE0EEENS1_30default_config_static_selectorELNS0_4arch9wavefront6targetE0EEEvS14_,comdat
	.protected	_ZN7rocprim17ROCPRIM_400000_NS6detail17trampoline_kernelINS0_14default_configENS1_22reduce_config_selectorIN6thrust23THRUST_200600_302600_NS5tupleIblNS6_9null_typeES8_S8_S8_S8_S8_S8_S8_EEEEZNS1_11reduce_implILb1ES3_NS6_12zip_iteratorINS7_INS6_11hip_rocprim26transform_input_iterator_tIbNSD_35transform_pair_of_input_iterators_tIbNS6_6detail15normal_iteratorINS6_10device_ptrIKdEEEESL_NS6_8equal_toIdEEEENSG_9not_fun_tINSD_8identityEEEEENSD_19counting_iterator_tIlEES8_S8_S8_S8_S8_S8_S8_S8_EEEEPS9_S9_NSD_9__find_if7functorIS9_EEEE10hipError_tPvRmT1_T2_T3_mT4_P12ihipStream_tbEUlT_E0_NS1_11comp_targetILNS1_3genE9ELNS1_11target_archE1100ELNS1_3gpuE3ELNS1_3repE0EEENS1_30default_config_static_selectorELNS0_4arch9wavefront6targetE0EEEvS14_ ; -- Begin function _ZN7rocprim17ROCPRIM_400000_NS6detail17trampoline_kernelINS0_14default_configENS1_22reduce_config_selectorIN6thrust23THRUST_200600_302600_NS5tupleIblNS6_9null_typeES8_S8_S8_S8_S8_S8_S8_EEEEZNS1_11reduce_implILb1ES3_NS6_12zip_iteratorINS7_INS6_11hip_rocprim26transform_input_iterator_tIbNSD_35transform_pair_of_input_iterators_tIbNS6_6detail15normal_iteratorINS6_10device_ptrIKdEEEESL_NS6_8equal_toIdEEEENSG_9not_fun_tINSD_8identityEEEEENSD_19counting_iterator_tIlEES8_S8_S8_S8_S8_S8_S8_S8_EEEEPS9_S9_NSD_9__find_if7functorIS9_EEEE10hipError_tPvRmT1_T2_T3_mT4_P12ihipStream_tbEUlT_E0_NS1_11comp_targetILNS1_3genE9ELNS1_11target_archE1100ELNS1_3gpuE3ELNS1_3repE0EEENS1_30default_config_static_selectorELNS0_4arch9wavefront6targetE0EEEvS14_
	.globl	_ZN7rocprim17ROCPRIM_400000_NS6detail17trampoline_kernelINS0_14default_configENS1_22reduce_config_selectorIN6thrust23THRUST_200600_302600_NS5tupleIblNS6_9null_typeES8_S8_S8_S8_S8_S8_S8_EEEEZNS1_11reduce_implILb1ES3_NS6_12zip_iteratorINS7_INS6_11hip_rocprim26transform_input_iterator_tIbNSD_35transform_pair_of_input_iterators_tIbNS6_6detail15normal_iteratorINS6_10device_ptrIKdEEEESL_NS6_8equal_toIdEEEENSG_9not_fun_tINSD_8identityEEEEENSD_19counting_iterator_tIlEES8_S8_S8_S8_S8_S8_S8_S8_EEEEPS9_S9_NSD_9__find_if7functorIS9_EEEE10hipError_tPvRmT1_T2_T3_mT4_P12ihipStream_tbEUlT_E0_NS1_11comp_targetILNS1_3genE9ELNS1_11target_archE1100ELNS1_3gpuE3ELNS1_3repE0EEENS1_30default_config_static_selectorELNS0_4arch9wavefront6targetE0EEEvS14_
	.p2align	8
	.type	_ZN7rocprim17ROCPRIM_400000_NS6detail17trampoline_kernelINS0_14default_configENS1_22reduce_config_selectorIN6thrust23THRUST_200600_302600_NS5tupleIblNS6_9null_typeES8_S8_S8_S8_S8_S8_S8_EEEEZNS1_11reduce_implILb1ES3_NS6_12zip_iteratorINS7_INS6_11hip_rocprim26transform_input_iterator_tIbNSD_35transform_pair_of_input_iterators_tIbNS6_6detail15normal_iteratorINS6_10device_ptrIKdEEEESL_NS6_8equal_toIdEEEENSG_9not_fun_tINSD_8identityEEEEENSD_19counting_iterator_tIlEES8_S8_S8_S8_S8_S8_S8_S8_EEEEPS9_S9_NSD_9__find_if7functorIS9_EEEE10hipError_tPvRmT1_T2_T3_mT4_P12ihipStream_tbEUlT_E0_NS1_11comp_targetILNS1_3genE9ELNS1_11target_archE1100ELNS1_3gpuE3ELNS1_3repE0EEENS1_30default_config_static_selectorELNS0_4arch9wavefront6targetE0EEEvS14_,@function
_ZN7rocprim17ROCPRIM_400000_NS6detail17trampoline_kernelINS0_14default_configENS1_22reduce_config_selectorIN6thrust23THRUST_200600_302600_NS5tupleIblNS6_9null_typeES8_S8_S8_S8_S8_S8_S8_EEEEZNS1_11reduce_implILb1ES3_NS6_12zip_iteratorINS7_INS6_11hip_rocprim26transform_input_iterator_tIbNSD_35transform_pair_of_input_iterators_tIbNS6_6detail15normal_iteratorINS6_10device_ptrIKdEEEESL_NS6_8equal_toIdEEEENSG_9not_fun_tINSD_8identityEEEEENSD_19counting_iterator_tIlEES8_S8_S8_S8_S8_S8_S8_S8_EEEEPS9_S9_NSD_9__find_if7functorIS9_EEEE10hipError_tPvRmT1_T2_T3_mT4_P12ihipStream_tbEUlT_E0_NS1_11comp_targetILNS1_3genE9ELNS1_11target_archE1100ELNS1_3gpuE3ELNS1_3repE0EEENS1_30default_config_static_selectorELNS0_4arch9wavefront6targetE0EEEvS14_: ; @_ZN7rocprim17ROCPRIM_400000_NS6detail17trampoline_kernelINS0_14default_configENS1_22reduce_config_selectorIN6thrust23THRUST_200600_302600_NS5tupleIblNS6_9null_typeES8_S8_S8_S8_S8_S8_S8_EEEEZNS1_11reduce_implILb1ES3_NS6_12zip_iteratorINS7_INS6_11hip_rocprim26transform_input_iterator_tIbNSD_35transform_pair_of_input_iterators_tIbNS6_6detail15normal_iteratorINS6_10device_ptrIKdEEEESL_NS6_8equal_toIdEEEENSG_9not_fun_tINSD_8identityEEEEENSD_19counting_iterator_tIlEES8_S8_S8_S8_S8_S8_S8_S8_EEEEPS9_S9_NSD_9__find_if7functorIS9_EEEE10hipError_tPvRmT1_T2_T3_mT4_P12ihipStream_tbEUlT_E0_NS1_11comp_targetILNS1_3genE9ELNS1_11target_archE1100ELNS1_3gpuE3ELNS1_3repE0EEENS1_30default_config_static_selectorELNS0_4arch9wavefront6targetE0EEEvS14_
; %bb.0:
	.section	.rodata,"a",@progbits
	.p2align	6, 0x0
	.amdhsa_kernel _ZN7rocprim17ROCPRIM_400000_NS6detail17trampoline_kernelINS0_14default_configENS1_22reduce_config_selectorIN6thrust23THRUST_200600_302600_NS5tupleIblNS6_9null_typeES8_S8_S8_S8_S8_S8_S8_EEEEZNS1_11reduce_implILb1ES3_NS6_12zip_iteratorINS7_INS6_11hip_rocprim26transform_input_iterator_tIbNSD_35transform_pair_of_input_iterators_tIbNS6_6detail15normal_iteratorINS6_10device_ptrIKdEEEESL_NS6_8equal_toIdEEEENSG_9not_fun_tINSD_8identityEEEEENSD_19counting_iterator_tIlEES8_S8_S8_S8_S8_S8_S8_S8_EEEEPS9_S9_NSD_9__find_if7functorIS9_EEEE10hipError_tPvRmT1_T2_T3_mT4_P12ihipStream_tbEUlT_E0_NS1_11comp_targetILNS1_3genE9ELNS1_11target_archE1100ELNS1_3gpuE3ELNS1_3repE0EEENS1_30default_config_static_selectorELNS0_4arch9wavefront6targetE0EEEvS14_
		.amdhsa_group_segment_fixed_size 0
		.amdhsa_private_segment_fixed_size 0
		.amdhsa_kernarg_size 104
		.amdhsa_user_sgpr_count 2
		.amdhsa_user_sgpr_dispatch_ptr 0
		.amdhsa_user_sgpr_queue_ptr 0
		.amdhsa_user_sgpr_kernarg_segment_ptr 1
		.amdhsa_user_sgpr_dispatch_id 0
		.amdhsa_user_sgpr_kernarg_preload_length 0
		.amdhsa_user_sgpr_kernarg_preload_offset 0
		.amdhsa_user_sgpr_private_segment_size 0
		.amdhsa_wavefront_size32 1
		.amdhsa_uses_dynamic_stack 0
		.amdhsa_enable_private_segment 0
		.amdhsa_system_sgpr_workgroup_id_x 1
		.amdhsa_system_sgpr_workgroup_id_y 0
		.amdhsa_system_sgpr_workgroup_id_z 0
		.amdhsa_system_sgpr_workgroup_info 0
		.amdhsa_system_vgpr_workitem_id 0
		.amdhsa_next_free_vgpr 1
		.amdhsa_next_free_sgpr 1
		.amdhsa_named_barrier_count 0
		.amdhsa_reserve_vcc 0
		.amdhsa_float_round_mode_32 0
		.amdhsa_float_round_mode_16_64 0
		.amdhsa_float_denorm_mode_32 3
		.amdhsa_float_denorm_mode_16_64 3
		.amdhsa_fp16_overflow 0
		.amdhsa_memory_ordered 1
		.amdhsa_forward_progress 1
		.amdhsa_inst_pref_size 0
		.amdhsa_round_robin_scheduling 0
		.amdhsa_exception_fp_ieee_invalid_op 0
		.amdhsa_exception_fp_denorm_src 0
		.amdhsa_exception_fp_ieee_div_zero 0
		.amdhsa_exception_fp_ieee_overflow 0
		.amdhsa_exception_fp_ieee_underflow 0
		.amdhsa_exception_fp_ieee_inexact 0
		.amdhsa_exception_int_div_zero 0
	.end_amdhsa_kernel
	.section	.text._ZN7rocprim17ROCPRIM_400000_NS6detail17trampoline_kernelINS0_14default_configENS1_22reduce_config_selectorIN6thrust23THRUST_200600_302600_NS5tupleIblNS6_9null_typeES8_S8_S8_S8_S8_S8_S8_EEEEZNS1_11reduce_implILb1ES3_NS6_12zip_iteratorINS7_INS6_11hip_rocprim26transform_input_iterator_tIbNSD_35transform_pair_of_input_iterators_tIbNS6_6detail15normal_iteratorINS6_10device_ptrIKdEEEESL_NS6_8equal_toIdEEEENSG_9not_fun_tINSD_8identityEEEEENSD_19counting_iterator_tIlEES8_S8_S8_S8_S8_S8_S8_S8_EEEEPS9_S9_NSD_9__find_if7functorIS9_EEEE10hipError_tPvRmT1_T2_T3_mT4_P12ihipStream_tbEUlT_E0_NS1_11comp_targetILNS1_3genE9ELNS1_11target_archE1100ELNS1_3gpuE3ELNS1_3repE0EEENS1_30default_config_static_selectorELNS0_4arch9wavefront6targetE0EEEvS14_,"axG",@progbits,_ZN7rocprim17ROCPRIM_400000_NS6detail17trampoline_kernelINS0_14default_configENS1_22reduce_config_selectorIN6thrust23THRUST_200600_302600_NS5tupleIblNS6_9null_typeES8_S8_S8_S8_S8_S8_S8_EEEEZNS1_11reduce_implILb1ES3_NS6_12zip_iteratorINS7_INS6_11hip_rocprim26transform_input_iterator_tIbNSD_35transform_pair_of_input_iterators_tIbNS6_6detail15normal_iteratorINS6_10device_ptrIKdEEEESL_NS6_8equal_toIdEEEENSG_9not_fun_tINSD_8identityEEEEENSD_19counting_iterator_tIlEES8_S8_S8_S8_S8_S8_S8_S8_EEEEPS9_S9_NSD_9__find_if7functorIS9_EEEE10hipError_tPvRmT1_T2_T3_mT4_P12ihipStream_tbEUlT_E0_NS1_11comp_targetILNS1_3genE9ELNS1_11target_archE1100ELNS1_3gpuE3ELNS1_3repE0EEENS1_30default_config_static_selectorELNS0_4arch9wavefront6targetE0EEEvS14_,comdat
.Lfunc_end44:
	.size	_ZN7rocprim17ROCPRIM_400000_NS6detail17trampoline_kernelINS0_14default_configENS1_22reduce_config_selectorIN6thrust23THRUST_200600_302600_NS5tupleIblNS6_9null_typeES8_S8_S8_S8_S8_S8_S8_EEEEZNS1_11reduce_implILb1ES3_NS6_12zip_iteratorINS7_INS6_11hip_rocprim26transform_input_iterator_tIbNSD_35transform_pair_of_input_iterators_tIbNS6_6detail15normal_iteratorINS6_10device_ptrIKdEEEESL_NS6_8equal_toIdEEEENSG_9not_fun_tINSD_8identityEEEEENSD_19counting_iterator_tIlEES8_S8_S8_S8_S8_S8_S8_S8_EEEEPS9_S9_NSD_9__find_if7functorIS9_EEEE10hipError_tPvRmT1_T2_T3_mT4_P12ihipStream_tbEUlT_E0_NS1_11comp_targetILNS1_3genE9ELNS1_11target_archE1100ELNS1_3gpuE3ELNS1_3repE0EEENS1_30default_config_static_selectorELNS0_4arch9wavefront6targetE0EEEvS14_, .Lfunc_end44-_ZN7rocprim17ROCPRIM_400000_NS6detail17trampoline_kernelINS0_14default_configENS1_22reduce_config_selectorIN6thrust23THRUST_200600_302600_NS5tupleIblNS6_9null_typeES8_S8_S8_S8_S8_S8_S8_EEEEZNS1_11reduce_implILb1ES3_NS6_12zip_iteratorINS7_INS6_11hip_rocprim26transform_input_iterator_tIbNSD_35transform_pair_of_input_iterators_tIbNS6_6detail15normal_iteratorINS6_10device_ptrIKdEEEESL_NS6_8equal_toIdEEEENSG_9not_fun_tINSD_8identityEEEEENSD_19counting_iterator_tIlEES8_S8_S8_S8_S8_S8_S8_S8_EEEEPS9_S9_NSD_9__find_if7functorIS9_EEEE10hipError_tPvRmT1_T2_T3_mT4_P12ihipStream_tbEUlT_E0_NS1_11comp_targetILNS1_3genE9ELNS1_11target_archE1100ELNS1_3gpuE3ELNS1_3repE0EEENS1_30default_config_static_selectorELNS0_4arch9wavefront6targetE0EEEvS14_
                                        ; -- End function
	.set _ZN7rocprim17ROCPRIM_400000_NS6detail17trampoline_kernelINS0_14default_configENS1_22reduce_config_selectorIN6thrust23THRUST_200600_302600_NS5tupleIblNS6_9null_typeES8_S8_S8_S8_S8_S8_S8_EEEEZNS1_11reduce_implILb1ES3_NS6_12zip_iteratorINS7_INS6_11hip_rocprim26transform_input_iterator_tIbNSD_35transform_pair_of_input_iterators_tIbNS6_6detail15normal_iteratorINS6_10device_ptrIKdEEEESL_NS6_8equal_toIdEEEENSG_9not_fun_tINSD_8identityEEEEENSD_19counting_iterator_tIlEES8_S8_S8_S8_S8_S8_S8_S8_EEEEPS9_S9_NSD_9__find_if7functorIS9_EEEE10hipError_tPvRmT1_T2_T3_mT4_P12ihipStream_tbEUlT_E0_NS1_11comp_targetILNS1_3genE9ELNS1_11target_archE1100ELNS1_3gpuE3ELNS1_3repE0EEENS1_30default_config_static_selectorELNS0_4arch9wavefront6targetE0EEEvS14_.num_vgpr, 0
	.set _ZN7rocprim17ROCPRIM_400000_NS6detail17trampoline_kernelINS0_14default_configENS1_22reduce_config_selectorIN6thrust23THRUST_200600_302600_NS5tupleIblNS6_9null_typeES8_S8_S8_S8_S8_S8_S8_EEEEZNS1_11reduce_implILb1ES3_NS6_12zip_iteratorINS7_INS6_11hip_rocprim26transform_input_iterator_tIbNSD_35transform_pair_of_input_iterators_tIbNS6_6detail15normal_iteratorINS6_10device_ptrIKdEEEESL_NS6_8equal_toIdEEEENSG_9not_fun_tINSD_8identityEEEEENSD_19counting_iterator_tIlEES8_S8_S8_S8_S8_S8_S8_S8_EEEEPS9_S9_NSD_9__find_if7functorIS9_EEEE10hipError_tPvRmT1_T2_T3_mT4_P12ihipStream_tbEUlT_E0_NS1_11comp_targetILNS1_3genE9ELNS1_11target_archE1100ELNS1_3gpuE3ELNS1_3repE0EEENS1_30default_config_static_selectorELNS0_4arch9wavefront6targetE0EEEvS14_.num_agpr, 0
	.set _ZN7rocprim17ROCPRIM_400000_NS6detail17trampoline_kernelINS0_14default_configENS1_22reduce_config_selectorIN6thrust23THRUST_200600_302600_NS5tupleIblNS6_9null_typeES8_S8_S8_S8_S8_S8_S8_EEEEZNS1_11reduce_implILb1ES3_NS6_12zip_iteratorINS7_INS6_11hip_rocprim26transform_input_iterator_tIbNSD_35transform_pair_of_input_iterators_tIbNS6_6detail15normal_iteratorINS6_10device_ptrIKdEEEESL_NS6_8equal_toIdEEEENSG_9not_fun_tINSD_8identityEEEEENSD_19counting_iterator_tIlEES8_S8_S8_S8_S8_S8_S8_S8_EEEEPS9_S9_NSD_9__find_if7functorIS9_EEEE10hipError_tPvRmT1_T2_T3_mT4_P12ihipStream_tbEUlT_E0_NS1_11comp_targetILNS1_3genE9ELNS1_11target_archE1100ELNS1_3gpuE3ELNS1_3repE0EEENS1_30default_config_static_selectorELNS0_4arch9wavefront6targetE0EEEvS14_.numbered_sgpr, 0
	.set _ZN7rocprim17ROCPRIM_400000_NS6detail17trampoline_kernelINS0_14default_configENS1_22reduce_config_selectorIN6thrust23THRUST_200600_302600_NS5tupleIblNS6_9null_typeES8_S8_S8_S8_S8_S8_S8_EEEEZNS1_11reduce_implILb1ES3_NS6_12zip_iteratorINS7_INS6_11hip_rocprim26transform_input_iterator_tIbNSD_35transform_pair_of_input_iterators_tIbNS6_6detail15normal_iteratorINS6_10device_ptrIKdEEEESL_NS6_8equal_toIdEEEENSG_9not_fun_tINSD_8identityEEEEENSD_19counting_iterator_tIlEES8_S8_S8_S8_S8_S8_S8_S8_EEEEPS9_S9_NSD_9__find_if7functorIS9_EEEE10hipError_tPvRmT1_T2_T3_mT4_P12ihipStream_tbEUlT_E0_NS1_11comp_targetILNS1_3genE9ELNS1_11target_archE1100ELNS1_3gpuE3ELNS1_3repE0EEENS1_30default_config_static_selectorELNS0_4arch9wavefront6targetE0EEEvS14_.num_named_barrier, 0
	.set _ZN7rocprim17ROCPRIM_400000_NS6detail17trampoline_kernelINS0_14default_configENS1_22reduce_config_selectorIN6thrust23THRUST_200600_302600_NS5tupleIblNS6_9null_typeES8_S8_S8_S8_S8_S8_S8_EEEEZNS1_11reduce_implILb1ES3_NS6_12zip_iteratorINS7_INS6_11hip_rocprim26transform_input_iterator_tIbNSD_35transform_pair_of_input_iterators_tIbNS6_6detail15normal_iteratorINS6_10device_ptrIKdEEEESL_NS6_8equal_toIdEEEENSG_9not_fun_tINSD_8identityEEEEENSD_19counting_iterator_tIlEES8_S8_S8_S8_S8_S8_S8_S8_EEEEPS9_S9_NSD_9__find_if7functorIS9_EEEE10hipError_tPvRmT1_T2_T3_mT4_P12ihipStream_tbEUlT_E0_NS1_11comp_targetILNS1_3genE9ELNS1_11target_archE1100ELNS1_3gpuE3ELNS1_3repE0EEENS1_30default_config_static_selectorELNS0_4arch9wavefront6targetE0EEEvS14_.private_seg_size, 0
	.set _ZN7rocprim17ROCPRIM_400000_NS6detail17trampoline_kernelINS0_14default_configENS1_22reduce_config_selectorIN6thrust23THRUST_200600_302600_NS5tupleIblNS6_9null_typeES8_S8_S8_S8_S8_S8_S8_EEEEZNS1_11reduce_implILb1ES3_NS6_12zip_iteratorINS7_INS6_11hip_rocprim26transform_input_iterator_tIbNSD_35transform_pair_of_input_iterators_tIbNS6_6detail15normal_iteratorINS6_10device_ptrIKdEEEESL_NS6_8equal_toIdEEEENSG_9not_fun_tINSD_8identityEEEEENSD_19counting_iterator_tIlEES8_S8_S8_S8_S8_S8_S8_S8_EEEEPS9_S9_NSD_9__find_if7functorIS9_EEEE10hipError_tPvRmT1_T2_T3_mT4_P12ihipStream_tbEUlT_E0_NS1_11comp_targetILNS1_3genE9ELNS1_11target_archE1100ELNS1_3gpuE3ELNS1_3repE0EEENS1_30default_config_static_selectorELNS0_4arch9wavefront6targetE0EEEvS14_.uses_vcc, 0
	.set _ZN7rocprim17ROCPRIM_400000_NS6detail17trampoline_kernelINS0_14default_configENS1_22reduce_config_selectorIN6thrust23THRUST_200600_302600_NS5tupleIblNS6_9null_typeES8_S8_S8_S8_S8_S8_S8_EEEEZNS1_11reduce_implILb1ES3_NS6_12zip_iteratorINS7_INS6_11hip_rocprim26transform_input_iterator_tIbNSD_35transform_pair_of_input_iterators_tIbNS6_6detail15normal_iteratorINS6_10device_ptrIKdEEEESL_NS6_8equal_toIdEEEENSG_9not_fun_tINSD_8identityEEEEENSD_19counting_iterator_tIlEES8_S8_S8_S8_S8_S8_S8_S8_EEEEPS9_S9_NSD_9__find_if7functorIS9_EEEE10hipError_tPvRmT1_T2_T3_mT4_P12ihipStream_tbEUlT_E0_NS1_11comp_targetILNS1_3genE9ELNS1_11target_archE1100ELNS1_3gpuE3ELNS1_3repE0EEENS1_30default_config_static_selectorELNS0_4arch9wavefront6targetE0EEEvS14_.uses_flat_scratch, 0
	.set _ZN7rocprim17ROCPRIM_400000_NS6detail17trampoline_kernelINS0_14default_configENS1_22reduce_config_selectorIN6thrust23THRUST_200600_302600_NS5tupleIblNS6_9null_typeES8_S8_S8_S8_S8_S8_S8_EEEEZNS1_11reduce_implILb1ES3_NS6_12zip_iteratorINS7_INS6_11hip_rocprim26transform_input_iterator_tIbNSD_35transform_pair_of_input_iterators_tIbNS6_6detail15normal_iteratorINS6_10device_ptrIKdEEEESL_NS6_8equal_toIdEEEENSG_9not_fun_tINSD_8identityEEEEENSD_19counting_iterator_tIlEES8_S8_S8_S8_S8_S8_S8_S8_EEEEPS9_S9_NSD_9__find_if7functorIS9_EEEE10hipError_tPvRmT1_T2_T3_mT4_P12ihipStream_tbEUlT_E0_NS1_11comp_targetILNS1_3genE9ELNS1_11target_archE1100ELNS1_3gpuE3ELNS1_3repE0EEENS1_30default_config_static_selectorELNS0_4arch9wavefront6targetE0EEEvS14_.has_dyn_sized_stack, 0
	.set _ZN7rocprim17ROCPRIM_400000_NS6detail17trampoline_kernelINS0_14default_configENS1_22reduce_config_selectorIN6thrust23THRUST_200600_302600_NS5tupleIblNS6_9null_typeES8_S8_S8_S8_S8_S8_S8_EEEEZNS1_11reduce_implILb1ES3_NS6_12zip_iteratorINS7_INS6_11hip_rocprim26transform_input_iterator_tIbNSD_35transform_pair_of_input_iterators_tIbNS6_6detail15normal_iteratorINS6_10device_ptrIKdEEEESL_NS6_8equal_toIdEEEENSG_9not_fun_tINSD_8identityEEEEENSD_19counting_iterator_tIlEES8_S8_S8_S8_S8_S8_S8_S8_EEEEPS9_S9_NSD_9__find_if7functorIS9_EEEE10hipError_tPvRmT1_T2_T3_mT4_P12ihipStream_tbEUlT_E0_NS1_11comp_targetILNS1_3genE9ELNS1_11target_archE1100ELNS1_3gpuE3ELNS1_3repE0EEENS1_30default_config_static_selectorELNS0_4arch9wavefront6targetE0EEEvS14_.has_recursion, 0
	.set _ZN7rocprim17ROCPRIM_400000_NS6detail17trampoline_kernelINS0_14default_configENS1_22reduce_config_selectorIN6thrust23THRUST_200600_302600_NS5tupleIblNS6_9null_typeES8_S8_S8_S8_S8_S8_S8_EEEEZNS1_11reduce_implILb1ES3_NS6_12zip_iteratorINS7_INS6_11hip_rocprim26transform_input_iterator_tIbNSD_35transform_pair_of_input_iterators_tIbNS6_6detail15normal_iteratorINS6_10device_ptrIKdEEEESL_NS6_8equal_toIdEEEENSG_9not_fun_tINSD_8identityEEEEENSD_19counting_iterator_tIlEES8_S8_S8_S8_S8_S8_S8_S8_EEEEPS9_S9_NSD_9__find_if7functorIS9_EEEE10hipError_tPvRmT1_T2_T3_mT4_P12ihipStream_tbEUlT_E0_NS1_11comp_targetILNS1_3genE9ELNS1_11target_archE1100ELNS1_3gpuE3ELNS1_3repE0EEENS1_30default_config_static_selectorELNS0_4arch9wavefront6targetE0EEEvS14_.has_indirect_call, 0
	.section	.AMDGPU.csdata,"",@progbits
; Kernel info:
; codeLenInByte = 0
; TotalNumSgprs: 0
; NumVgprs: 0
; ScratchSize: 0
; MemoryBound: 0
; FloatMode: 240
; IeeeMode: 1
; LDSByteSize: 0 bytes/workgroup (compile time only)
; SGPRBlocks: 0
; VGPRBlocks: 0
; NumSGPRsForWavesPerEU: 1
; NumVGPRsForWavesPerEU: 1
; NamedBarCnt: 0
; Occupancy: 16
; WaveLimiterHint : 0
; COMPUTE_PGM_RSRC2:SCRATCH_EN: 0
; COMPUTE_PGM_RSRC2:USER_SGPR: 2
; COMPUTE_PGM_RSRC2:TRAP_HANDLER: 0
; COMPUTE_PGM_RSRC2:TGID_X_EN: 1
; COMPUTE_PGM_RSRC2:TGID_Y_EN: 0
; COMPUTE_PGM_RSRC2:TGID_Z_EN: 0
; COMPUTE_PGM_RSRC2:TIDIG_COMP_CNT: 0
	.section	.text._ZN7rocprim17ROCPRIM_400000_NS6detail17trampoline_kernelINS0_14default_configENS1_22reduce_config_selectorIN6thrust23THRUST_200600_302600_NS5tupleIblNS6_9null_typeES8_S8_S8_S8_S8_S8_S8_EEEEZNS1_11reduce_implILb1ES3_NS6_12zip_iteratorINS7_INS6_11hip_rocprim26transform_input_iterator_tIbNSD_35transform_pair_of_input_iterators_tIbNS6_6detail15normal_iteratorINS6_10device_ptrIKdEEEESL_NS6_8equal_toIdEEEENSG_9not_fun_tINSD_8identityEEEEENSD_19counting_iterator_tIlEES8_S8_S8_S8_S8_S8_S8_S8_EEEEPS9_S9_NSD_9__find_if7functorIS9_EEEE10hipError_tPvRmT1_T2_T3_mT4_P12ihipStream_tbEUlT_E0_NS1_11comp_targetILNS1_3genE8ELNS1_11target_archE1030ELNS1_3gpuE2ELNS1_3repE0EEENS1_30default_config_static_selectorELNS0_4arch9wavefront6targetE0EEEvS14_,"axG",@progbits,_ZN7rocprim17ROCPRIM_400000_NS6detail17trampoline_kernelINS0_14default_configENS1_22reduce_config_selectorIN6thrust23THRUST_200600_302600_NS5tupleIblNS6_9null_typeES8_S8_S8_S8_S8_S8_S8_EEEEZNS1_11reduce_implILb1ES3_NS6_12zip_iteratorINS7_INS6_11hip_rocprim26transform_input_iterator_tIbNSD_35transform_pair_of_input_iterators_tIbNS6_6detail15normal_iteratorINS6_10device_ptrIKdEEEESL_NS6_8equal_toIdEEEENSG_9not_fun_tINSD_8identityEEEEENSD_19counting_iterator_tIlEES8_S8_S8_S8_S8_S8_S8_S8_EEEEPS9_S9_NSD_9__find_if7functorIS9_EEEE10hipError_tPvRmT1_T2_T3_mT4_P12ihipStream_tbEUlT_E0_NS1_11comp_targetILNS1_3genE8ELNS1_11target_archE1030ELNS1_3gpuE2ELNS1_3repE0EEENS1_30default_config_static_selectorELNS0_4arch9wavefront6targetE0EEEvS14_,comdat
	.protected	_ZN7rocprim17ROCPRIM_400000_NS6detail17trampoline_kernelINS0_14default_configENS1_22reduce_config_selectorIN6thrust23THRUST_200600_302600_NS5tupleIblNS6_9null_typeES8_S8_S8_S8_S8_S8_S8_EEEEZNS1_11reduce_implILb1ES3_NS6_12zip_iteratorINS7_INS6_11hip_rocprim26transform_input_iterator_tIbNSD_35transform_pair_of_input_iterators_tIbNS6_6detail15normal_iteratorINS6_10device_ptrIKdEEEESL_NS6_8equal_toIdEEEENSG_9not_fun_tINSD_8identityEEEEENSD_19counting_iterator_tIlEES8_S8_S8_S8_S8_S8_S8_S8_EEEEPS9_S9_NSD_9__find_if7functorIS9_EEEE10hipError_tPvRmT1_T2_T3_mT4_P12ihipStream_tbEUlT_E0_NS1_11comp_targetILNS1_3genE8ELNS1_11target_archE1030ELNS1_3gpuE2ELNS1_3repE0EEENS1_30default_config_static_selectorELNS0_4arch9wavefront6targetE0EEEvS14_ ; -- Begin function _ZN7rocprim17ROCPRIM_400000_NS6detail17trampoline_kernelINS0_14default_configENS1_22reduce_config_selectorIN6thrust23THRUST_200600_302600_NS5tupleIblNS6_9null_typeES8_S8_S8_S8_S8_S8_S8_EEEEZNS1_11reduce_implILb1ES3_NS6_12zip_iteratorINS7_INS6_11hip_rocprim26transform_input_iterator_tIbNSD_35transform_pair_of_input_iterators_tIbNS6_6detail15normal_iteratorINS6_10device_ptrIKdEEEESL_NS6_8equal_toIdEEEENSG_9not_fun_tINSD_8identityEEEEENSD_19counting_iterator_tIlEES8_S8_S8_S8_S8_S8_S8_S8_EEEEPS9_S9_NSD_9__find_if7functorIS9_EEEE10hipError_tPvRmT1_T2_T3_mT4_P12ihipStream_tbEUlT_E0_NS1_11comp_targetILNS1_3genE8ELNS1_11target_archE1030ELNS1_3gpuE2ELNS1_3repE0EEENS1_30default_config_static_selectorELNS0_4arch9wavefront6targetE0EEEvS14_
	.globl	_ZN7rocprim17ROCPRIM_400000_NS6detail17trampoline_kernelINS0_14default_configENS1_22reduce_config_selectorIN6thrust23THRUST_200600_302600_NS5tupleIblNS6_9null_typeES8_S8_S8_S8_S8_S8_S8_EEEEZNS1_11reduce_implILb1ES3_NS6_12zip_iteratorINS7_INS6_11hip_rocprim26transform_input_iterator_tIbNSD_35transform_pair_of_input_iterators_tIbNS6_6detail15normal_iteratorINS6_10device_ptrIKdEEEESL_NS6_8equal_toIdEEEENSG_9not_fun_tINSD_8identityEEEEENSD_19counting_iterator_tIlEES8_S8_S8_S8_S8_S8_S8_S8_EEEEPS9_S9_NSD_9__find_if7functorIS9_EEEE10hipError_tPvRmT1_T2_T3_mT4_P12ihipStream_tbEUlT_E0_NS1_11comp_targetILNS1_3genE8ELNS1_11target_archE1030ELNS1_3gpuE2ELNS1_3repE0EEENS1_30default_config_static_selectorELNS0_4arch9wavefront6targetE0EEEvS14_
	.p2align	8
	.type	_ZN7rocprim17ROCPRIM_400000_NS6detail17trampoline_kernelINS0_14default_configENS1_22reduce_config_selectorIN6thrust23THRUST_200600_302600_NS5tupleIblNS6_9null_typeES8_S8_S8_S8_S8_S8_S8_EEEEZNS1_11reduce_implILb1ES3_NS6_12zip_iteratorINS7_INS6_11hip_rocprim26transform_input_iterator_tIbNSD_35transform_pair_of_input_iterators_tIbNS6_6detail15normal_iteratorINS6_10device_ptrIKdEEEESL_NS6_8equal_toIdEEEENSG_9not_fun_tINSD_8identityEEEEENSD_19counting_iterator_tIlEES8_S8_S8_S8_S8_S8_S8_S8_EEEEPS9_S9_NSD_9__find_if7functorIS9_EEEE10hipError_tPvRmT1_T2_T3_mT4_P12ihipStream_tbEUlT_E0_NS1_11comp_targetILNS1_3genE8ELNS1_11target_archE1030ELNS1_3gpuE2ELNS1_3repE0EEENS1_30default_config_static_selectorELNS0_4arch9wavefront6targetE0EEEvS14_,@function
_ZN7rocprim17ROCPRIM_400000_NS6detail17trampoline_kernelINS0_14default_configENS1_22reduce_config_selectorIN6thrust23THRUST_200600_302600_NS5tupleIblNS6_9null_typeES8_S8_S8_S8_S8_S8_S8_EEEEZNS1_11reduce_implILb1ES3_NS6_12zip_iteratorINS7_INS6_11hip_rocprim26transform_input_iterator_tIbNSD_35transform_pair_of_input_iterators_tIbNS6_6detail15normal_iteratorINS6_10device_ptrIKdEEEESL_NS6_8equal_toIdEEEENSG_9not_fun_tINSD_8identityEEEEENSD_19counting_iterator_tIlEES8_S8_S8_S8_S8_S8_S8_S8_EEEEPS9_S9_NSD_9__find_if7functorIS9_EEEE10hipError_tPvRmT1_T2_T3_mT4_P12ihipStream_tbEUlT_E0_NS1_11comp_targetILNS1_3genE8ELNS1_11target_archE1030ELNS1_3gpuE2ELNS1_3repE0EEENS1_30default_config_static_selectorELNS0_4arch9wavefront6targetE0EEEvS14_: ; @_ZN7rocprim17ROCPRIM_400000_NS6detail17trampoline_kernelINS0_14default_configENS1_22reduce_config_selectorIN6thrust23THRUST_200600_302600_NS5tupleIblNS6_9null_typeES8_S8_S8_S8_S8_S8_S8_EEEEZNS1_11reduce_implILb1ES3_NS6_12zip_iteratorINS7_INS6_11hip_rocprim26transform_input_iterator_tIbNSD_35transform_pair_of_input_iterators_tIbNS6_6detail15normal_iteratorINS6_10device_ptrIKdEEEESL_NS6_8equal_toIdEEEENSG_9not_fun_tINSD_8identityEEEEENSD_19counting_iterator_tIlEES8_S8_S8_S8_S8_S8_S8_S8_EEEEPS9_S9_NSD_9__find_if7functorIS9_EEEE10hipError_tPvRmT1_T2_T3_mT4_P12ihipStream_tbEUlT_E0_NS1_11comp_targetILNS1_3genE8ELNS1_11target_archE1030ELNS1_3gpuE2ELNS1_3repE0EEENS1_30default_config_static_selectorELNS0_4arch9wavefront6targetE0EEEvS14_
; %bb.0:
	.section	.rodata,"a",@progbits
	.p2align	6, 0x0
	.amdhsa_kernel _ZN7rocprim17ROCPRIM_400000_NS6detail17trampoline_kernelINS0_14default_configENS1_22reduce_config_selectorIN6thrust23THRUST_200600_302600_NS5tupleIblNS6_9null_typeES8_S8_S8_S8_S8_S8_S8_EEEEZNS1_11reduce_implILb1ES3_NS6_12zip_iteratorINS7_INS6_11hip_rocprim26transform_input_iterator_tIbNSD_35transform_pair_of_input_iterators_tIbNS6_6detail15normal_iteratorINS6_10device_ptrIKdEEEESL_NS6_8equal_toIdEEEENSG_9not_fun_tINSD_8identityEEEEENSD_19counting_iterator_tIlEES8_S8_S8_S8_S8_S8_S8_S8_EEEEPS9_S9_NSD_9__find_if7functorIS9_EEEE10hipError_tPvRmT1_T2_T3_mT4_P12ihipStream_tbEUlT_E0_NS1_11comp_targetILNS1_3genE8ELNS1_11target_archE1030ELNS1_3gpuE2ELNS1_3repE0EEENS1_30default_config_static_selectorELNS0_4arch9wavefront6targetE0EEEvS14_
		.amdhsa_group_segment_fixed_size 0
		.amdhsa_private_segment_fixed_size 0
		.amdhsa_kernarg_size 104
		.amdhsa_user_sgpr_count 2
		.amdhsa_user_sgpr_dispatch_ptr 0
		.amdhsa_user_sgpr_queue_ptr 0
		.amdhsa_user_sgpr_kernarg_segment_ptr 1
		.amdhsa_user_sgpr_dispatch_id 0
		.amdhsa_user_sgpr_kernarg_preload_length 0
		.amdhsa_user_sgpr_kernarg_preload_offset 0
		.amdhsa_user_sgpr_private_segment_size 0
		.amdhsa_wavefront_size32 1
		.amdhsa_uses_dynamic_stack 0
		.amdhsa_enable_private_segment 0
		.amdhsa_system_sgpr_workgroup_id_x 1
		.amdhsa_system_sgpr_workgroup_id_y 0
		.amdhsa_system_sgpr_workgroup_id_z 0
		.amdhsa_system_sgpr_workgroup_info 0
		.amdhsa_system_vgpr_workitem_id 0
		.amdhsa_next_free_vgpr 1
		.amdhsa_next_free_sgpr 1
		.amdhsa_named_barrier_count 0
		.amdhsa_reserve_vcc 0
		.amdhsa_float_round_mode_32 0
		.amdhsa_float_round_mode_16_64 0
		.amdhsa_float_denorm_mode_32 3
		.amdhsa_float_denorm_mode_16_64 3
		.amdhsa_fp16_overflow 0
		.amdhsa_memory_ordered 1
		.amdhsa_forward_progress 1
		.amdhsa_inst_pref_size 0
		.amdhsa_round_robin_scheduling 0
		.amdhsa_exception_fp_ieee_invalid_op 0
		.amdhsa_exception_fp_denorm_src 0
		.amdhsa_exception_fp_ieee_div_zero 0
		.amdhsa_exception_fp_ieee_overflow 0
		.amdhsa_exception_fp_ieee_underflow 0
		.amdhsa_exception_fp_ieee_inexact 0
		.amdhsa_exception_int_div_zero 0
	.end_amdhsa_kernel
	.section	.text._ZN7rocprim17ROCPRIM_400000_NS6detail17trampoline_kernelINS0_14default_configENS1_22reduce_config_selectorIN6thrust23THRUST_200600_302600_NS5tupleIblNS6_9null_typeES8_S8_S8_S8_S8_S8_S8_EEEEZNS1_11reduce_implILb1ES3_NS6_12zip_iteratorINS7_INS6_11hip_rocprim26transform_input_iterator_tIbNSD_35transform_pair_of_input_iterators_tIbNS6_6detail15normal_iteratorINS6_10device_ptrIKdEEEESL_NS6_8equal_toIdEEEENSG_9not_fun_tINSD_8identityEEEEENSD_19counting_iterator_tIlEES8_S8_S8_S8_S8_S8_S8_S8_EEEEPS9_S9_NSD_9__find_if7functorIS9_EEEE10hipError_tPvRmT1_T2_T3_mT4_P12ihipStream_tbEUlT_E0_NS1_11comp_targetILNS1_3genE8ELNS1_11target_archE1030ELNS1_3gpuE2ELNS1_3repE0EEENS1_30default_config_static_selectorELNS0_4arch9wavefront6targetE0EEEvS14_,"axG",@progbits,_ZN7rocprim17ROCPRIM_400000_NS6detail17trampoline_kernelINS0_14default_configENS1_22reduce_config_selectorIN6thrust23THRUST_200600_302600_NS5tupleIblNS6_9null_typeES8_S8_S8_S8_S8_S8_S8_EEEEZNS1_11reduce_implILb1ES3_NS6_12zip_iteratorINS7_INS6_11hip_rocprim26transform_input_iterator_tIbNSD_35transform_pair_of_input_iterators_tIbNS6_6detail15normal_iteratorINS6_10device_ptrIKdEEEESL_NS6_8equal_toIdEEEENSG_9not_fun_tINSD_8identityEEEEENSD_19counting_iterator_tIlEES8_S8_S8_S8_S8_S8_S8_S8_EEEEPS9_S9_NSD_9__find_if7functorIS9_EEEE10hipError_tPvRmT1_T2_T3_mT4_P12ihipStream_tbEUlT_E0_NS1_11comp_targetILNS1_3genE8ELNS1_11target_archE1030ELNS1_3gpuE2ELNS1_3repE0EEENS1_30default_config_static_selectorELNS0_4arch9wavefront6targetE0EEEvS14_,comdat
.Lfunc_end45:
	.size	_ZN7rocprim17ROCPRIM_400000_NS6detail17trampoline_kernelINS0_14default_configENS1_22reduce_config_selectorIN6thrust23THRUST_200600_302600_NS5tupleIblNS6_9null_typeES8_S8_S8_S8_S8_S8_S8_EEEEZNS1_11reduce_implILb1ES3_NS6_12zip_iteratorINS7_INS6_11hip_rocprim26transform_input_iterator_tIbNSD_35transform_pair_of_input_iterators_tIbNS6_6detail15normal_iteratorINS6_10device_ptrIKdEEEESL_NS6_8equal_toIdEEEENSG_9not_fun_tINSD_8identityEEEEENSD_19counting_iterator_tIlEES8_S8_S8_S8_S8_S8_S8_S8_EEEEPS9_S9_NSD_9__find_if7functorIS9_EEEE10hipError_tPvRmT1_T2_T3_mT4_P12ihipStream_tbEUlT_E0_NS1_11comp_targetILNS1_3genE8ELNS1_11target_archE1030ELNS1_3gpuE2ELNS1_3repE0EEENS1_30default_config_static_selectorELNS0_4arch9wavefront6targetE0EEEvS14_, .Lfunc_end45-_ZN7rocprim17ROCPRIM_400000_NS6detail17trampoline_kernelINS0_14default_configENS1_22reduce_config_selectorIN6thrust23THRUST_200600_302600_NS5tupleIblNS6_9null_typeES8_S8_S8_S8_S8_S8_S8_EEEEZNS1_11reduce_implILb1ES3_NS6_12zip_iteratorINS7_INS6_11hip_rocprim26transform_input_iterator_tIbNSD_35transform_pair_of_input_iterators_tIbNS6_6detail15normal_iteratorINS6_10device_ptrIKdEEEESL_NS6_8equal_toIdEEEENSG_9not_fun_tINSD_8identityEEEEENSD_19counting_iterator_tIlEES8_S8_S8_S8_S8_S8_S8_S8_EEEEPS9_S9_NSD_9__find_if7functorIS9_EEEE10hipError_tPvRmT1_T2_T3_mT4_P12ihipStream_tbEUlT_E0_NS1_11comp_targetILNS1_3genE8ELNS1_11target_archE1030ELNS1_3gpuE2ELNS1_3repE0EEENS1_30default_config_static_selectorELNS0_4arch9wavefront6targetE0EEEvS14_
                                        ; -- End function
	.set _ZN7rocprim17ROCPRIM_400000_NS6detail17trampoline_kernelINS0_14default_configENS1_22reduce_config_selectorIN6thrust23THRUST_200600_302600_NS5tupleIblNS6_9null_typeES8_S8_S8_S8_S8_S8_S8_EEEEZNS1_11reduce_implILb1ES3_NS6_12zip_iteratorINS7_INS6_11hip_rocprim26transform_input_iterator_tIbNSD_35transform_pair_of_input_iterators_tIbNS6_6detail15normal_iteratorINS6_10device_ptrIKdEEEESL_NS6_8equal_toIdEEEENSG_9not_fun_tINSD_8identityEEEEENSD_19counting_iterator_tIlEES8_S8_S8_S8_S8_S8_S8_S8_EEEEPS9_S9_NSD_9__find_if7functorIS9_EEEE10hipError_tPvRmT1_T2_T3_mT4_P12ihipStream_tbEUlT_E0_NS1_11comp_targetILNS1_3genE8ELNS1_11target_archE1030ELNS1_3gpuE2ELNS1_3repE0EEENS1_30default_config_static_selectorELNS0_4arch9wavefront6targetE0EEEvS14_.num_vgpr, 0
	.set _ZN7rocprim17ROCPRIM_400000_NS6detail17trampoline_kernelINS0_14default_configENS1_22reduce_config_selectorIN6thrust23THRUST_200600_302600_NS5tupleIblNS6_9null_typeES8_S8_S8_S8_S8_S8_S8_EEEEZNS1_11reduce_implILb1ES3_NS6_12zip_iteratorINS7_INS6_11hip_rocprim26transform_input_iterator_tIbNSD_35transform_pair_of_input_iterators_tIbNS6_6detail15normal_iteratorINS6_10device_ptrIKdEEEESL_NS6_8equal_toIdEEEENSG_9not_fun_tINSD_8identityEEEEENSD_19counting_iterator_tIlEES8_S8_S8_S8_S8_S8_S8_S8_EEEEPS9_S9_NSD_9__find_if7functorIS9_EEEE10hipError_tPvRmT1_T2_T3_mT4_P12ihipStream_tbEUlT_E0_NS1_11comp_targetILNS1_3genE8ELNS1_11target_archE1030ELNS1_3gpuE2ELNS1_3repE0EEENS1_30default_config_static_selectorELNS0_4arch9wavefront6targetE0EEEvS14_.num_agpr, 0
	.set _ZN7rocprim17ROCPRIM_400000_NS6detail17trampoline_kernelINS0_14default_configENS1_22reduce_config_selectorIN6thrust23THRUST_200600_302600_NS5tupleIblNS6_9null_typeES8_S8_S8_S8_S8_S8_S8_EEEEZNS1_11reduce_implILb1ES3_NS6_12zip_iteratorINS7_INS6_11hip_rocprim26transform_input_iterator_tIbNSD_35transform_pair_of_input_iterators_tIbNS6_6detail15normal_iteratorINS6_10device_ptrIKdEEEESL_NS6_8equal_toIdEEEENSG_9not_fun_tINSD_8identityEEEEENSD_19counting_iterator_tIlEES8_S8_S8_S8_S8_S8_S8_S8_EEEEPS9_S9_NSD_9__find_if7functorIS9_EEEE10hipError_tPvRmT1_T2_T3_mT4_P12ihipStream_tbEUlT_E0_NS1_11comp_targetILNS1_3genE8ELNS1_11target_archE1030ELNS1_3gpuE2ELNS1_3repE0EEENS1_30default_config_static_selectorELNS0_4arch9wavefront6targetE0EEEvS14_.numbered_sgpr, 0
	.set _ZN7rocprim17ROCPRIM_400000_NS6detail17trampoline_kernelINS0_14default_configENS1_22reduce_config_selectorIN6thrust23THRUST_200600_302600_NS5tupleIblNS6_9null_typeES8_S8_S8_S8_S8_S8_S8_EEEEZNS1_11reduce_implILb1ES3_NS6_12zip_iteratorINS7_INS6_11hip_rocprim26transform_input_iterator_tIbNSD_35transform_pair_of_input_iterators_tIbNS6_6detail15normal_iteratorINS6_10device_ptrIKdEEEESL_NS6_8equal_toIdEEEENSG_9not_fun_tINSD_8identityEEEEENSD_19counting_iterator_tIlEES8_S8_S8_S8_S8_S8_S8_S8_EEEEPS9_S9_NSD_9__find_if7functorIS9_EEEE10hipError_tPvRmT1_T2_T3_mT4_P12ihipStream_tbEUlT_E0_NS1_11comp_targetILNS1_3genE8ELNS1_11target_archE1030ELNS1_3gpuE2ELNS1_3repE0EEENS1_30default_config_static_selectorELNS0_4arch9wavefront6targetE0EEEvS14_.num_named_barrier, 0
	.set _ZN7rocprim17ROCPRIM_400000_NS6detail17trampoline_kernelINS0_14default_configENS1_22reduce_config_selectorIN6thrust23THRUST_200600_302600_NS5tupleIblNS6_9null_typeES8_S8_S8_S8_S8_S8_S8_EEEEZNS1_11reduce_implILb1ES3_NS6_12zip_iteratorINS7_INS6_11hip_rocprim26transform_input_iterator_tIbNSD_35transform_pair_of_input_iterators_tIbNS6_6detail15normal_iteratorINS6_10device_ptrIKdEEEESL_NS6_8equal_toIdEEEENSG_9not_fun_tINSD_8identityEEEEENSD_19counting_iterator_tIlEES8_S8_S8_S8_S8_S8_S8_S8_EEEEPS9_S9_NSD_9__find_if7functorIS9_EEEE10hipError_tPvRmT1_T2_T3_mT4_P12ihipStream_tbEUlT_E0_NS1_11comp_targetILNS1_3genE8ELNS1_11target_archE1030ELNS1_3gpuE2ELNS1_3repE0EEENS1_30default_config_static_selectorELNS0_4arch9wavefront6targetE0EEEvS14_.private_seg_size, 0
	.set _ZN7rocprim17ROCPRIM_400000_NS6detail17trampoline_kernelINS0_14default_configENS1_22reduce_config_selectorIN6thrust23THRUST_200600_302600_NS5tupleIblNS6_9null_typeES8_S8_S8_S8_S8_S8_S8_EEEEZNS1_11reduce_implILb1ES3_NS6_12zip_iteratorINS7_INS6_11hip_rocprim26transform_input_iterator_tIbNSD_35transform_pair_of_input_iterators_tIbNS6_6detail15normal_iteratorINS6_10device_ptrIKdEEEESL_NS6_8equal_toIdEEEENSG_9not_fun_tINSD_8identityEEEEENSD_19counting_iterator_tIlEES8_S8_S8_S8_S8_S8_S8_S8_EEEEPS9_S9_NSD_9__find_if7functorIS9_EEEE10hipError_tPvRmT1_T2_T3_mT4_P12ihipStream_tbEUlT_E0_NS1_11comp_targetILNS1_3genE8ELNS1_11target_archE1030ELNS1_3gpuE2ELNS1_3repE0EEENS1_30default_config_static_selectorELNS0_4arch9wavefront6targetE0EEEvS14_.uses_vcc, 0
	.set _ZN7rocprim17ROCPRIM_400000_NS6detail17trampoline_kernelINS0_14default_configENS1_22reduce_config_selectorIN6thrust23THRUST_200600_302600_NS5tupleIblNS6_9null_typeES8_S8_S8_S8_S8_S8_S8_EEEEZNS1_11reduce_implILb1ES3_NS6_12zip_iteratorINS7_INS6_11hip_rocprim26transform_input_iterator_tIbNSD_35transform_pair_of_input_iterators_tIbNS6_6detail15normal_iteratorINS6_10device_ptrIKdEEEESL_NS6_8equal_toIdEEEENSG_9not_fun_tINSD_8identityEEEEENSD_19counting_iterator_tIlEES8_S8_S8_S8_S8_S8_S8_S8_EEEEPS9_S9_NSD_9__find_if7functorIS9_EEEE10hipError_tPvRmT1_T2_T3_mT4_P12ihipStream_tbEUlT_E0_NS1_11comp_targetILNS1_3genE8ELNS1_11target_archE1030ELNS1_3gpuE2ELNS1_3repE0EEENS1_30default_config_static_selectorELNS0_4arch9wavefront6targetE0EEEvS14_.uses_flat_scratch, 0
	.set _ZN7rocprim17ROCPRIM_400000_NS6detail17trampoline_kernelINS0_14default_configENS1_22reduce_config_selectorIN6thrust23THRUST_200600_302600_NS5tupleIblNS6_9null_typeES8_S8_S8_S8_S8_S8_S8_EEEEZNS1_11reduce_implILb1ES3_NS6_12zip_iteratorINS7_INS6_11hip_rocprim26transform_input_iterator_tIbNSD_35transform_pair_of_input_iterators_tIbNS6_6detail15normal_iteratorINS6_10device_ptrIKdEEEESL_NS6_8equal_toIdEEEENSG_9not_fun_tINSD_8identityEEEEENSD_19counting_iterator_tIlEES8_S8_S8_S8_S8_S8_S8_S8_EEEEPS9_S9_NSD_9__find_if7functorIS9_EEEE10hipError_tPvRmT1_T2_T3_mT4_P12ihipStream_tbEUlT_E0_NS1_11comp_targetILNS1_3genE8ELNS1_11target_archE1030ELNS1_3gpuE2ELNS1_3repE0EEENS1_30default_config_static_selectorELNS0_4arch9wavefront6targetE0EEEvS14_.has_dyn_sized_stack, 0
	.set _ZN7rocprim17ROCPRIM_400000_NS6detail17trampoline_kernelINS0_14default_configENS1_22reduce_config_selectorIN6thrust23THRUST_200600_302600_NS5tupleIblNS6_9null_typeES8_S8_S8_S8_S8_S8_S8_EEEEZNS1_11reduce_implILb1ES3_NS6_12zip_iteratorINS7_INS6_11hip_rocprim26transform_input_iterator_tIbNSD_35transform_pair_of_input_iterators_tIbNS6_6detail15normal_iteratorINS6_10device_ptrIKdEEEESL_NS6_8equal_toIdEEEENSG_9not_fun_tINSD_8identityEEEEENSD_19counting_iterator_tIlEES8_S8_S8_S8_S8_S8_S8_S8_EEEEPS9_S9_NSD_9__find_if7functorIS9_EEEE10hipError_tPvRmT1_T2_T3_mT4_P12ihipStream_tbEUlT_E0_NS1_11comp_targetILNS1_3genE8ELNS1_11target_archE1030ELNS1_3gpuE2ELNS1_3repE0EEENS1_30default_config_static_selectorELNS0_4arch9wavefront6targetE0EEEvS14_.has_recursion, 0
	.set _ZN7rocprim17ROCPRIM_400000_NS6detail17trampoline_kernelINS0_14default_configENS1_22reduce_config_selectorIN6thrust23THRUST_200600_302600_NS5tupleIblNS6_9null_typeES8_S8_S8_S8_S8_S8_S8_EEEEZNS1_11reduce_implILb1ES3_NS6_12zip_iteratorINS7_INS6_11hip_rocprim26transform_input_iterator_tIbNSD_35transform_pair_of_input_iterators_tIbNS6_6detail15normal_iteratorINS6_10device_ptrIKdEEEESL_NS6_8equal_toIdEEEENSG_9not_fun_tINSD_8identityEEEEENSD_19counting_iterator_tIlEES8_S8_S8_S8_S8_S8_S8_S8_EEEEPS9_S9_NSD_9__find_if7functorIS9_EEEE10hipError_tPvRmT1_T2_T3_mT4_P12ihipStream_tbEUlT_E0_NS1_11comp_targetILNS1_3genE8ELNS1_11target_archE1030ELNS1_3gpuE2ELNS1_3repE0EEENS1_30default_config_static_selectorELNS0_4arch9wavefront6targetE0EEEvS14_.has_indirect_call, 0
	.section	.AMDGPU.csdata,"",@progbits
; Kernel info:
; codeLenInByte = 0
; TotalNumSgprs: 0
; NumVgprs: 0
; ScratchSize: 0
; MemoryBound: 0
; FloatMode: 240
; IeeeMode: 1
; LDSByteSize: 0 bytes/workgroup (compile time only)
; SGPRBlocks: 0
; VGPRBlocks: 0
; NumSGPRsForWavesPerEU: 1
; NumVGPRsForWavesPerEU: 1
; NamedBarCnt: 0
; Occupancy: 16
; WaveLimiterHint : 0
; COMPUTE_PGM_RSRC2:SCRATCH_EN: 0
; COMPUTE_PGM_RSRC2:USER_SGPR: 2
; COMPUTE_PGM_RSRC2:TRAP_HANDLER: 0
; COMPUTE_PGM_RSRC2:TGID_X_EN: 1
; COMPUTE_PGM_RSRC2:TGID_Y_EN: 0
; COMPUTE_PGM_RSRC2:TGID_Z_EN: 0
; COMPUTE_PGM_RSRC2:TIDIG_COMP_CNT: 0
	.section	.text._ZN7rocprim17ROCPRIM_400000_NS6detail17trampoline_kernelINS0_14default_configENS1_22reduce_config_selectorIN6thrust23THRUST_200600_302600_NS5tupleIblNS6_9null_typeES8_S8_S8_S8_S8_S8_S8_EEEEZNS1_11reduce_implILb1ES3_NS6_12zip_iteratorINS7_INS6_11hip_rocprim26transform_input_iterator_tIbNSD_35transform_pair_of_input_iterators_tIbNS6_6detail15normal_iteratorINS6_10device_ptrIKdEEEESL_NS6_8equal_toIdEEEENSG_9not_fun_tINSD_8identityEEEEENSD_19counting_iterator_tIlEES8_S8_S8_S8_S8_S8_S8_S8_EEEEPS9_S9_NSD_9__find_if7functorIS9_EEEE10hipError_tPvRmT1_T2_T3_mT4_P12ihipStream_tbEUlT_E1_NS1_11comp_targetILNS1_3genE0ELNS1_11target_archE4294967295ELNS1_3gpuE0ELNS1_3repE0EEENS1_30default_config_static_selectorELNS0_4arch9wavefront6targetE0EEEvS14_,"axG",@progbits,_ZN7rocprim17ROCPRIM_400000_NS6detail17trampoline_kernelINS0_14default_configENS1_22reduce_config_selectorIN6thrust23THRUST_200600_302600_NS5tupleIblNS6_9null_typeES8_S8_S8_S8_S8_S8_S8_EEEEZNS1_11reduce_implILb1ES3_NS6_12zip_iteratorINS7_INS6_11hip_rocprim26transform_input_iterator_tIbNSD_35transform_pair_of_input_iterators_tIbNS6_6detail15normal_iteratorINS6_10device_ptrIKdEEEESL_NS6_8equal_toIdEEEENSG_9not_fun_tINSD_8identityEEEEENSD_19counting_iterator_tIlEES8_S8_S8_S8_S8_S8_S8_S8_EEEEPS9_S9_NSD_9__find_if7functorIS9_EEEE10hipError_tPvRmT1_T2_T3_mT4_P12ihipStream_tbEUlT_E1_NS1_11comp_targetILNS1_3genE0ELNS1_11target_archE4294967295ELNS1_3gpuE0ELNS1_3repE0EEENS1_30default_config_static_selectorELNS0_4arch9wavefront6targetE0EEEvS14_,comdat
	.protected	_ZN7rocprim17ROCPRIM_400000_NS6detail17trampoline_kernelINS0_14default_configENS1_22reduce_config_selectorIN6thrust23THRUST_200600_302600_NS5tupleIblNS6_9null_typeES8_S8_S8_S8_S8_S8_S8_EEEEZNS1_11reduce_implILb1ES3_NS6_12zip_iteratorINS7_INS6_11hip_rocprim26transform_input_iterator_tIbNSD_35transform_pair_of_input_iterators_tIbNS6_6detail15normal_iteratorINS6_10device_ptrIKdEEEESL_NS6_8equal_toIdEEEENSG_9not_fun_tINSD_8identityEEEEENSD_19counting_iterator_tIlEES8_S8_S8_S8_S8_S8_S8_S8_EEEEPS9_S9_NSD_9__find_if7functorIS9_EEEE10hipError_tPvRmT1_T2_T3_mT4_P12ihipStream_tbEUlT_E1_NS1_11comp_targetILNS1_3genE0ELNS1_11target_archE4294967295ELNS1_3gpuE0ELNS1_3repE0EEENS1_30default_config_static_selectorELNS0_4arch9wavefront6targetE0EEEvS14_ ; -- Begin function _ZN7rocprim17ROCPRIM_400000_NS6detail17trampoline_kernelINS0_14default_configENS1_22reduce_config_selectorIN6thrust23THRUST_200600_302600_NS5tupleIblNS6_9null_typeES8_S8_S8_S8_S8_S8_S8_EEEEZNS1_11reduce_implILb1ES3_NS6_12zip_iteratorINS7_INS6_11hip_rocprim26transform_input_iterator_tIbNSD_35transform_pair_of_input_iterators_tIbNS6_6detail15normal_iteratorINS6_10device_ptrIKdEEEESL_NS6_8equal_toIdEEEENSG_9not_fun_tINSD_8identityEEEEENSD_19counting_iterator_tIlEES8_S8_S8_S8_S8_S8_S8_S8_EEEEPS9_S9_NSD_9__find_if7functorIS9_EEEE10hipError_tPvRmT1_T2_T3_mT4_P12ihipStream_tbEUlT_E1_NS1_11comp_targetILNS1_3genE0ELNS1_11target_archE4294967295ELNS1_3gpuE0ELNS1_3repE0EEENS1_30default_config_static_selectorELNS0_4arch9wavefront6targetE0EEEvS14_
	.globl	_ZN7rocprim17ROCPRIM_400000_NS6detail17trampoline_kernelINS0_14default_configENS1_22reduce_config_selectorIN6thrust23THRUST_200600_302600_NS5tupleIblNS6_9null_typeES8_S8_S8_S8_S8_S8_S8_EEEEZNS1_11reduce_implILb1ES3_NS6_12zip_iteratorINS7_INS6_11hip_rocprim26transform_input_iterator_tIbNSD_35transform_pair_of_input_iterators_tIbNS6_6detail15normal_iteratorINS6_10device_ptrIKdEEEESL_NS6_8equal_toIdEEEENSG_9not_fun_tINSD_8identityEEEEENSD_19counting_iterator_tIlEES8_S8_S8_S8_S8_S8_S8_S8_EEEEPS9_S9_NSD_9__find_if7functorIS9_EEEE10hipError_tPvRmT1_T2_T3_mT4_P12ihipStream_tbEUlT_E1_NS1_11comp_targetILNS1_3genE0ELNS1_11target_archE4294967295ELNS1_3gpuE0ELNS1_3repE0EEENS1_30default_config_static_selectorELNS0_4arch9wavefront6targetE0EEEvS14_
	.p2align	8
	.type	_ZN7rocprim17ROCPRIM_400000_NS6detail17trampoline_kernelINS0_14default_configENS1_22reduce_config_selectorIN6thrust23THRUST_200600_302600_NS5tupleIblNS6_9null_typeES8_S8_S8_S8_S8_S8_S8_EEEEZNS1_11reduce_implILb1ES3_NS6_12zip_iteratorINS7_INS6_11hip_rocprim26transform_input_iterator_tIbNSD_35transform_pair_of_input_iterators_tIbNS6_6detail15normal_iteratorINS6_10device_ptrIKdEEEESL_NS6_8equal_toIdEEEENSG_9not_fun_tINSD_8identityEEEEENSD_19counting_iterator_tIlEES8_S8_S8_S8_S8_S8_S8_S8_EEEEPS9_S9_NSD_9__find_if7functorIS9_EEEE10hipError_tPvRmT1_T2_T3_mT4_P12ihipStream_tbEUlT_E1_NS1_11comp_targetILNS1_3genE0ELNS1_11target_archE4294967295ELNS1_3gpuE0ELNS1_3repE0EEENS1_30default_config_static_selectorELNS0_4arch9wavefront6targetE0EEEvS14_,@function
_ZN7rocprim17ROCPRIM_400000_NS6detail17trampoline_kernelINS0_14default_configENS1_22reduce_config_selectorIN6thrust23THRUST_200600_302600_NS5tupleIblNS6_9null_typeES8_S8_S8_S8_S8_S8_S8_EEEEZNS1_11reduce_implILb1ES3_NS6_12zip_iteratorINS7_INS6_11hip_rocprim26transform_input_iterator_tIbNSD_35transform_pair_of_input_iterators_tIbNS6_6detail15normal_iteratorINS6_10device_ptrIKdEEEESL_NS6_8equal_toIdEEEENSG_9not_fun_tINSD_8identityEEEEENSD_19counting_iterator_tIlEES8_S8_S8_S8_S8_S8_S8_S8_EEEEPS9_S9_NSD_9__find_if7functorIS9_EEEE10hipError_tPvRmT1_T2_T3_mT4_P12ihipStream_tbEUlT_E1_NS1_11comp_targetILNS1_3genE0ELNS1_11target_archE4294967295ELNS1_3gpuE0ELNS1_3repE0EEENS1_30default_config_static_selectorELNS0_4arch9wavefront6targetE0EEEvS14_: ; @_ZN7rocprim17ROCPRIM_400000_NS6detail17trampoline_kernelINS0_14default_configENS1_22reduce_config_selectorIN6thrust23THRUST_200600_302600_NS5tupleIblNS6_9null_typeES8_S8_S8_S8_S8_S8_S8_EEEEZNS1_11reduce_implILb1ES3_NS6_12zip_iteratorINS7_INS6_11hip_rocprim26transform_input_iterator_tIbNSD_35transform_pair_of_input_iterators_tIbNS6_6detail15normal_iteratorINS6_10device_ptrIKdEEEESL_NS6_8equal_toIdEEEENSG_9not_fun_tINSD_8identityEEEEENSD_19counting_iterator_tIlEES8_S8_S8_S8_S8_S8_S8_S8_EEEEPS9_S9_NSD_9__find_if7functorIS9_EEEE10hipError_tPvRmT1_T2_T3_mT4_P12ihipStream_tbEUlT_E1_NS1_11comp_targetILNS1_3genE0ELNS1_11target_archE4294967295ELNS1_3gpuE0ELNS1_3repE0EEENS1_30default_config_static_selectorELNS0_4arch9wavefront6targetE0EEEvS14_
; %bb.0:
	s_clause 0x2
	s_load_b32 s26, s[0:1], 0x4
	s_load_b128 s[16:19], s[0:1], 0x8
	s_load_b128 s[12:15], s[0:1], 0x28
	s_wait_kmcnt 0x0
	s_cmp_lt_i32 s26, 4
	s_cbranch_scc1 .LBB46_14
; %bb.1:
	s_cmp_gt_i32 s26, 7
	s_cbranch_scc0 .LBB46_15
; %bb.2:
	s_cmp_eq_u32 s26, 8
	s_mov_b32 s27, 0
	s_cbranch_scc0 .LBB46_16
; %bb.3:
	s_bfe_u32 s2, ttmp6, 0x4000c
	s_and_b32 s3, ttmp6, 15
	s_add_co_i32 s2, s2, 1
	s_getreg_b32 s4, hwreg(HW_REG_IB_STS2, 6, 4)
	s_mul_i32 s2, ttmp9, s2
	s_mov_b32 s11, 0
	s_add_co_i32 s3, s3, s2
	s_cmp_eq_u32 s4, 0
	s_mov_b32 s25, s11
	s_cselect_b32 s10, ttmp9, s3
	s_lshr_b64 s[2:3], s[14:15], 10
	s_lshl_b32 s24, s10, 10
	s_delay_alu instid0(SALU_CYCLE_1)
	s_lshl_b64 s[4:5], s[24:25], 3
	s_cmp_lg_u64 s[2:3], s[10:11]
	s_add_nc_u64 s[8:9], s[16:17], s[4:5]
	s_add_nc_u64 s[22:23], s[18:19], s[4:5]
	s_add_nc_u64 s[20:21], s[12:13], s[24:25]
	s_cbranch_scc0 .LBB46_29
; %bb.4:
	s_clause 0xf
	global_load_b64 v[2:3], v0, s[22:23] offset:1024 scale_offset
	global_load_b64 v[4:5], v0, s[8:9] offset:1024 scale_offset
	global_load_b64 v[6:7], v0, s[8:9] scale_offset
	global_load_b64 v[8:9], v0, s[22:23] scale_offset
	global_load_b64 v[10:11], v0, s[22:23] offset:2048 scale_offset
	global_load_b64 v[12:13], v0, s[8:9] offset:2048 scale_offset
	;; [unrolled: 1-line block ×12, first 2 shown]
	s_wait_loadcnt 0xe
	v_cmp_neq_f64_e32 vcc_lo, v[4:5], v[2:3]
	v_mov_b32_e32 v2, 0x180
	s_wait_loadcnt 0xc
	v_cmp_neq_f64_e64 s2, v[6:7], v[8:9]
	s_wait_loadcnt 0xa
	v_cmp_neq_f64_e64 s3, v[12:13], v[10:11]
	;; [unrolled: 2-line block ×6, first 2 shown]
	s_delay_alu instid0(VALU_DEP_4) | instskip(SKIP_1) | instid1(VALU_DEP_1)
	v_cndmask_b32_e64 v2, 0x200, v2, s4
	v_mov_b32_e32 v3, 0x280
	v_cndmask_b32_e64 v3, 0x300, v3, s6
	v_mov_b32_e32 v1, 0x80
	s_delay_alu instid0(VALU_DEP_1) | instskip(NEXT) | instid1(VALU_DEP_1)
	v_cndmask_b32_e32 v1, 0x100, v1, vcc_lo
	v_cndmask_b32_e64 v1, v1, 0, s2
	s_or_b32 s2, s2, vcc_lo
	s_delay_alu instid0(SALU_CYCLE_1) | instskip(NEXT) | instid1(VALU_DEP_1)
	s_or_b32 vcc_lo, s2, s3
	v_cndmask_b32_e32 v2, v2, v1, vcc_lo
	s_or_b32 s2, vcc_lo, s4
	v_mov_b32_e32 v1, 0
	s_or_b32 vcc_lo, s2, s5
	s_delay_alu instid0(VALU_DEP_2) | instskip(SKIP_1) | instid1(VALU_DEP_2)
	v_cndmask_b32_e32 v4, v3, v2, vcc_lo
	s_or_b32 s2, vcc_lo, s6
	v_add_nc_u64_e32 v[2:3], s[20:21], v[0:1]
	s_or_b32 vcc_lo, s2, s7
	s_delay_alu instid0(VALU_DEP_2) | instskip(SKIP_2) | instid1(VALU_DEP_2)
	v_dual_mov_b32 v5, v1 :: v_dual_cndmask_b32 v4, 0x380, v4
	s_wait_loadcnt 0x0
	v_cmp_neq_f64_e64 s2, v[30:31], v[32:33]
	v_add_nc_u64_e32 v[2:3], v[2:3], v[4:5]
	s_delay_alu instid0(VALU_DEP_1) | instskip(NEXT) | instid1(VALU_DEP_2)
	v_mov_b32_dpp v4, v2 quad_perm:[1,0,3,2] row_mask:0xf bank_mask:0xf
	v_mov_b32_dpp v5, v3 quad_perm:[1,0,3,2] row_mask:0xf bank_mask:0xf
	s_delay_alu instid0(VALU_DEP_1) | instskip(SKIP_3) | instid1(VALU_DEP_1)
	v_min_i64 v[6:7], v[2:3], v[4:5]
	s_or_b32 vcc_lo, vcc_lo, s2
	s_mov_b32 s2, exec_lo
	v_cndmask_b32_e64 v8, 0, 1, vcc_lo
	v_mov_b32_dpp v9, v8 quad_perm:[1,0,3,2] row_mask:0xf bank_mask:0xf
	s_delay_alu instid0(VALU_DEP_1) | instskip(NEXT) | instid1(VALU_DEP_4)
	v_dual_cndmask_b32 v4, v4, v6, vcc_lo :: v_dual_bitop2_b32 v9, 1, v9 bitop3:0x40
	v_cndmask_b32_e32 v5, v5, v7, vcc_lo
	s_delay_alu instid0(VALU_DEP_2) | instskip(NEXT) | instid1(VALU_DEP_3)
	v_cmp_eq_u32_e32 vcc_lo, 1, v9
	v_cndmask_b32_e32 v2, v2, v4, vcc_lo
	v_cndmask_b32_e64 v8, v8, 1, vcc_lo
	s_delay_alu instid0(VALU_DEP_4) | instskip(NEXT) | instid1(VALU_DEP_3)
	v_cndmask_b32_e32 v3, v3, v5, vcc_lo
	v_mov_b32_dpp v4, v2 quad_perm:[2,3,0,1] row_mask:0xf bank_mask:0xf
	s_delay_alu instid0(VALU_DEP_3) | instskip(NEXT) | instid1(VALU_DEP_3)
	v_and_b32_e32 v9, 1, v8
	v_mov_b32_dpp v5, v3 quad_perm:[2,3,0,1] row_mask:0xf bank_mask:0xf
	v_mov_b32_dpp v10, v8 quad_perm:[2,3,0,1] row_mask:0xf bank_mask:0xf
	s_delay_alu instid0(VALU_DEP_3) | instskip(NEXT) | instid1(VALU_DEP_3)
	v_cmp_eq_u32_e32 vcc_lo, 1, v9
	v_min_i64 v[6:7], v[2:3], v[4:5]
	s_delay_alu instid0(VALU_DEP_1) | instskip(NEXT) | instid1(VALU_DEP_2)
	v_dual_cndmask_b32 v5, v5, v7, vcc_lo :: v_dual_bitop2_b32 v9, 1, v10 bitop3:0x40
	v_cndmask_b32_e32 v4, v4, v6, vcc_lo
	s_delay_alu instid0(VALU_DEP_2) | instskip(SKIP_1) | instid1(VALU_DEP_1)
	v_cmp_eq_u32_e32 vcc_lo, 1, v9
	v_cndmask_b32_e64 v8, v8, 1, vcc_lo
	v_dual_cndmask_b32 v3, v3, v5, vcc_lo :: v_dual_bitop2_b32 v9, 1, v8 bitop3:0x40
	v_mov_b32_dpp v10, v8 row_ror:4 row_mask:0xf bank_mask:0xf
	v_cndmask_b32_e32 v2, v2, v4, vcc_lo
	s_delay_alu instid0(VALU_DEP_3) | instskip(NEXT) | instid1(VALU_DEP_4)
	v_mov_b32_dpp v5, v3 row_ror:4 row_mask:0xf bank_mask:0xf
	v_cmp_eq_u32_e32 vcc_lo, 1, v9
	s_delay_alu instid0(VALU_DEP_4) | instskip(NEXT) | instid1(VALU_DEP_4)
	v_and_b32_e32 v9, 1, v10
	v_mov_b32_dpp v4, v2 row_ror:4 row_mask:0xf bank_mask:0xf
	s_delay_alu instid0(VALU_DEP_1) | instskip(NEXT) | instid1(VALU_DEP_1)
	v_min_i64 v[6:7], v[2:3], v[4:5]
	v_dual_cndmask_b32 v4, v4, v6 :: v_dual_cndmask_b32 v5, v5, v7
	s_delay_alu instid0(VALU_DEP_4) | instskip(NEXT) | instid1(VALU_DEP_2)
	v_cmp_eq_u32_e32 vcc_lo, 1, v9
	v_cndmask_b32_e32 v2, v2, v4, vcc_lo
	v_cndmask_b32_e64 v8, v8, 1, vcc_lo
	s_delay_alu instid0(VALU_DEP_4) | instskip(NEXT) | instid1(VALU_DEP_3)
	v_cndmask_b32_e32 v3, v3, v5, vcc_lo
	v_mov_b32_dpp v4, v2 row_ror:8 row_mask:0xf bank_mask:0xf
	s_delay_alu instid0(VALU_DEP_3) | instskip(NEXT) | instid1(VALU_DEP_3)
	v_and_b32_e32 v9, 1, v8
	v_mov_b32_dpp v5, v3 row_ror:8 row_mask:0xf bank_mask:0xf
	v_mov_b32_dpp v10, v8 row_ror:8 row_mask:0xf bank_mask:0xf
	s_delay_alu instid0(VALU_DEP_3) | instskip(NEXT) | instid1(VALU_DEP_3)
	v_cmp_eq_u32_e32 vcc_lo, 1, v9
	v_min_i64 v[6:7], v[2:3], v[4:5]
	s_delay_alu instid0(VALU_DEP_1) | instskip(NEXT) | instid1(VALU_DEP_2)
	v_dual_cndmask_b32 v5, v5, v7, vcc_lo :: v_dual_bitop2_b32 v9, 1, v10 bitop3:0x40
	v_cndmask_b32_e32 v4, v4, v6, vcc_lo
	s_delay_alu instid0(VALU_DEP_2) | instskip(SKIP_1) | instid1(VALU_DEP_4)
	v_cmp_eq_u32_e32 vcc_lo, 1, v9
	v_cndmask_b32_e64 v8, v8, 1, vcc_lo
	v_cndmask_b32_e32 v3, v3, v5, vcc_lo
	ds_swizzle_b32 v9, v8 offset:swizzle(BROADCAST,32,15)
	v_cndmask_b32_e32 v2, v2, v4, vcc_lo
	ds_swizzle_b32 v5, v3 offset:swizzle(BROADCAST,32,15)
	s_wait_dscnt 0x1
	v_and_b32_e32 v9, 1, v9
	ds_swizzle_b32 v4, v2 offset:swizzle(BROADCAST,32,15)
	s_wait_dscnt 0x0
	v_min_i64 v[6:7], v[2:3], v[4:5]
	v_and_b32_e32 v10, 1, v8
	s_delay_alu instid0(VALU_DEP_1) | instskip(NEXT) | instid1(VALU_DEP_3)
	v_cmp_eq_u32_e32 vcc_lo, 1, v10
	v_dual_cndmask_b32 v4, v4, v6 :: v_dual_cndmask_b32 v5, v5, v7
	v_cmp_eq_u32_e32 vcc_lo, 1, v9
	s_delay_alu instid0(VALU_DEP_2)
	v_dual_cndmask_b32 v2, v2, v4 :: v_dual_cndmask_b32 v3, v3, v5
	v_cndmask_b32_e64 v5, v8, 1, vcc_lo
	ds_bpermute_b32 v2, v1, v2 offset:124
	ds_bpermute_b32 v3, v1, v3 offset:124
	;; [unrolled: 1-line block ×3, first 2 shown]
	v_mbcnt_lo_u32_b32 v1, -1, 0
	s_delay_alu instid0(VALU_DEP_1)
	v_cmpx_eq_u32_e32 0, v1
	s_cbranch_execz .LBB46_6
; %bb.5:
	v_lshrrev_b32_e32 v4, 1, v0
	s_delay_alu instid0(VALU_DEP_1)
	v_and_b32_e32 v4, 48, v4
	s_wait_dscnt 0x0
	ds_store_b8 v4, v20 offset:192
	ds_store_b64 v4, v[2:3] offset:200
.LBB46_6:
	s_or_b32 exec_lo, exec_lo, s2
	s_delay_alu instid0(SALU_CYCLE_1)
	s_mov_b32 s2, exec_lo
	s_wait_dscnt 0x0
	s_barrier_signal -1
	s_barrier_wait -1
	v_cmpx_gt_u32_e32 32, v0
	s_cbranch_execz .LBB46_12
; %bb.7:
	v_and_b32_e32 v2, 3, v1
	s_delay_alu instid0(VALU_DEP_1) | instskip(SKIP_2) | instid1(VALU_DEP_1)
	v_cmp_ne_u32_e32 vcc_lo, 3, v2
	v_lshlrev_b32_e32 v3, 4, v2
	v_add_co_ci_u32_e64 v2, null, 0, v1, vcc_lo
	v_lshlrev_b32_e32 v2, 2, v2
	ds_load_u8 v8, v3 offset:192
	ds_load_b64 v[4:5], v3 offset:200
	s_wait_dscnt 0x1
	v_and_b32_e32 v3, 0xff, v8
	s_wait_dscnt 0x0
	ds_bpermute_b32 v6, v2, v4
	ds_bpermute_b32 v7, v2, v5
	;; [unrolled: 1-line block ×3, first 2 shown]
	s_wait_dscnt 0x0
	v_and_b32_e32 v2, v8, v9
	s_delay_alu instid0(VALU_DEP_1) | instskip(NEXT) | instid1(VALU_DEP_1)
	v_and_b32_e32 v2, 1, v2
	v_cmp_eq_u32_e32 vcc_lo, 1, v2
                                        ; implicit-def: $vgpr2_vgpr3
	s_and_saveexec_b32 s3, vcc_lo
	s_delay_alu instid0(SALU_CYCLE_1)
	s_xor_b32 s3, exec_lo, s3
; %bb.8:
	v_min_i64 v[2:3], v[6:7], v[4:5]
                                        ; implicit-def: $vgpr8
                                        ; implicit-def: $vgpr6_vgpr7
                                        ; implicit-def: $vgpr4_vgpr5
                                        ; implicit-def: $vgpr9
; %bb.9:
	s_or_saveexec_b32 s3, s3
	v_dual_mov_b32 v10, 1 :: v_dual_lshlrev_b32 v1, 2, v1
	s_xor_b32 exec_lo, exec_lo, s3
; %bb.10:
	v_and_b32_e32 v2, 1, v8
	v_and_b32_e32 v8, 0xff, v9
	s_delay_alu instid0(VALU_DEP_2) | instskip(SKIP_1) | instid1(VALU_DEP_3)
	v_cmp_eq_u32_e32 vcc_lo, 1, v2
	v_dual_cndmask_b32 v3, v7, v5 :: v_dual_cndmask_b32 v2, v6, v4
	v_cndmask_b32_e64 v10, v8, 1, vcc_lo
; %bb.11:
	s_or_b32 exec_lo, exec_lo, s3
	s_delay_alu instid0(VALU_DEP_1) | instskip(NEXT) | instid1(VALU_DEP_1)
	v_and_b32_e32 v8, 1, v10
	v_cmp_eq_u32_e32 vcc_lo, 1, v8
	v_or_b32_e32 v1, 8, v1
	ds_bpermute_b32 v4, v1, v2
	ds_bpermute_b32 v5, v1, v3
	s_wait_dscnt 0x0
	v_min_i64 v[6:7], v[4:5], v[2:3]
	v_cndmask_b32_e32 v2, v4, v2, vcc_lo
	ds_bpermute_b32 v1, v1, v10
	v_cndmask_b32_e32 v3, v5, v3, vcc_lo
	s_wait_dscnt 0x0
	v_bitop3_b32 v8, v10, 1, v1 bitop3:0x80
	v_cndmask_b32_e64 v1, v1, 1, vcc_lo
	s_delay_alu instid0(VALU_DEP_2) | instskip(NEXT) | instid1(VALU_DEP_2)
	v_cmp_eq_u32_e32 vcc_lo, 0, v8
	v_dual_cndmask_b32 v20, 1, v1 :: v_dual_cndmask_b32 v3, v7, v3
	v_cndmask_b32_e32 v2, v6, v2, vcc_lo
.LBB46_12:
	s_or_b32 exec_lo, exec_lo, s2
.LBB46_13:
	v_cmp_eq_u32_e64 s2, 0, v0
	s_and_b32 vcc_lo, exec_lo, s27
	s_cbranch_vccnz .LBB46_17
	s_branch .LBB46_118
.LBB46_14:
	s_mov_b32 s2, 0
                                        ; implicit-def: $sgpr10_sgpr11
                                        ; implicit-def: $vgpr2_vgpr3
                                        ; implicit-def: $vgpr20
	s_cbranch_execnz .LBB46_155
	s_branch .LBB46_211
.LBB46_15:
	s_mov_b32 s27, -1
.LBB46_16:
	s_mov_b32 s2, 0
                                        ; implicit-def: $sgpr10_sgpr11
                                        ; implicit-def: $vgpr2_vgpr3
                                        ; implicit-def: $vgpr20
	s_and_b32 vcc_lo, exec_lo, s27
	s_cbranch_vccz .LBB46_118
.LBB46_17:
	s_cmp_eq_u32 s26, 4
	s_cbranch_scc0 .LBB46_28
; %bb.18:
	s_bfe_u32 s2, ttmp6, 0x4000c
	s_and_b32 s3, ttmp6, 15
	s_add_co_i32 s2, s2, 1
	s_getreg_b32 s4, hwreg(HW_REG_IB_STS2, 6, 4)
	s_mul_i32 s2, ttmp9, s2
	s_mov_b32 s11, 0
	s_add_co_i32 s3, s3, s2
	s_cmp_eq_u32 s4, 0
	s_mov_b32 s21, s11
	s_cselect_b32 s10, ttmp9, s3
	s_lshr_b64 s[2:3], s[14:15], 9
	s_lshl_b32 s20, s10, 9
	s_delay_alu instid0(SALU_CYCLE_1)
	s_lshl_b64 s[4:5], s[20:21], 3
	s_cmp_lg_u64 s[2:3], s[10:11]
	s_add_nc_u64 s[6:7], s[16:17], s[4:5]
	s_add_nc_u64 s[8:9], s[18:19], s[4:5]
	;; [unrolled: 1-line block ×3, first 2 shown]
	s_cbranch_scc0 .LBB46_52
; %bb.19:
	global_load_b64 v[2:3], v0, s[8:9] offset:1024 scale_offset
	s_wait_dscnt 0x0
	s_clause 0x6
	global_load_b64 v[4:5], v0, s[6:7] offset:1024 scale_offset
	global_load_b64 v[6:7], v0, s[6:7] scale_offset
	global_load_b64 v[8:9], v0, s[8:9] scale_offset
	global_load_b64 v[10:11], v0, s[8:9] offset:2048 scale_offset
	global_load_b64 v[12:13], v0, s[6:7] offset:2048 scale_offset
	;; [unrolled: 1-line block ×4, first 2 shown]
	v_mov_b32_e32 v1, 0x80
	s_wait_loadcnt 0x6
	v_cmp_neq_f64_e32 vcc_lo, v[4:5], v[2:3]
	s_wait_loadcnt 0x4
	v_cmp_neq_f64_e64 s2, v[6:7], v[8:9]
	s_wait_loadcnt 0x2
	v_cmp_neq_f64_e64 s3, v[12:13], v[10:11]
	v_dual_cndmask_b32 v2, 0x100, v1 :: v_dual_mov_b32 v1, 0
	s_delay_alu instid0(VALU_DEP_1) | instskip(SKIP_1) | instid1(VALU_DEP_2)
	v_cndmask_b32_e64 v4, v2, 0, s2
	s_or_b32 s2, s2, vcc_lo
	v_add_nc_u64_e32 v[2:3], s[4:5], v[0:1]
	s_or_b32 vcc_lo, s2, s3
	s_delay_alu instid0(VALU_DEP_2) | instskip(SKIP_2) | instid1(VALU_DEP_2)
	v_dual_mov_b32 v5, v1 :: v_dual_cndmask_b32 v4, 0x180, v4
	s_wait_loadcnt 0x0
	v_cmp_neq_f64_e64 s2, v[14:15], v[16:17]
	v_add_nc_u64_e32 v[2:3], v[2:3], v[4:5]
	s_delay_alu instid0(VALU_DEP_1) | instskip(NEXT) | instid1(VALU_DEP_2)
	v_mov_b32_dpp v4, v2 quad_perm:[1,0,3,2] row_mask:0xf bank_mask:0xf
	v_mov_b32_dpp v5, v3 quad_perm:[1,0,3,2] row_mask:0xf bank_mask:0xf
	s_delay_alu instid0(VALU_DEP_1) | instskip(SKIP_3) | instid1(VALU_DEP_1)
	v_min_i64 v[6:7], v[2:3], v[4:5]
	s_or_b32 vcc_lo, vcc_lo, s2
	s_mov_b32 s2, exec_lo
	v_cndmask_b32_e64 v8, 0, 1, vcc_lo
	v_mov_b32_dpp v9, v8 quad_perm:[1,0,3,2] row_mask:0xf bank_mask:0xf
	s_delay_alu instid0(VALU_DEP_1) | instskip(NEXT) | instid1(VALU_DEP_4)
	v_dual_cndmask_b32 v5, v5, v7, vcc_lo :: v_dual_bitop2_b32 v9, 1, v9 bitop3:0x40
	v_cndmask_b32_e32 v4, v4, v6, vcc_lo
	s_delay_alu instid0(VALU_DEP_2) | instskip(NEXT) | instid1(VALU_DEP_2)
	v_cmp_eq_u32_e32 vcc_lo, 1, v9
	v_dual_cndmask_b32 v3, v3, v5 :: v_dual_cndmask_b32 v2, v2, v4
	v_cndmask_b32_e64 v8, v8, 1, vcc_lo
	s_delay_alu instid0(VALU_DEP_2) | instskip(NEXT) | instid1(VALU_DEP_3)
	v_mov_b32_dpp v5, v3 quad_perm:[2,3,0,1] row_mask:0xf bank_mask:0xf
	v_mov_b32_dpp v4, v2 quad_perm:[2,3,0,1] row_mask:0xf bank_mask:0xf
	s_delay_alu instid0(VALU_DEP_3) | instskip(NEXT) | instid1(VALU_DEP_2)
	v_mov_b32_dpp v10, v8 quad_perm:[2,3,0,1] row_mask:0xf bank_mask:0xf
	v_min_i64 v[6:7], v[2:3], v[4:5]
	v_and_b32_e32 v9, 1, v8
	s_delay_alu instid0(VALU_DEP_1) | instskip(NEXT) | instid1(VALU_DEP_3)
	v_cmp_eq_u32_e32 vcc_lo, 1, v9
	v_dual_cndmask_b32 v5, v5, v7, vcc_lo :: v_dual_bitop2_b32 v9, 1, v10 bitop3:0x40
	s_delay_alu instid0(VALU_DEP_4) | instskip(NEXT) | instid1(VALU_DEP_2)
	v_cndmask_b32_e32 v4, v4, v6, vcc_lo
	v_cmp_eq_u32_e32 vcc_lo, 1, v9
	s_delay_alu instid0(VALU_DEP_2) | instskip(SKIP_1) | instid1(VALU_DEP_2)
	v_dual_cndmask_b32 v3, v3, v5 :: v_dual_cndmask_b32 v2, v2, v4
	v_cndmask_b32_e64 v8, v8, 1, vcc_lo
	v_mov_b32_dpp v5, v3 row_ror:4 row_mask:0xf bank_mask:0xf
	s_delay_alu instid0(VALU_DEP_3) | instskip(NEXT) | instid1(VALU_DEP_3)
	v_mov_b32_dpp v4, v2 row_ror:4 row_mask:0xf bank_mask:0xf
	v_mov_b32_dpp v10, v8 row_ror:4 row_mask:0xf bank_mask:0xf
	s_delay_alu instid0(VALU_DEP_2) | instskip(SKIP_1) | instid1(VALU_DEP_1)
	v_min_i64 v[6:7], v[2:3], v[4:5]
	v_and_b32_e32 v9, 1, v8
	v_cmp_eq_u32_e32 vcc_lo, 1, v9
	s_delay_alu instid0(VALU_DEP_3) | instskip(NEXT) | instid1(VALU_DEP_4)
	v_dual_cndmask_b32 v5, v5, v7, vcc_lo :: v_dual_bitop2_b32 v9, 1, v10 bitop3:0x40
	v_cndmask_b32_e32 v4, v4, v6, vcc_lo
	s_delay_alu instid0(VALU_DEP_2) | instskip(NEXT) | instid1(VALU_DEP_2)
	v_cmp_eq_u32_e32 vcc_lo, 1, v9
	v_dual_cndmask_b32 v3, v3, v5 :: v_dual_cndmask_b32 v2, v2, v4
	v_cndmask_b32_e64 v8, v8, 1, vcc_lo
	s_delay_alu instid0(VALU_DEP_2) | instskip(NEXT) | instid1(VALU_DEP_3)
	v_mov_b32_dpp v5, v3 row_ror:8 row_mask:0xf bank_mask:0xf
	v_mov_b32_dpp v4, v2 row_ror:8 row_mask:0xf bank_mask:0xf
	s_delay_alu instid0(VALU_DEP_3) | instskip(NEXT) | instid1(VALU_DEP_2)
	v_mov_b32_dpp v10, v8 row_ror:8 row_mask:0xf bank_mask:0xf
	v_min_i64 v[6:7], v[2:3], v[4:5]
	v_and_b32_e32 v9, 1, v8
	s_delay_alu instid0(VALU_DEP_1) | instskip(NEXT) | instid1(VALU_DEP_3)
	v_cmp_eq_u32_e32 vcc_lo, 1, v9
	v_dual_cndmask_b32 v5, v5, v7, vcc_lo :: v_dual_bitop2_b32 v9, 1, v10 bitop3:0x40
	s_delay_alu instid0(VALU_DEP_4) | instskip(NEXT) | instid1(VALU_DEP_2)
	v_cndmask_b32_e32 v4, v4, v6, vcc_lo
	v_cmp_eq_u32_e32 vcc_lo, 1, v9
	s_delay_alu instid0(VALU_DEP_2)
	v_dual_cndmask_b32 v3, v3, v5 :: v_dual_cndmask_b32 v2, v2, v4
	v_cndmask_b32_e64 v8, v8, 1, vcc_lo
	ds_swizzle_b32 v5, v3 offset:swizzle(BROADCAST,32,15)
	ds_swizzle_b32 v4, v2 offset:swizzle(BROADCAST,32,15)
	;; [unrolled: 1-line block ×3, first 2 shown]
	s_wait_dscnt 0x1
	v_min_i64 v[6:7], v[2:3], v[4:5]
	v_and_b32_e32 v10, 1, v8
	s_delay_alu instid0(VALU_DEP_1) | instskip(SKIP_1) | instid1(VALU_DEP_3)
	v_cmp_eq_u32_e32 vcc_lo, 1, v10
	s_wait_dscnt 0x0
	v_dual_cndmask_b32 v5, v5, v7, vcc_lo :: v_dual_bitop2_b32 v9, 1, v9 bitop3:0x40
	s_delay_alu instid0(VALU_DEP_4) | instskip(NEXT) | instid1(VALU_DEP_2)
	v_cndmask_b32_e32 v4, v4, v6, vcc_lo
	v_cmp_eq_u32_e32 vcc_lo, 1, v9
	s_delay_alu instid0(VALU_DEP_2)
	v_dual_cndmask_b32 v3, v3, v5 :: v_dual_cndmask_b32 v2, v2, v4
	v_cndmask_b32_e64 v5, v8, 1, vcc_lo
	ds_bpermute_b32 v3, v1, v3 offset:124
	ds_bpermute_b32 v2, v1, v2 offset:124
	;; [unrolled: 1-line block ×3, first 2 shown]
	v_mbcnt_lo_u32_b32 v1, -1, 0
	s_delay_alu instid0(VALU_DEP_1)
	v_cmpx_eq_u32_e32 0, v1
	s_cbranch_execz .LBB46_21
; %bb.20:
	v_lshrrev_b32_e32 v4, 1, v0
	s_delay_alu instid0(VALU_DEP_1)
	v_and_b32_e32 v4, 48, v4
	s_wait_dscnt 0x0
	ds_store_b8 v4, v20 offset:128
	ds_store_b64 v4, v[2:3] offset:136
.LBB46_21:
	s_or_b32 exec_lo, exec_lo, s2
	s_delay_alu instid0(SALU_CYCLE_1)
	s_mov_b32 s2, exec_lo
	s_wait_dscnt 0x0
	s_barrier_signal -1
	s_barrier_wait -1
	v_cmpx_gt_u32_e32 32, v0
	s_cbranch_execz .LBB46_27
; %bb.22:
	v_and_b32_e32 v2, 3, v1
	s_delay_alu instid0(VALU_DEP_1) | instskip(SKIP_2) | instid1(VALU_DEP_1)
	v_cmp_ne_u32_e32 vcc_lo, 3, v2
	v_lshlrev_b32_e32 v3, 4, v2
	v_add_co_ci_u32_e64 v2, null, 0, v1, vcc_lo
	v_lshlrev_b32_e32 v2, 2, v2
	ds_load_u8 v8, v3 offset:128
	ds_load_b64 v[4:5], v3 offset:136
	s_wait_dscnt 0x1
	v_and_b32_e32 v3, 0xff, v8
	s_wait_dscnt 0x0
	ds_bpermute_b32 v6, v2, v4
	ds_bpermute_b32 v7, v2, v5
	;; [unrolled: 1-line block ×3, first 2 shown]
	s_wait_dscnt 0x0
	v_and_b32_e32 v2, v8, v9
	s_delay_alu instid0(VALU_DEP_1) | instskip(NEXT) | instid1(VALU_DEP_1)
	v_and_b32_e32 v2, 1, v2
	v_cmp_eq_u32_e32 vcc_lo, 1, v2
                                        ; implicit-def: $vgpr2_vgpr3
	s_and_saveexec_b32 s3, vcc_lo
	s_delay_alu instid0(SALU_CYCLE_1)
	s_xor_b32 s3, exec_lo, s3
; %bb.23:
	v_min_i64 v[2:3], v[6:7], v[4:5]
                                        ; implicit-def: $vgpr8
                                        ; implicit-def: $vgpr6_vgpr7
                                        ; implicit-def: $vgpr4_vgpr5
                                        ; implicit-def: $vgpr9
; %bb.24:
	s_or_saveexec_b32 s3, s3
	v_dual_mov_b32 v10, 1 :: v_dual_lshlrev_b32 v1, 2, v1
	s_xor_b32 exec_lo, exec_lo, s3
; %bb.25:
	v_and_b32_e32 v2, 1, v8
	v_and_b32_e32 v8, 0xff, v9
	s_delay_alu instid0(VALU_DEP_2) | instskip(SKIP_1) | instid1(VALU_DEP_3)
	v_cmp_eq_u32_e32 vcc_lo, 1, v2
	v_dual_cndmask_b32 v3, v7, v5 :: v_dual_cndmask_b32 v2, v6, v4
	v_cndmask_b32_e64 v10, v8, 1, vcc_lo
; %bb.26:
	s_or_b32 exec_lo, exec_lo, s3
	s_delay_alu instid0(VALU_DEP_1) | instskip(NEXT) | instid1(VALU_DEP_1)
	v_and_b32_e32 v8, 1, v10
	v_cmp_eq_u32_e32 vcc_lo, 1, v8
	v_or_b32_e32 v1, 8, v1
	ds_bpermute_b32 v4, v1, v2
	ds_bpermute_b32 v5, v1, v3
	s_wait_dscnt 0x0
	v_min_i64 v[6:7], v[4:5], v[2:3]
	v_cndmask_b32_e32 v2, v4, v2, vcc_lo
	ds_bpermute_b32 v1, v1, v10
	v_cndmask_b32_e32 v3, v5, v3, vcc_lo
	s_wait_dscnt 0x0
	v_bitop3_b32 v8, v10, 1, v1 bitop3:0x80
	v_cndmask_b32_e64 v1, v1, 1, vcc_lo
	s_delay_alu instid0(VALU_DEP_2) | instskip(NEXT) | instid1(VALU_DEP_2)
	v_cmp_eq_u32_e32 vcc_lo, 0, v8
	v_dual_cndmask_b32 v20, 1, v1 :: v_dual_cndmask_b32 v3, v7, v3
	v_cndmask_b32_e32 v2, v6, v2, vcc_lo
.LBB46_27:
	s_or_b32 exec_lo, exec_lo, s2
	s_branch .LBB46_154
.LBB46_28:
                                        ; implicit-def: $sgpr10_sgpr11
                                        ; implicit-def: $vgpr2_vgpr3
                                        ; implicit-def: $vgpr20
	s_branch .LBB46_211
.LBB46_29:
                                        ; implicit-def: $vgpr2_vgpr3
                                        ; implicit-def: $vgpr20
	s_cbranch_execz .LBB46_13
; %bb.30:
	v_mov_b64_e32 v[16:17], 0
	v_mov_b64_e32 v[2:3], 0
	v_dual_mov_b32 v26, 0 :: v_dual_mov_b32 v20, 0
	s_sub_co_i32 s24, s14, s24
	s_mov_b32 s2, exec_lo
	v_cmpx_gt_u32_e64 s24, v0
	s_cbranch_execz .LBB46_32
; %bb.31:
	s_clause 0x1
	global_load_b64 v[4:5], v0, s[8:9] scale_offset
	global_load_b64 v[6:7], v0, s[22:23] scale_offset
	v_mov_b32_e32 v1, 0
	s_delay_alu instid0(VALU_DEP_1)
	v_add_nc_u64_e32 v[2:3], s[20:21], v[0:1]
	s_wait_loadcnt 0x0
	v_cmp_neq_f64_e32 vcc_lo, v[4:5], v[6:7]
	v_cndmask_b32_e64 v20, 0, 1, vcc_lo
.LBB46_32:
	s_or_b32 exec_lo, exec_lo, s2
	v_or_b32_e32 v4, 0x80, v0
	s_delay_alu instid0(VALU_DEP_1)
	v_cmp_gt_u32_e64 s7, s24, v4
	s_and_saveexec_b32 s2, s7
	s_cbranch_execz .LBB46_34
; %bb.33:
	s_clause 0x1
	global_load_b64 v[6:7], v0, s[8:9] offset:1024 scale_offset
	global_load_b64 v[8:9], v0, s[22:23] offset:1024 scale_offset
	v_mov_b32_e32 v5, 0
	s_delay_alu instid0(VALU_DEP_1)
	v_add_nc_u64_e32 v[16:17], s[20:21], v[4:5]
	s_wait_loadcnt 0x0
	v_cmp_neq_f64_e32 vcc_lo, v[6:7], v[8:9]
	v_cndmask_b32_e64 v26, 0, 1, vcc_lo
.LBB46_34:
	s_or_b32 exec_lo, exec_lo, s2
	v_or_b32_e32 v4, 0x100, v0
	v_mov_b64_e32 v[12:13], 0
	v_mov_b64_e32 v[14:15], 0
	v_dual_mov_b32 v24, 0 :: v_dual_mov_b32 v25, 0
	s_delay_alu instid0(VALU_DEP_4)
	v_cmp_gt_u32_e64 s6, s24, v4
	s_and_saveexec_b32 s2, s6
	s_cbranch_execz .LBB46_36
; %bb.35:
	s_clause 0x1
	global_load_b64 v[6:7], v0, s[8:9] offset:2048 scale_offset
	global_load_b64 v[8:9], v0, s[22:23] offset:2048 scale_offset
	v_mov_b32_e32 v5, 0
	s_delay_alu instid0(VALU_DEP_1)
	v_add_nc_u64_e32 v[14:15], s[20:21], v[4:5]
	s_wait_loadcnt 0x0
	v_cmp_neq_f64_e32 vcc_lo, v[6:7], v[8:9]
	v_cndmask_b32_e64 v25, 0, 1, vcc_lo
.LBB46_36:
	s_or_b32 exec_lo, exec_lo, s2
	v_or_b32_e32 v4, 0x180, v0
	s_delay_alu instid0(VALU_DEP_1)
	v_cmp_gt_u32_e64 s5, s24, v4
	s_and_saveexec_b32 s2, s5
	s_cbranch_execz .LBB46_38
; %bb.37:
	s_clause 0x1
	global_load_b64 v[6:7], v0, s[8:9] offset:3072 scale_offset
	global_load_b64 v[8:9], v0, s[22:23] offset:3072 scale_offset
	v_mov_b32_e32 v5, 0
	s_delay_alu instid0(VALU_DEP_1)
	v_add_nc_u64_e32 v[12:13], s[20:21], v[4:5]
	s_wait_loadcnt 0x0
	v_cmp_neq_f64_e32 vcc_lo, v[6:7], v[8:9]
	v_cndmask_b32_e64 v24, 0, 1, vcc_lo
.LBB46_38:
	s_or_b32 exec_lo, exec_lo, s2
	v_or_b32_e32 v4, 0x200, v0
	v_mov_b64_e32 v[8:9], 0
	v_mov_b64_e32 v[10:11], 0
	v_dual_mov_b32 v22, 0 :: v_dual_mov_b32 v23, 0
	s_delay_alu instid0(VALU_DEP_4)
	v_cmp_gt_u32_e64 s4, s24, v4
	s_and_saveexec_b32 s2, s4
	s_cbranch_execz .LBB46_40
; %bb.39:
	s_clause 0x1
	global_load_b64 v[6:7], v0, s[8:9] offset:4096 scale_offset
	global_load_b64 v[18:19], v0, s[22:23] offset:4096 scale_offset
	v_mov_b32_e32 v5, 0
	s_delay_alu instid0(VALU_DEP_1)
	v_add_nc_u64_e32 v[10:11], s[20:21], v[4:5]
	s_wait_loadcnt 0x0
	v_cmp_neq_f64_e32 vcc_lo, v[6:7], v[18:19]
	v_cndmask_b32_e64 v23, 0, 1, vcc_lo
.LBB46_40:
	;; [unrolled: 37-line block ×3, first 2 shown]
	s_or_b32 exec_lo, exec_lo, s25
	v_or_b32_e32 v18, 0x380, v0
	s_delay_alu instid0(VALU_DEP_1)
	v_cmp_gt_u32_e32 vcc_lo, s24, v18
	s_and_saveexec_b32 s25, vcc_lo
	s_cbranch_execnz .LBB46_63
; %bb.45:
	s_or_b32 exec_lo, exec_lo, s25
	s_and_saveexec_b32 s9, s7
	s_cbranch_execnz .LBB46_64
.LBB46_46:
	s_or_b32 exec_lo, exec_lo, s9
	s_and_saveexec_b32 s8, s6
	s_cbranch_execnz .LBB46_69
.LBB46_47:
	s_or_b32 exec_lo, exec_lo, s8
	s_and_saveexec_b32 s7, s5
	s_cbranch_execnz .LBB46_74
.LBB46_48:
	s_or_b32 exec_lo, exec_lo, s7
	s_and_saveexec_b32 s6, s4
	s_cbranch_execnz .LBB46_79
.LBB46_49:
	s_or_b32 exec_lo, exec_lo, s6
	s_and_saveexec_b32 s5, s3
	s_cbranch_execnz .LBB46_84
.LBB46_50:
	s_or_b32 exec_lo, exec_lo, s5
	s_and_saveexec_b32 s4, s2
	s_cbranch_execnz .LBB46_89
.LBB46_51:
	s_or_b32 exec_lo, exec_lo, s4
	s_and_saveexec_b32 s3, vcc_lo
	s_cbranch_execnz .LBB46_94
	s_branch .LBB46_99
.LBB46_52:
                                        ; implicit-def: $vgpr2_vgpr3
                                        ; implicit-def: $vgpr20
	s_cbranch_execz .LBB46_154
; %bb.53:
	v_mov_b64_e32 v[8:9], 0
	v_mov_b64_e32 v[2:3], 0
	v_dual_mov_b32 v13, 0 :: v_dual_mov_b32 v20, 0
	s_sub_co_i32 s20, s14, s20
	s_mov_b32 s2, exec_lo
	v_cmpx_gt_u32_e64 s20, v0
	s_cbranch_execz .LBB46_55
; %bb.54:
	s_wait_dscnt 0x0
	s_clause 0x1
	global_load_b64 v[4:5], v0, s[6:7] scale_offset
	global_load_b64 v[6:7], v0, s[8:9] scale_offset
	v_mov_b32_e32 v1, 0
	s_delay_alu instid0(VALU_DEP_1)
	v_add_nc_u64_e32 v[2:3], s[4:5], v[0:1]
	s_wait_loadcnt 0x0
	v_cmp_neq_f64_e32 vcc_lo, v[4:5], v[6:7]
	v_cndmask_b32_e64 v20, 0, 1, vcc_lo
.LBB46_55:
	s_or_b32 exec_lo, exec_lo, s2
	s_wait_dscnt 0x1
	v_or_b32_e32 v4, 0x80, v0
	s_delay_alu instid0(VALU_DEP_1)
	v_cmp_gt_u32_e64 s3, s20, v4
	s_and_saveexec_b32 s2, s3
	s_cbranch_execz .LBB46_57
; %bb.56:
	s_clause 0x1
	global_load_b64 v[6:7], v0, s[6:7] offset:1024 scale_offset
	global_load_b64 v[10:11], v0, s[8:9] offset:1024 scale_offset
	s_wait_dscnt 0x0
	v_mov_b32_e32 v5, 0
	s_delay_alu instid0(VALU_DEP_1)
	v_add_nc_u64_e32 v[8:9], s[4:5], v[4:5]
	s_wait_loadcnt 0x0
	v_cmp_neq_f64_e32 vcc_lo, v[6:7], v[10:11]
	v_cndmask_b32_e64 v13, 0, 1, vcc_lo
.LBB46_57:
	s_or_b32 exec_lo, exec_lo, s2
	v_or_b32_e32 v10, 0x100, v0
	s_wait_dscnt 0x0
	v_mov_b64_e32 v[4:5], 0
	v_mov_b64_e32 v[6:7], 0
	v_dual_mov_b32 v1, 0 :: v_dual_mov_b32 v12, 0
	v_cmp_gt_u32_e64 s2, s20, v10
	s_and_saveexec_b32 s21, s2
	s_cbranch_execz .LBB46_59
; %bb.58:
	s_clause 0x1
	global_load_b64 v[14:15], v0, s[6:7] offset:2048 scale_offset
	global_load_b64 v[16:17], v0, s[8:9] offset:2048 scale_offset
	v_mov_b32_e32 v11, 0
	s_delay_alu instid0(VALU_DEP_1)
	v_add_nc_u64_e32 v[6:7], s[4:5], v[10:11]
	s_wait_loadcnt 0x0
	v_cmp_neq_f64_e32 vcc_lo, v[14:15], v[16:17]
	v_cndmask_b32_e64 v12, 0, 1, vcc_lo
.LBB46_59:
	s_or_b32 exec_lo, exec_lo, s21
	v_or_b32_e32 v10, 0x180, v0
	s_delay_alu instid0(VALU_DEP_1)
	v_cmp_gt_u32_e32 vcc_lo, s20, v10
	s_and_saveexec_b32 s21, vcc_lo
	s_cbranch_execnz .LBB46_119
; %bb.60:
	s_or_b32 exec_lo, exec_lo, s21
	s_and_saveexec_b32 s5, s3
	s_cbranch_execnz .LBB46_120
.LBB46_61:
	s_or_b32 exec_lo, exec_lo, s5
	s_and_saveexec_b32 s4, s2
	s_cbranch_execnz .LBB46_125
.LBB46_62:
	s_or_b32 exec_lo, exec_lo, s4
	s_and_saveexec_b32 s3, vcc_lo
	s_cbranch_execnz .LBB46_130
	s_branch .LBB46_135
.LBB46_63:
	s_clause 0x1
	global_load_b64 v[28:29], v0, s[8:9] offset:7168 scale_offset
	global_load_b64 v[30:31], v0, s[22:23] offset:7168 scale_offset
	v_mov_b32_e32 v19, 0
	s_delay_alu instid0(VALU_DEP_1) | instskip(SKIP_2) | instid1(VALU_DEP_1)
	v_add_nc_u64_e32 v[4:5], s[20:21], v[18:19]
	s_wait_loadcnt 0x0
	v_cmp_neq_f64_e64 s8, v[28:29], v[30:31]
	v_cndmask_b32_e64 v1, 0, 1, s8
	s_or_b32 exec_lo, exec_lo, s25
	s_and_saveexec_b32 s9, s7
	s_cbranch_execz .LBB46_46
.LBB46_64:
	v_and_b32_e32 v18, 1, v20
	v_and_b32_e32 v19, 1, v26
                                        ; implicit-def: $vgpr20
	s_delay_alu instid0(VALU_DEP_2) | instskip(NEXT) | instid1(VALU_DEP_2)
	v_cmp_eq_u32_e64 s7, 1, v18
	v_cmp_eq_u32_e64 s8, 1, v19
	s_and_b32 s8, s7, s8
	s_delay_alu instid0(SALU_CYCLE_1) | instskip(NEXT) | instid1(SALU_CYCLE_1)
	s_xor_b32 s8, s8, -1
	s_and_saveexec_b32 s20, s8
	s_delay_alu instid0(SALU_CYCLE_1)
	s_xor_b32 s8, exec_lo, s20
; %bb.65:
	v_and_b32_e32 v18, 0xffff, v26
	v_dual_cndmask_b32 v3, v17, v3, s7 :: v_dual_cndmask_b32 v2, v16, v2, s7
                                        ; implicit-def: $vgpr16_vgpr17
	s_delay_alu instid0(VALU_DEP_2)
	v_cndmask_b32_e64 v20, v18, 1, s7
; %bb.66:
	s_and_not1_saveexec_b32 s7, s8
	s_cbranch_execz .LBB46_68
; %bb.67:
	s_delay_alu instid0(VALU_DEP_2)
	v_min_i64 v[2:3], v[16:17], v[2:3]
	v_mov_b32_e32 v20, 1
.LBB46_68:
	s_or_b32 exec_lo, exec_lo, s7
	s_delay_alu instid0(SALU_CYCLE_1)
	s_or_b32 exec_lo, exec_lo, s9
	s_and_saveexec_b32 s8, s6
	s_cbranch_execz .LBB46_47
.LBB46_69:
	v_and_b32_e32 v16, 1, v20
	v_and_b32_e32 v17, 1, v25
                                        ; implicit-def: $vgpr20
	s_delay_alu instid0(VALU_DEP_2) | instskip(NEXT) | instid1(VALU_DEP_2)
	v_cmp_eq_u32_e64 s6, 1, v16
	v_cmp_eq_u32_e64 s7, 1, v17
	s_and_b32 s7, s6, s7
	s_delay_alu instid0(SALU_CYCLE_1) | instskip(NEXT) | instid1(SALU_CYCLE_1)
	s_xor_b32 s7, s7, -1
	s_and_saveexec_b32 s9, s7
	s_delay_alu instid0(SALU_CYCLE_1)
	s_xor_b32 s7, exec_lo, s9
; %bb.70:
	v_and_b32_e32 v16, 0xffff, v25
	v_dual_cndmask_b32 v3, v15, v3, s6 :: v_dual_cndmask_b32 v2, v14, v2, s6
                                        ; implicit-def: $vgpr14_vgpr15
	s_delay_alu instid0(VALU_DEP_2)
	v_cndmask_b32_e64 v20, v16, 1, s6
; %bb.71:
	s_and_not1_saveexec_b32 s6, s7
	s_cbranch_execz .LBB46_73
; %bb.72:
	s_delay_alu instid0(VALU_DEP_2)
	v_min_i64 v[2:3], v[14:15], v[2:3]
	v_mov_b32_e32 v20, 1
.LBB46_73:
	s_or_b32 exec_lo, exec_lo, s6
	s_delay_alu instid0(SALU_CYCLE_1)
	s_or_b32 exec_lo, exec_lo, s8
	s_and_saveexec_b32 s7, s5
	s_cbranch_execz .LBB46_48
.LBB46_74:
	v_and_b32_e32 v14, 1, v20
	v_and_b32_e32 v15, 1, v24
                                        ; implicit-def: $vgpr20
	s_delay_alu instid0(VALU_DEP_2) | instskip(NEXT) | instid1(VALU_DEP_2)
	v_cmp_eq_u32_e64 s5, 1, v14
	v_cmp_eq_u32_e64 s6, 1, v15
	s_and_b32 s6, s5, s6
	s_delay_alu instid0(SALU_CYCLE_1) | instskip(NEXT) | instid1(SALU_CYCLE_1)
	s_xor_b32 s6, s6, -1
	s_and_saveexec_b32 s8, s6
	s_delay_alu instid0(SALU_CYCLE_1)
	s_xor_b32 s6, exec_lo, s8
; %bb.75:
	v_and_b32_e32 v14, 0xffff, v24
	v_dual_cndmask_b32 v3, v13, v3, s5 :: v_dual_cndmask_b32 v2, v12, v2, s5
                                        ; implicit-def: $vgpr12_vgpr13
	s_delay_alu instid0(VALU_DEP_2)
	v_cndmask_b32_e64 v20, v14, 1, s5
; %bb.76:
	s_and_not1_saveexec_b32 s5, s6
	s_cbranch_execz .LBB46_78
; %bb.77:
	s_delay_alu instid0(VALU_DEP_2)
	v_min_i64 v[2:3], v[12:13], v[2:3]
	v_mov_b32_e32 v20, 1
.LBB46_78:
	s_or_b32 exec_lo, exec_lo, s5
	s_delay_alu instid0(SALU_CYCLE_1)
	s_or_b32 exec_lo, exec_lo, s7
	s_and_saveexec_b32 s6, s4
	s_cbranch_execz .LBB46_49
.LBB46_79:
	v_and_b32_e32 v12, 1, v20
	v_and_b32_e32 v13, 1, v23
                                        ; implicit-def: $vgpr20
	s_delay_alu instid0(VALU_DEP_2) | instskip(NEXT) | instid1(VALU_DEP_2)
	v_cmp_eq_u32_e64 s4, 1, v12
	v_cmp_eq_u32_e64 s5, 1, v13
	s_and_b32 s5, s4, s5
	s_delay_alu instid0(SALU_CYCLE_1) | instskip(NEXT) | instid1(SALU_CYCLE_1)
	s_xor_b32 s5, s5, -1
	s_and_saveexec_b32 s7, s5
	s_delay_alu instid0(SALU_CYCLE_1)
	s_xor_b32 s5, exec_lo, s7
; %bb.80:
	v_and_b32_e32 v12, 0xffff, v23
	v_dual_cndmask_b32 v3, v11, v3, s4 :: v_dual_cndmask_b32 v2, v10, v2, s4
                                        ; implicit-def: $vgpr10_vgpr11
	s_delay_alu instid0(VALU_DEP_2)
	v_cndmask_b32_e64 v20, v12, 1, s4
; %bb.81:
	s_and_not1_saveexec_b32 s4, s5
	s_cbranch_execz .LBB46_83
; %bb.82:
	s_delay_alu instid0(VALU_DEP_2)
	v_min_i64 v[2:3], v[10:11], v[2:3]
	v_mov_b32_e32 v20, 1
.LBB46_83:
	s_or_b32 exec_lo, exec_lo, s4
	s_delay_alu instid0(SALU_CYCLE_1)
	s_or_b32 exec_lo, exec_lo, s6
	s_and_saveexec_b32 s5, s3
	s_cbranch_execz .LBB46_50
.LBB46_84:
	v_and_b32_e32 v10, 1, v20
	v_and_b32_e32 v11, 1, v22
                                        ; implicit-def: $vgpr20
	s_delay_alu instid0(VALU_DEP_2) | instskip(NEXT) | instid1(VALU_DEP_2)
	v_cmp_eq_u32_e64 s3, 1, v10
	v_cmp_eq_u32_e64 s4, 1, v11
	s_and_b32 s4, s3, s4
	s_delay_alu instid0(SALU_CYCLE_1) | instskip(NEXT) | instid1(SALU_CYCLE_1)
	s_xor_b32 s4, s4, -1
	s_and_saveexec_b32 s6, s4
	s_delay_alu instid0(SALU_CYCLE_1)
	s_xor_b32 s4, exec_lo, s6
; %bb.85:
	v_and_b32_e32 v10, 0xffff, v22
	v_dual_cndmask_b32 v3, v9, v3, s3 :: v_dual_cndmask_b32 v2, v8, v2, s3
                                        ; implicit-def: $vgpr8_vgpr9
	s_delay_alu instid0(VALU_DEP_2)
	v_cndmask_b32_e64 v20, v10, 1, s3
; %bb.86:
	s_and_not1_saveexec_b32 s3, s4
	s_cbranch_execz .LBB46_88
; %bb.87:
	s_delay_alu instid0(VALU_DEP_2)
	v_min_i64 v[2:3], v[8:9], v[2:3]
	v_mov_b32_e32 v20, 1
.LBB46_88:
	s_or_b32 exec_lo, exec_lo, s3
	s_delay_alu instid0(SALU_CYCLE_1)
	s_or_b32 exec_lo, exec_lo, s5
	s_and_saveexec_b32 s4, s2
	s_cbranch_execz .LBB46_51
.LBB46_89:
	v_and_b32_e32 v8, 1, v20
	v_and_b32_e32 v9, 1, v21
                                        ; implicit-def: $vgpr20
	s_delay_alu instid0(VALU_DEP_2) | instskip(NEXT) | instid1(VALU_DEP_2)
	v_cmp_eq_u32_e64 s2, 1, v8
	v_cmp_eq_u32_e64 s3, 1, v9
	s_and_b32 s3, s2, s3
	s_delay_alu instid0(SALU_CYCLE_1) | instskip(NEXT) | instid1(SALU_CYCLE_1)
	s_xor_b32 s3, s3, -1
	s_and_saveexec_b32 s5, s3
	s_delay_alu instid0(SALU_CYCLE_1)
	s_xor_b32 s3, exec_lo, s5
; %bb.90:
	v_and_b32_e32 v8, 0xffff, v21
	v_dual_cndmask_b32 v3, v7, v3, s2 :: v_dual_cndmask_b32 v2, v6, v2, s2
                                        ; implicit-def: $vgpr6_vgpr7
	s_delay_alu instid0(VALU_DEP_2)
	v_cndmask_b32_e64 v20, v8, 1, s2
; %bb.91:
	s_and_not1_saveexec_b32 s2, s3
	s_cbranch_execz .LBB46_93
; %bb.92:
	s_delay_alu instid0(VALU_DEP_2)
	v_min_i64 v[2:3], v[6:7], v[2:3]
	v_mov_b32_e32 v20, 1
.LBB46_93:
	s_or_b32 exec_lo, exec_lo, s2
	s_delay_alu instid0(SALU_CYCLE_1)
	s_or_b32 exec_lo, exec_lo, s4
	s_and_saveexec_b32 s3, vcc_lo
	s_cbranch_execz .LBB46_99
.LBB46_94:
	v_and_b32_e32 v6, 1, v20
	v_and_b32_e32 v7, 1, v1
                                        ; implicit-def: $vgpr20
	s_delay_alu instid0(VALU_DEP_2) | instskip(NEXT) | instid1(VALU_DEP_2)
	v_cmp_eq_u32_e32 vcc_lo, 1, v6
	v_cmp_eq_u32_e64 s2, 1, v7
	s_and_b32 s2, vcc_lo, s2
	s_delay_alu instid0(SALU_CYCLE_1) | instskip(NEXT) | instid1(SALU_CYCLE_1)
	s_xor_b32 s2, s2, -1
	s_and_saveexec_b32 s4, s2
	s_delay_alu instid0(SALU_CYCLE_1)
	s_xor_b32 s2, exec_lo, s4
; %bb.95:
	v_and_b32_e32 v1, 0xffff, v1
	v_dual_cndmask_b32 v3, v5, v3 :: v_dual_cndmask_b32 v2, v4, v2
                                        ; implicit-def: $vgpr4_vgpr5
	s_delay_alu instid0(VALU_DEP_2)
	v_cndmask_b32_e64 v20, v1, 1, vcc_lo
; %bb.96:
	s_and_not1_saveexec_b32 s2, s2
	s_cbranch_execz .LBB46_98
; %bb.97:
	s_delay_alu instid0(VALU_DEP_2)
	v_min_i64 v[2:3], v[4:5], v[2:3]
	v_mov_b32_e32 v20, 1
.LBB46_98:
	s_or_b32 exec_lo, exec_lo, s2
.LBB46_99:
	s_delay_alu instid0(SALU_CYCLE_1) | instskip(SKIP_4) | instid1(VALU_DEP_2)
	s_or_b32 exec_lo, exec_lo, s3
	v_mbcnt_lo_u32_b32 v1, -1, 0
	v_and_b32_e32 v6, 0x60, v0
	s_min_u32 s3, s24, 0x80
	s_mov_b32 s2, exec_lo
	v_cmp_ne_u32_e32 vcc_lo, 31, v1
	s_delay_alu instid0(VALU_DEP_2) | instskip(SKIP_2) | instid1(VALU_DEP_1)
	v_sub_nc_u32_e64 v6, s3, v6 clamp
	v_add_nc_u32_e32 v8, 1, v1
	v_add_co_ci_u32_e64 v4, null, 0, v1, vcc_lo
	v_lshlrev_b32_e32 v5, 2, v4
	ds_bpermute_b32 v7, v5, v20
	ds_bpermute_b32 v4, v5, v2
	;; [unrolled: 1-line block ×3, first 2 shown]
	v_cmpx_lt_u32_e64 v8, v6
	s_xor_b32 s4, exec_lo, s2
	s_cbranch_execz .LBB46_101
; %bb.100:
	s_wait_dscnt 0x0
	v_min_i64 v[8:9], v[4:5], v[2:3]
	v_and_b32_e32 v10, 1, v20
	s_delay_alu instid0(VALU_DEP_1) | instskip(SKIP_3) | instid1(VALU_DEP_3)
	v_cmp_eq_u32_e32 vcc_lo, 1, v10
	v_and_b32_e32 v10, v7, v20
	v_and_b32_e32 v7, 0xff, v7
	v_dual_cndmask_b32 v2, v4, v2 :: v_dual_cndmask_b32 v3, v5, v3
	v_cmp_eq_u32_e64 s2, 0, v10
	s_delay_alu instid0(VALU_DEP_3) | instskip(NEXT) | instid1(VALU_DEP_1)
	v_cndmask_b32_e64 v4, v7, 1, vcc_lo
	v_dual_cndmask_b32 v20, 1, v4, s2 :: v_dual_cndmask_b32 v3, v9, v3, s2
	s_delay_alu instid0(VALU_DEP_4)
	v_cndmask_b32_e64 v2, v8, v2, s2
.LBB46_101:
	s_or_b32 exec_lo, exec_lo, s4
	v_cmp_gt_u32_e32 vcc_lo, 30, v1
	v_add_nc_u32_e32 v8, 2, v1
	s_mov_b32 s4, exec_lo
	s_wait_dscnt 0x1
	v_cndmask_b32_e64 v4, 0, 2, vcc_lo
	s_wait_dscnt 0x0
	s_delay_alu instid0(VALU_DEP_1)
	v_add_lshl_u32 v5, v4, v1, 2
	ds_bpermute_b32 v7, v5, v20
	ds_bpermute_b32 v4, v5, v2
	ds_bpermute_b32 v5, v5, v3
	v_cmpx_lt_u32_e64 v8, v6
	s_cbranch_execz .LBB46_103
; %bb.102:
	s_wait_dscnt 0x0
	v_min_i64 v[8:9], v[4:5], v[2:3]
	v_and_b32_e32 v10, 1, v20
	s_delay_alu instid0(VALU_DEP_1) | instskip(SKIP_3) | instid1(VALU_DEP_3)
	v_cmp_eq_u32_e32 vcc_lo, 1, v10
	v_bitop3_b32 v10, v20, 1, v7 bitop3:0x80
	v_and_b32_e32 v7, 0xff, v7
	v_cndmask_b32_e32 v2, v4, v2, vcc_lo
	v_cmp_eq_u32_e64 s2, 0, v10
	v_cndmask_b32_e32 v3, v5, v3, vcc_lo
	s_delay_alu instid0(VALU_DEP_4) | instskip(NEXT) | instid1(VALU_DEP_1)
	v_cndmask_b32_e64 v4, v7, 1, vcc_lo
	v_dual_cndmask_b32 v20, 1, v4, s2 :: v_dual_cndmask_b32 v2, v8, v2, s2
	s_delay_alu instid0(VALU_DEP_3)
	v_cndmask_b32_e64 v3, v9, v3, s2
.LBB46_103:
	s_or_b32 exec_lo, exec_lo, s4
	v_cmp_gt_u32_e32 vcc_lo, 28, v1
	v_add_nc_u32_e32 v8, 4, v1
	s_mov_b32 s4, exec_lo
	s_wait_dscnt 0x1
	v_cndmask_b32_e64 v4, 0, 4, vcc_lo
	s_wait_dscnt 0x0
	s_delay_alu instid0(VALU_DEP_1)
	v_add_lshl_u32 v5, v4, v1, 2
	ds_bpermute_b32 v7, v5, v20
	ds_bpermute_b32 v4, v5, v2
	ds_bpermute_b32 v5, v5, v3
	v_cmpx_lt_u32_e64 v8, v6
	s_cbranch_execz .LBB46_105
; %bb.104:
	s_wait_dscnt 0x0
	v_min_i64 v[8:9], v[4:5], v[2:3]
	v_and_b32_e32 v10, 1, v20
	s_delay_alu instid0(VALU_DEP_1) | instskip(SKIP_3) | instid1(VALU_DEP_3)
	v_cmp_eq_u32_e32 vcc_lo, 1, v10
	v_bitop3_b32 v10, v20, 1, v7 bitop3:0x80
	v_and_b32_e32 v7, 0xff, v7
	v_cndmask_b32_e32 v2, v4, v2, vcc_lo
	v_cmp_eq_u32_e64 s2, 0, v10
	v_cndmask_b32_e32 v3, v5, v3, vcc_lo
	s_delay_alu instid0(VALU_DEP_4) | instskip(NEXT) | instid1(VALU_DEP_1)
	v_cndmask_b32_e64 v4, v7, 1, vcc_lo
	v_dual_cndmask_b32 v20, 1, v4, s2 :: v_dual_cndmask_b32 v2, v8, v2, s2
	s_delay_alu instid0(VALU_DEP_3)
	v_cndmask_b32_e64 v3, v9, v3, s2
.LBB46_105:
	;; [unrolled: 31-line block ×3, first 2 shown]
	s_or_b32 exec_lo, exec_lo, s4
	s_wait_dscnt 0x2
	v_dual_lshlrev_b32 v7, 2, v1 :: v_dual_add_nc_u32 v9, 16, v1
	s_wait_dscnt 0x0
	s_delay_alu instid0(VALU_DEP_1) | instskip(NEXT) | instid1(VALU_DEP_2)
	v_or_b32_e32 v5, 64, v7
	v_cmp_lt_u32_e32 vcc_lo, v9, v6
	v_mov_b32_e32 v6, v20
	ds_bpermute_b32 v8, v5, v20
	ds_bpermute_b32 v4, v5, v2
	;; [unrolled: 1-line block ×3, first 2 shown]
	s_and_saveexec_b32 s4, vcc_lo
	s_cbranch_execz .LBB46_109
; %bb.108:
	s_wait_dscnt 0x0
	v_min_i64 v[10:11], v[4:5], v[2:3]
	v_and_b32_e32 v6, 1, v20
	v_bitop3_b32 v9, v20, 1, v8 bitop3:0x80
	s_delay_alu instid0(VALU_DEP_2) | instskip(NEXT) | instid1(VALU_DEP_2)
	v_cmp_eq_u32_e32 vcc_lo, 1, v6
	v_cmp_eq_u32_e64 s2, 0, v9
	v_cndmask_b32_e64 v6, v8, 1, vcc_lo
	v_dual_cndmask_b32 v3, v5, v3 :: v_dual_cndmask_b32 v2, v4, v2
	s_delay_alu instid0(VALU_DEP_2) | instskip(NEXT) | instid1(VALU_DEP_1)
	v_cndmask_b32_e64 v6, 1, v6, s2
	v_and_b32_e32 v20, 0xff, v6
	s_delay_alu instid0(VALU_DEP_3)
	v_dual_cndmask_b32 v3, v11, v3, s2 :: v_dual_cndmask_b32 v2, v10, v2, s2
.LBB46_109:
	s_or_b32 exec_lo, exec_lo, s4
	s_delay_alu instid0(SALU_CYCLE_1)
	s_mov_b32 s2, exec_lo
	v_cmpx_eq_u32_e32 0, v1
	s_cbranch_execz .LBB46_111
; %bb.110:
	s_wait_dscnt 0x1
	v_lshrrev_b32_e32 v4, 1, v0
	s_delay_alu instid0(VALU_DEP_1)
	v_and_b32_e32 v4, 48, v4
	ds_store_b8 v4, v6 offset:256
	ds_store_b64 v4, v[2:3] offset:264
.LBB46_111:
	s_or_b32 exec_lo, exec_lo, s2
	s_delay_alu instid0(SALU_CYCLE_1)
	s_mov_b32 s4, exec_lo
	s_wait_dscnt 0x0
	s_barrier_signal -1
	s_barrier_wait -1
	v_cmpx_gt_u32_e32 4, v0
	s_cbranch_execz .LBB46_117
; %bb.112:
	v_dual_lshlrev_b32 v2, 4, v1 :: v_dual_bitop2_b32 v6, 3, v1 bitop3:0x40
	s_add_co_i32 s3, s3, 31
	s_mov_b32 s5, exec_lo
	s_lshr_b32 s3, s3, 5
	ds_load_u8 v8, v2 offset:256
	ds_load_b64 v[2:3], v2 offset:264
	v_cmp_ne_u32_e32 vcc_lo, 3, v6
	v_add_nc_u32_e32 v9, 1, v6
	v_add_co_ci_u32_e64 v1, null, 0, v1, vcc_lo
	s_delay_alu instid0(VALU_DEP_1)
	v_lshlrev_b32_e32 v5, 2, v1
	s_wait_dscnt 0x1
	v_and_b32_e32 v20, 0xff, v8
	s_wait_dscnt 0x0
	ds_bpermute_b32 v4, v5, v2
	ds_bpermute_b32 v1, v5, v20
	;; [unrolled: 1-line block ×3, first 2 shown]
	v_cmpx_gt_u32_e64 s3, v9
	s_cbranch_execz .LBB46_114
; %bb.113:
	s_wait_dscnt 0x0
	v_min_i64 v[10:11], v[4:5], v[2:3]
	v_and_b32_e32 v8, 1, v8
	s_delay_alu instid0(VALU_DEP_1) | instskip(SKIP_3) | instid1(VALU_DEP_3)
	v_cmp_eq_u32_e32 vcc_lo, 1, v8
	v_bitop3_b32 v8, v20, 1, v1 bitop3:0x80
	v_and_b32_e32 v1, 0xff, v1
	v_cndmask_b32_e32 v2, v4, v2, vcc_lo
	v_cmp_eq_u32_e64 s2, 0, v8
	v_cndmask_b32_e32 v3, v5, v3, vcc_lo
	s_delay_alu instid0(VALU_DEP_4) | instskip(NEXT) | instid1(VALU_DEP_1)
	v_cndmask_b32_e64 v1, v1, 1, vcc_lo
	v_dual_cndmask_b32 v20, 1, v1, s2 :: v_dual_cndmask_b32 v2, v10, v2, s2
	s_delay_alu instid0(VALU_DEP_3)
	v_cndmask_b32_e64 v3, v11, v3, s2
.LBB46_114:
	s_or_b32 exec_lo, exec_lo, s5
	s_wait_dscnt 0x0
	v_dual_add_nc_u32 v6, 2, v6 :: v_dual_bitop2_b32 v5, 8, v7 bitop3:0x54
	ds_bpermute_b32 v1, v5, v20
	ds_bpermute_b32 v4, v5, v2
	;; [unrolled: 1-line block ×3, first 2 shown]
	v_cmp_gt_u32_e32 vcc_lo, s3, v6
	s_and_saveexec_b32 s3, vcc_lo
	s_cbranch_execz .LBB46_116
; %bb.115:
	s_wait_dscnt 0x0
	v_min_i64 v[6:7], v[4:5], v[2:3]
	v_and_b32_e32 v8, 1, v20
	s_delay_alu instid0(VALU_DEP_1) | instskip(SKIP_2) | instid1(VALU_DEP_2)
	v_cmp_eq_u32_e32 vcc_lo, 1, v8
	v_bitop3_b32 v8, v20, 1, v1 bitop3:0x80
	v_cndmask_b32_e32 v2, v4, v2, vcc_lo
	v_cmp_eq_u32_e64 s2, 0, v8
	v_cndmask_b32_e32 v3, v5, v3, vcc_lo
	v_cndmask_b32_e64 v1, v1, 1, vcc_lo
	s_delay_alu instid0(VALU_DEP_1) | instskip(NEXT) | instid1(VALU_DEP_3)
	v_dual_cndmask_b32 v20, 1, v1, s2 :: v_dual_cndmask_b32 v2, v6, v2, s2
	v_cndmask_b32_e64 v3, v7, v3, s2
.LBB46_116:
	s_or_b32 exec_lo, exec_lo, s3
.LBB46_117:
	s_delay_alu instid0(SALU_CYCLE_1)
	s_or_b32 exec_lo, exec_lo, s4
	v_cmp_eq_u32_e64 s2, 0, v0
	s_and_b32 vcc_lo, exec_lo, s27
	s_cbranch_vccnz .LBB46_17
.LBB46_118:
	s_branch .LBB46_211
.LBB46_119:
	s_clause 0x1
	global_load_b64 v[14:15], v0, s[6:7] offset:3072 scale_offset
	global_load_b64 v[16:17], v0, s[8:9] offset:3072 scale_offset
	v_mov_b32_e32 v11, 0
	s_delay_alu instid0(VALU_DEP_1) | instskip(SKIP_2) | instid1(VALU_DEP_1)
	v_add_nc_u64_e32 v[4:5], s[4:5], v[10:11]
	s_wait_loadcnt 0x0
	v_cmp_neq_f64_e64 s4, v[14:15], v[16:17]
	v_cndmask_b32_e64 v1, 0, 1, s4
	s_or_b32 exec_lo, exec_lo, s21
	s_and_saveexec_b32 s5, s3
	s_cbranch_execz .LBB46_61
.LBB46_120:
	v_and_b32_e32 v10, 1, v20
	v_and_b32_e32 v11, 1, v13
                                        ; implicit-def: $vgpr20
	s_delay_alu instid0(VALU_DEP_2) | instskip(NEXT) | instid1(VALU_DEP_2)
	v_cmp_eq_u32_e64 s3, 1, v10
	v_cmp_eq_u32_e64 s4, 1, v11
	s_and_b32 s4, s3, s4
	s_delay_alu instid0(SALU_CYCLE_1) | instskip(NEXT) | instid1(SALU_CYCLE_1)
	s_xor_b32 s4, s4, -1
	s_and_saveexec_b32 s6, s4
	s_delay_alu instid0(SALU_CYCLE_1)
	s_xor_b32 s4, exec_lo, s6
; %bb.121:
	v_and_b32_e32 v10, 0xffff, v13
	v_dual_cndmask_b32 v3, v9, v3, s3 :: v_dual_cndmask_b32 v2, v8, v2, s3
                                        ; implicit-def: $vgpr8_vgpr9
	s_delay_alu instid0(VALU_DEP_2)
	v_cndmask_b32_e64 v20, v10, 1, s3
; %bb.122:
	s_and_not1_saveexec_b32 s3, s4
	s_cbranch_execz .LBB46_124
; %bb.123:
	s_delay_alu instid0(VALU_DEP_2)
	v_min_i64 v[2:3], v[8:9], v[2:3]
	v_mov_b32_e32 v20, 1
.LBB46_124:
	s_or_b32 exec_lo, exec_lo, s3
	s_delay_alu instid0(SALU_CYCLE_1)
	s_or_b32 exec_lo, exec_lo, s5
	s_and_saveexec_b32 s4, s2
	s_cbranch_execz .LBB46_62
.LBB46_125:
	v_and_b32_e32 v8, 1, v20
	v_and_b32_e32 v9, 1, v12
                                        ; implicit-def: $vgpr20
	s_delay_alu instid0(VALU_DEP_2) | instskip(NEXT) | instid1(VALU_DEP_2)
	v_cmp_eq_u32_e64 s2, 1, v8
	v_cmp_eq_u32_e64 s3, 1, v9
	s_and_b32 s3, s2, s3
	s_delay_alu instid0(SALU_CYCLE_1) | instskip(NEXT) | instid1(SALU_CYCLE_1)
	s_xor_b32 s3, s3, -1
	s_and_saveexec_b32 s5, s3
	s_delay_alu instid0(SALU_CYCLE_1)
	s_xor_b32 s3, exec_lo, s5
; %bb.126:
	v_and_b32_e32 v8, 0xffff, v12
	v_dual_cndmask_b32 v3, v7, v3, s2 :: v_dual_cndmask_b32 v2, v6, v2, s2
                                        ; implicit-def: $vgpr6_vgpr7
	s_delay_alu instid0(VALU_DEP_2)
	v_cndmask_b32_e64 v20, v8, 1, s2
; %bb.127:
	s_and_not1_saveexec_b32 s2, s3
	s_cbranch_execz .LBB46_129
; %bb.128:
	s_delay_alu instid0(VALU_DEP_2)
	v_min_i64 v[2:3], v[6:7], v[2:3]
	v_mov_b32_e32 v20, 1
.LBB46_129:
	s_or_b32 exec_lo, exec_lo, s2
	s_delay_alu instid0(SALU_CYCLE_1)
	s_or_b32 exec_lo, exec_lo, s4
	s_and_saveexec_b32 s3, vcc_lo
	s_cbranch_execz .LBB46_135
.LBB46_130:
	v_and_b32_e32 v6, 1, v20
	v_and_b32_e32 v7, 1, v1
                                        ; implicit-def: $vgpr20
	s_delay_alu instid0(VALU_DEP_2) | instskip(NEXT) | instid1(VALU_DEP_2)
	v_cmp_eq_u32_e32 vcc_lo, 1, v6
	v_cmp_eq_u32_e64 s2, 1, v7
	s_and_b32 s2, vcc_lo, s2
	s_delay_alu instid0(SALU_CYCLE_1) | instskip(NEXT) | instid1(SALU_CYCLE_1)
	s_xor_b32 s2, s2, -1
	s_and_saveexec_b32 s4, s2
	s_delay_alu instid0(SALU_CYCLE_1)
	s_xor_b32 s2, exec_lo, s4
; %bb.131:
	v_and_b32_e32 v1, 0xffff, v1
	v_dual_cndmask_b32 v3, v5, v3 :: v_dual_cndmask_b32 v2, v4, v2
                                        ; implicit-def: $vgpr4_vgpr5
	s_delay_alu instid0(VALU_DEP_2)
	v_cndmask_b32_e64 v20, v1, 1, vcc_lo
; %bb.132:
	s_and_not1_saveexec_b32 s2, s2
	s_cbranch_execz .LBB46_134
; %bb.133:
	s_delay_alu instid0(VALU_DEP_2)
	v_min_i64 v[2:3], v[4:5], v[2:3]
	v_mov_b32_e32 v20, 1
.LBB46_134:
	s_or_b32 exec_lo, exec_lo, s2
.LBB46_135:
	s_delay_alu instid0(SALU_CYCLE_1) | instskip(SKIP_4) | instid1(VALU_DEP_2)
	s_or_b32 exec_lo, exec_lo, s3
	v_mbcnt_lo_u32_b32 v1, -1, 0
	v_and_b32_e32 v6, 0x60, v0
	s_min_u32 s3, s20, 0x80
	s_mov_b32 s2, exec_lo
	v_cmp_ne_u32_e32 vcc_lo, 31, v1
	s_delay_alu instid0(VALU_DEP_2) | instskip(SKIP_2) | instid1(VALU_DEP_1)
	v_sub_nc_u32_e64 v6, s3, v6 clamp
	v_add_nc_u32_e32 v8, 1, v1
	v_add_co_ci_u32_e64 v4, null, 0, v1, vcc_lo
	v_lshlrev_b32_e32 v5, 2, v4
	ds_bpermute_b32 v7, v5, v20
	ds_bpermute_b32 v4, v5, v2
	;; [unrolled: 1-line block ×3, first 2 shown]
	v_cmpx_lt_u32_e64 v8, v6
	s_xor_b32 s4, exec_lo, s2
	s_cbranch_execz .LBB46_137
; %bb.136:
	s_wait_dscnt 0x0
	v_min_i64 v[8:9], v[4:5], v[2:3]
	v_and_b32_e32 v10, 1, v20
	s_delay_alu instid0(VALU_DEP_1) | instskip(SKIP_3) | instid1(VALU_DEP_3)
	v_cmp_eq_u32_e32 vcc_lo, 1, v10
	v_and_b32_e32 v10, v7, v20
	v_and_b32_e32 v7, 0xff, v7
	v_dual_cndmask_b32 v2, v4, v2 :: v_dual_cndmask_b32 v3, v5, v3
	v_cmp_eq_u32_e64 s2, 0, v10
	s_delay_alu instid0(VALU_DEP_3) | instskip(NEXT) | instid1(VALU_DEP_1)
	v_cndmask_b32_e64 v4, v7, 1, vcc_lo
	v_dual_cndmask_b32 v20, 1, v4, s2 :: v_dual_cndmask_b32 v3, v9, v3, s2
	s_delay_alu instid0(VALU_DEP_4)
	v_cndmask_b32_e64 v2, v8, v2, s2
.LBB46_137:
	s_or_b32 exec_lo, exec_lo, s4
	v_cmp_gt_u32_e32 vcc_lo, 30, v1
	v_add_nc_u32_e32 v8, 2, v1
	s_mov_b32 s4, exec_lo
	s_wait_dscnt 0x1
	v_cndmask_b32_e64 v4, 0, 2, vcc_lo
	s_wait_dscnt 0x0
	s_delay_alu instid0(VALU_DEP_1)
	v_add_lshl_u32 v5, v4, v1, 2
	ds_bpermute_b32 v7, v5, v20
	ds_bpermute_b32 v4, v5, v2
	ds_bpermute_b32 v5, v5, v3
	v_cmpx_lt_u32_e64 v8, v6
	s_cbranch_execz .LBB46_139
; %bb.138:
	s_wait_dscnt 0x0
	v_min_i64 v[8:9], v[4:5], v[2:3]
	v_and_b32_e32 v10, 1, v20
	s_delay_alu instid0(VALU_DEP_1) | instskip(SKIP_3) | instid1(VALU_DEP_3)
	v_cmp_eq_u32_e32 vcc_lo, 1, v10
	v_bitop3_b32 v10, v20, 1, v7 bitop3:0x80
	v_and_b32_e32 v7, 0xff, v7
	v_cndmask_b32_e32 v2, v4, v2, vcc_lo
	v_cmp_eq_u32_e64 s2, 0, v10
	v_cndmask_b32_e32 v3, v5, v3, vcc_lo
	s_delay_alu instid0(VALU_DEP_4) | instskip(NEXT) | instid1(VALU_DEP_1)
	v_cndmask_b32_e64 v4, v7, 1, vcc_lo
	v_dual_cndmask_b32 v20, 1, v4, s2 :: v_dual_cndmask_b32 v2, v8, v2, s2
	s_delay_alu instid0(VALU_DEP_3)
	v_cndmask_b32_e64 v3, v9, v3, s2
.LBB46_139:
	s_or_b32 exec_lo, exec_lo, s4
	v_cmp_gt_u32_e32 vcc_lo, 28, v1
	v_add_nc_u32_e32 v8, 4, v1
	s_mov_b32 s4, exec_lo
	s_wait_dscnt 0x1
	v_cndmask_b32_e64 v4, 0, 4, vcc_lo
	s_wait_dscnt 0x0
	s_delay_alu instid0(VALU_DEP_1)
	v_add_lshl_u32 v5, v4, v1, 2
	ds_bpermute_b32 v7, v5, v20
	ds_bpermute_b32 v4, v5, v2
	ds_bpermute_b32 v5, v5, v3
	v_cmpx_lt_u32_e64 v8, v6
	s_cbranch_execz .LBB46_141
; %bb.140:
	s_wait_dscnt 0x0
	v_min_i64 v[8:9], v[4:5], v[2:3]
	v_and_b32_e32 v10, 1, v20
	s_delay_alu instid0(VALU_DEP_1) | instskip(SKIP_3) | instid1(VALU_DEP_3)
	v_cmp_eq_u32_e32 vcc_lo, 1, v10
	v_bitop3_b32 v10, v20, 1, v7 bitop3:0x80
	v_and_b32_e32 v7, 0xff, v7
	v_cndmask_b32_e32 v2, v4, v2, vcc_lo
	v_cmp_eq_u32_e64 s2, 0, v10
	v_cndmask_b32_e32 v3, v5, v3, vcc_lo
	s_delay_alu instid0(VALU_DEP_4) | instskip(NEXT) | instid1(VALU_DEP_1)
	v_cndmask_b32_e64 v4, v7, 1, vcc_lo
	v_dual_cndmask_b32 v20, 1, v4, s2 :: v_dual_cndmask_b32 v2, v8, v2, s2
	s_delay_alu instid0(VALU_DEP_3)
	v_cndmask_b32_e64 v3, v9, v3, s2
.LBB46_141:
	;; [unrolled: 31-line block ×3, first 2 shown]
	s_or_b32 exec_lo, exec_lo, s4
	s_wait_dscnt 0x2
	v_dual_lshlrev_b32 v7, 2, v1 :: v_dual_add_nc_u32 v9, 16, v1
	s_wait_dscnt 0x0
	s_delay_alu instid0(VALU_DEP_1) | instskip(NEXT) | instid1(VALU_DEP_2)
	v_or_b32_e32 v5, 64, v7
	v_cmp_lt_u32_e32 vcc_lo, v9, v6
	v_mov_b32_e32 v6, v20
	ds_bpermute_b32 v8, v5, v20
	ds_bpermute_b32 v4, v5, v2
	;; [unrolled: 1-line block ×3, first 2 shown]
	s_and_saveexec_b32 s4, vcc_lo
	s_cbranch_execz .LBB46_145
; %bb.144:
	s_wait_dscnt 0x0
	v_min_i64 v[10:11], v[4:5], v[2:3]
	v_and_b32_e32 v6, 1, v20
	v_bitop3_b32 v9, v20, 1, v8 bitop3:0x80
	s_delay_alu instid0(VALU_DEP_2) | instskip(NEXT) | instid1(VALU_DEP_2)
	v_cmp_eq_u32_e32 vcc_lo, 1, v6
	v_cmp_eq_u32_e64 s2, 0, v9
	v_cndmask_b32_e64 v6, v8, 1, vcc_lo
	v_dual_cndmask_b32 v3, v5, v3 :: v_dual_cndmask_b32 v2, v4, v2
	s_delay_alu instid0(VALU_DEP_2) | instskip(NEXT) | instid1(VALU_DEP_1)
	v_cndmask_b32_e64 v6, 1, v6, s2
	v_and_b32_e32 v20, 0xff, v6
	s_delay_alu instid0(VALU_DEP_3)
	v_dual_cndmask_b32 v3, v11, v3, s2 :: v_dual_cndmask_b32 v2, v10, v2, s2
.LBB46_145:
	s_or_b32 exec_lo, exec_lo, s4
	s_delay_alu instid0(SALU_CYCLE_1)
	s_mov_b32 s2, exec_lo
	v_cmpx_eq_u32_e32 0, v1
	s_cbranch_execz .LBB46_147
; %bb.146:
	s_wait_dscnt 0x1
	v_lshrrev_b32_e32 v4, 1, v0
	s_delay_alu instid0(VALU_DEP_1)
	v_and_b32_e32 v4, 48, v4
	ds_store_b8 v4, v6 offset:256
	ds_store_b64 v4, v[2:3] offset:264
.LBB46_147:
	s_or_b32 exec_lo, exec_lo, s2
	s_delay_alu instid0(SALU_CYCLE_1)
	s_mov_b32 s4, exec_lo
	s_wait_dscnt 0x0
	s_barrier_signal -1
	s_barrier_wait -1
	v_cmpx_gt_u32_e32 4, v0
	s_cbranch_execz .LBB46_153
; %bb.148:
	v_dual_lshlrev_b32 v2, 4, v1 :: v_dual_bitop2_b32 v6, 3, v1 bitop3:0x40
	s_add_co_i32 s3, s3, 31
	s_mov_b32 s5, exec_lo
	s_lshr_b32 s3, s3, 5
	ds_load_u8 v8, v2 offset:256
	ds_load_b64 v[2:3], v2 offset:264
	v_cmp_ne_u32_e32 vcc_lo, 3, v6
	v_add_nc_u32_e32 v9, 1, v6
	v_add_co_ci_u32_e64 v1, null, 0, v1, vcc_lo
	s_delay_alu instid0(VALU_DEP_1)
	v_lshlrev_b32_e32 v5, 2, v1
	s_wait_dscnt 0x1
	v_and_b32_e32 v20, 0xff, v8
	s_wait_dscnt 0x0
	ds_bpermute_b32 v4, v5, v2
	ds_bpermute_b32 v1, v5, v20
	;; [unrolled: 1-line block ×3, first 2 shown]
	v_cmpx_gt_u32_e64 s3, v9
	s_cbranch_execz .LBB46_150
; %bb.149:
	s_wait_dscnt 0x0
	v_min_i64 v[10:11], v[4:5], v[2:3]
	v_and_b32_e32 v8, 1, v8
	s_delay_alu instid0(VALU_DEP_1) | instskip(SKIP_3) | instid1(VALU_DEP_3)
	v_cmp_eq_u32_e32 vcc_lo, 1, v8
	v_bitop3_b32 v8, v20, 1, v1 bitop3:0x80
	v_and_b32_e32 v1, 0xff, v1
	v_cndmask_b32_e32 v2, v4, v2, vcc_lo
	v_cmp_eq_u32_e64 s2, 0, v8
	v_cndmask_b32_e32 v3, v5, v3, vcc_lo
	s_delay_alu instid0(VALU_DEP_4) | instskip(NEXT) | instid1(VALU_DEP_1)
	v_cndmask_b32_e64 v1, v1, 1, vcc_lo
	v_dual_cndmask_b32 v20, 1, v1, s2 :: v_dual_cndmask_b32 v2, v10, v2, s2
	s_delay_alu instid0(VALU_DEP_3)
	v_cndmask_b32_e64 v3, v11, v3, s2
.LBB46_150:
	s_or_b32 exec_lo, exec_lo, s5
	s_wait_dscnt 0x0
	v_dual_add_nc_u32 v6, 2, v6 :: v_dual_bitop2_b32 v5, 8, v7 bitop3:0x54
	ds_bpermute_b32 v1, v5, v20
	ds_bpermute_b32 v4, v5, v2
	;; [unrolled: 1-line block ×3, first 2 shown]
	v_cmp_gt_u32_e32 vcc_lo, s3, v6
	s_and_saveexec_b32 s3, vcc_lo
	s_cbranch_execz .LBB46_152
; %bb.151:
	s_wait_dscnt 0x0
	v_min_i64 v[6:7], v[4:5], v[2:3]
	v_and_b32_e32 v8, 1, v20
	s_delay_alu instid0(VALU_DEP_1) | instskip(SKIP_2) | instid1(VALU_DEP_2)
	v_cmp_eq_u32_e32 vcc_lo, 1, v8
	v_bitop3_b32 v8, v20, 1, v1 bitop3:0x80
	v_cndmask_b32_e32 v2, v4, v2, vcc_lo
	v_cmp_eq_u32_e64 s2, 0, v8
	v_cndmask_b32_e32 v3, v5, v3, vcc_lo
	v_cndmask_b32_e64 v1, v1, 1, vcc_lo
	s_delay_alu instid0(VALU_DEP_1) | instskip(NEXT) | instid1(VALU_DEP_3)
	v_dual_cndmask_b32 v20, 1, v1, s2 :: v_dual_cndmask_b32 v2, v6, v2, s2
	v_cndmask_b32_e64 v3, v7, v3, s2
.LBB46_152:
	s_or_b32 exec_lo, exec_lo, s3
.LBB46_153:
	s_delay_alu instid0(SALU_CYCLE_1)
	s_or_b32 exec_lo, exec_lo, s4
.LBB46_154:
	v_cmp_eq_u32_e64 s2, 0, v0
	s_branch .LBB46_211
.LBB46_155:
	s_cmp_gt_i32 s26, 1
	s_cbranch_scc0 .LBB46_167
; %bb.156:
	s_cmp_eq_u32 s26, 2
	s_cbranch_scc0 .LBB46_168
; %bb.157:
	s_bfe_u32 s2, ttmp6, 0x4000c
	s_and_b32 s3, ttmp6, 15
	s_add_co_i32 s2, s2, 1
	s_getreg_b32 s4, hwreg(HW_REG_IB_STS2, 6, 4)
	s_mul_i32 s2, ttmp9, s2
	s_mov_b32 s11, 0
	s_add_co_i32 s3, s3, s2
	s_cmp_eq_u32 s4, 0
	s_mov_b32 s21, s11
	s_cselect_b32 s10, ttmp9, s3
	s_lshr_b64 s[2:3], s[14:15], 8
	s_lshl_b32 s20, s10, 8
	s_delay_alu instid0(SALU_CYCLE_1)
	s_lshl_b64 s[6:7], s[20:21], 3
	s_cmp_lg_u64 s[2:3], s[10:11]
	s_add_nc_u64 s[4:5], s[16:17], s[6:7]
	s_add_nc_u64 s[8:9], s[18:19], s[6:7]
	;; [unrolled: 1-line block ×3, first 2 shown]
	s_cbranch_scc0 .LBB46_169
; %bb.158:
	global_load_b64 v[2:3], v0, s[4:5] scale_offset
	s_wait_dscnt 0x0
	s_clause 0x2
	global_load_b64 v[4:5], v0, s[8:9] scale_offset
	global_load_b64 v[6:7], v0, s[8:9] offset:1024 scale_offset
	global_load_b64 v[8:9], v0, s[4:5] offset:1024 scale_offset
	s_wait_loadcnt 0x2
	v_cmp_neq_f64_e32 vcc_lo, v[2:3], v[4:5]
	v_mov_b32_e32 v1, 0
	s_wait_loadcnt 0x0
	v_cmp_neq_f64_e64 s2, v[8:9], v[6:7]
	s_delay_alu instid0(VALU_DEP_2) | instskip(NEXT) | instid1(VALU_DEP_1)
	v_add_nc_u64_e32 v[10:11], s[6:7], v[0:1]
	v_add_nc_u64_e32 v[12:13], 0x80, v[10:11]
	s_delay_alu instid0(VALU_DEP_1) | instskip(SKIP_3) | instid1(VALU_DEP_2)
	v_dual_cndmask_b32 v3, v13, v11 :: v_dual_cndmask_b32 v2, v12, v10
	s_or_b32 vcc_lo, vcc_lo, s2
	s_mov_b32 s2, exec_lo
	v_cndmask_b32_e64 v8, 0, 1, vcc_lo
	v_mov_b32_dpp v5, v3 quad_perm:[1,0,3,2] row_mask:0xf bank_mask:0xf
	s_delay_alu instid0(VALU_DEP_2) | instskip(NEXT) | instid1(VALU_DEP_1)
	v_mov_b32_dpp v9, v8 quad_perm:[1,0,3,2] row_mask:0xf bank_mask:0xf
	v_and_b32_e32 v9, 1, v9
	v_mov_b32_dpp v4, v2 quad_perm:[1,0,3,2] row_mask:0xf bank_mask:0xf
	s_delay_alu instid0(VALU_DEP_1) | instskip(NEXT) | instid1(VALU_DEP_1)
	v_min_i64 v[6:7], v[2:3], v[4:5]
	v_dual_cndmask_b32 v4, v4, v6 :: v_dual_cndmask_b32 v5, v5, v7
	s_delay_alu instid0(VALU_DEP_4) | instskip(NEXT) | instid1(VALU_DEP_2)
	v_cmp_eq_u32_e32 vcc_lo, 1, v9
	v_dual_cndmask_b32 v3, v3, v5 :: v_dual_cndmask_b32 v2, v2, v4
	v_cndmask_b32_e64 v8, v8, 1, vcc_lo
	s_delay_alu instid0(VALU_DEP_2) | instskip(NEXT) | instid1(VALU_DEP_3)
	v_mov_b32_dpp v5, v3 quad_perm:[2,3,0,1] row_mask:0xf bank_mask:0xf
	v_mov_b32_dpp v4, v2 quad_perm:[2,3,0,1] row_mask:0xf bank_mask:0xf
	s_delay_alu instid0(VALU_DEP_3) | instskip(NEXT) | instid1(VALU_DEP_2)
	v_mov_b32_dpp v10, v8 quad_perm:[2,3,0,1] row_mask:0xf bank_mask:0xf
	v_min_i64 v[6:7], v[2:3], v[4:5]
	v_and_b32_e32 v9, 1, v8
	s_delay_alu instid0(VALU_DEP_1) | instskip(NEXT) | instid1(VALU_DEP_3)
	v_cmp_eq_u32_e32 vcc_lo, 1, v9
	v_dual_cndmask_b32 v5, v5, v7, vcc_lo :: v_dual_bitop2_b32 v9, 1, v10 bitop3:0x40
	s_delay_alu instid0(VALU_DEP_4) | instskip(NEXT) | instid1(VALU_DEP_2)
	v_cndmask_b32_e32 v4, v4, v6, vcc_lo
	v_cmp_eq_u32_e32 vcc_lo, 1, v9
	s_delay_alu instid0(VALU_DEP_2) | instskip(SKIP_1) | instid1(VALU_DEP_2)
	v_dual_cndmask_b32 v3, v3, v5 :: v_dual_cndmask_b32 v2, v2, v4
	v_cndmask_b32_e64 v8, v8, 1, vcc_lo
	v_mov_b32_dpp v5, v3 row_ror:4 row_mask:0xf bank_mask:0xf
	s_delay_alu instid0(VALU_DEP_3) | instskip(NEXT) | instid1(VALU_DEP_3)
	v_mov_b32_dpp v4, v2 row_ror:4 row_mask:0xf bank_mask:0xf
	v_mov_b32_dpp v10, v8 row_ror:4 row_mask:0xf bank_mask:0xf
	s_delay_alu instid0(VALU_DEP_2) | instskip(SKIP_1) | instid1(VALU_DEP_1)
	v_min_i64 v[6:7], v[2:3], v[4:5]
	v_and_b32_e32 v9, 1, v8
	v_cmp_eq_u32_e32 vcc_lo, 1, v9
	s_delay_alu instid0(VALU_DEP_3) | instskip(NEXT) | instid1(VALU_DEP_4)
	v_dual_cndmask_b32 v5, v5, v7, vcc_lo :: v_dual_bitop2_b32 v9, 1, v10 bitop3:0x40
	v_cndmask_b32_e32 v4, v4, v6, vcc_lo
	s_delay_alu instid0(VALU_DEP_2) | instskip(NEXT) | instid1(VALU_DEP_2)
	v_cmp_eq_u32_e32 vcc_lo, 1, v9
	v_dual_cndmask_b32 v3, v3, v5 :: v_dual_cndmask_b32 v2, v2, v4
	v_cndmask_b32_e64 v8, v8, 1, vcc_lo
	s_delay_alu instid0(VALU_DEP_2) | instskip(NEXT) | instid1(VALU_DEP_3)
	v_mov_b32_dpp v5, v3 row_ror:8 row_mask:0xf bank_mask:0xf
	v_mov_b32_dpp v4, v2 row_ror:8 row_mask:0xf bank_mask:0xf
	s_delay_alu instid0(VALU_DEP_3) | instskip(NEXT) | instid1(VALU_DEP_2)
	v_mov_b32_dpp v10, v8 row_ror:8 row_mask:0xf bank_mask:0xf
	v_min_i64 v[6:7], v[2:3], v[4:5]
	v_and_b32_e32 v9, 1, v8
	s_delay_alu instid0(VALU_DEP_1) | instskip(NEXT) | instid1(VALU_DEP_3)
	v_cmp_eq_u32_e32 vcc_lo, 1, v9
	v_dual_cndmask_b32 v5, v5, v7, vcc_lo :: v_dual_bitop2_b32 v9, 1, v10 bitop3:0x40
	s_delay_alu instid0(VALU_DEP_4) | instskip(NEXT) | instid1(VALU_DEP_2)
	v_cndmask_b32_e32 v4, v4, v6, vcc_lo
	v_cmp_eq_u32_e32 vcc_lo, 1, v9
	s_delay_alu instid0(VALU_DEP_2)
	v_dual_cndmask_b32 v3, v3, v5 :: v_dual_cndmask_b32 v2, v2, v4
	v_cndmask_b32_e64 v8, v8, 1, vcc_lo
	ds_swizzle_b32 v5, v3 offset:swizzle(BROADCAST,32,15)
	ds_swizzle_b32 v4, v2 offset:swizzle(BROADCAST,32,15)
	;; [unrolled: 1-line block ×3, first 2 shown]
	s_wait_dscnt 0x1
	v_min_i64 v[6:7], v[2:3], v[4:5]
	v_and_b32_e32 v10, 1, v8
	s_delay_alu instid0(VALU_DEP_1) | instskip(SKIP_1) | instid1(VALU_DEP_3)
	v_cmp_eq_u32_e32 vcc_lo, 1, v10
	s_wait_dscnt 0x0
	v_dual_cndmask_b32 v5, v5, v7, vcc_lo :: v_dual_bitop2_b32 v9, 1, v9 bitop3:0x40
	s_delay_alu instid0(VALU_DEP_4) | instskip(NEXT) | instid1(VALU_DEP_2)
	v_cndmask_b32_e32 v4, v4, v6, vcc_lo
	v_cmp_eq_u32_e32 vcc_lo, 1, v9
	s_delay_alu instid0(VALU_DEP_2)
	v_dual_cndmask_b32 v3, v3, v5 :: v_dual_cndmask_b32 v2, v2, v4
	v_cndmask_b32_e64 v5, v8, 1, vcc_lo
	ds_bpermute_b32 v3, v1, v3 offset:124
	ds_bpermute_b32 v2, v1, v2 offset:124
	;; [unrolled: 1-line block ×3, first 2 shown]
	v_mbcnt_lo_u32_b32 v1, -1, 0
	s_delay_alu instid0(VALU_DEP_1)
	v_cmpx_eq_u32_e32 0, v1
	s_cbranch_execz .LBB46_160
; %bb.159:
	v_lshrrev_b32_e32 v4, 1, v0
	s_delay_alu instid0(VALU_DEP_1)
	v_and_b32_e32 v4, 48, v4
	s_wait_dscnt 0x0
	ds_store_b8 v4, v20 offset:64
	ds_store_b64 v4, v[2:3] offset:72
.LBB46_160:
	s_or_b32 exec_lo, exec_lo, s2
	s_delay_alu instid0(SALU_CYCLE_1)
	s_mov_b32 s2, exec_lo
	s_wait_dscnt 0x0
	s_barrier_signal -1
	s_barrier_wait -1
	v_cmpx_gt_u32_e32 32, v0
	s_cbranch_execz .LBB46_166
; %bb.161:
	v_and_b32_e32 v2, 3, v1
	s_delay_alu instid0(VALU_DEP_1) | instskip(SKIP_2) | instid1(VALU_DEP_1)
	v_cmp_ne_u32_e32 vcc_lo, 3, v2
	v_lshlrev_b32_e32 v3, 4, v2
	v_add_co_ci_u32_e64 v2, null, 0, v1, vcc_lo
	v_lshlrev_b32_e32 v2, 2, v2
	ds_load_u8 v8, v3 offset:64
	ds_load_b64 v[4:5], v3 offset:72
	s_wait_dscnt 0x1
	v_and_b32_e32 v3, 0xff, v8
	s_wait_dscnt 0x0
	ds_bpermute_b32 v6, v2, v4
	ds_bpermute_b32 v7, v2, v5
	;; [unrolled: 1-line block ×3, first 2 shown]
	s_wait_dscnt 0x0
	v_and_b32_e32 v2, v8, v9
	s_delay_alu instid0(VALU_DEP_1) | instskip(NEXT) | instid1(VALU_DEP_1)
	v_and_b32_e32 v2, 1, v2
	v_cmp_eq_u32_e32 vcc_lo, 1, v2
                                        ; implicit-def: $vgpr2_vgpr3
	s_and_saveexec_b32 s3, vcc_lo
	s_delay_alu instid0(SALU_CYCLE_1)
	s_xor_b32 s3, exec_lo, s3
; %bb.162:
	v_min_i64 v[2:3], v[6:7], v[4:5]
                                        ; implicit-def: $vgpr8
                                        ; implicit-def: $vgpr6_vgpr7
                                        ; implicit-def: $vgpr4_vgpr5
                                        ; implicit-def: $vgpr9
; %bb.163:
	s_or_saveexec_b32 s3, s3
	v_dual_mov_b32 v10, 1 :: v_dual_lshlrev_b32 v1, 2, v1
	s_xor_b32 exec_lo, exec_lo, s3
; %bb.164:
	v_and_b32_e32 v2, 1, v8
	v_and_b32_e32 v8, 0xff, v9
	s_delay_alu instid0(VALU_DEP_2) | instskip(SKIP_1) | instid1(VALU_DEP_3)
	v_cmp_eq_u32_e32 vcc_lo, 1, v2
	v_dual_cndmask_b32 v3, v7, v5 :: v_dual_cndmask_b32 v2, v6, v4
	v_cndmask_b32_e64 v10, v8, 1, vcc_lo
; %bb.165:
	s_or_b32 exec_lo, exec_lo, s3
	s_delay_alu instid0(VALU_DEP_1) | instskip(NEXT) | instid1(VALU_DEP_1)
	v_and_b32_e32 v8, 1, v10
	v_cmp_eq_u32_e32 vcc_lo, 1, v8
	v_or_b32_e32 v1, 8, v1
	ds_bpermute_b32 v4, v1, v2
	ds_bpermute_b32 v5, v1, v3
	s_wait_dscnt 0x0
	v_min_i64 v[6:7], v[4:5], v[2:3]
	v_cndmask_b32_e32 v2, v4, v2, vcc_lo
	ds_bpermute_b32 v1, v1, v10
	v_cndmask_b32_e32 v3, v5, v3, vcc_lo
	s_wait_dscnt 0x0
	v_bitop3_b32 v8, v10, 1, v1 bitop3:0x80
	v_cndmask_b32_e64 v1, v1, 1, vcc_lo
	s_delay_alu instid0(VALU_DEP_2) | instskip(NEXT) | instid1(VALU_DEP_2)
	v_cmp_eq_u32_e32 vcc_lo, 0, v8
	v_dual_cndmask_b32 v20, 1, v1 :: v_dual_cndmask_b32 v3, v7, v3
	v_cndmask_b32_e32 v2, v6, v2, vcc_lo
.LBB46_166:
	s_or_b32 exec_lo, exec_lo, s2
	s_branch .LBB46_193
.LBB46_167:
                                        ; implicit-def: $sgpr10_sgpr11
                                        ; implicit-def: $vgpr2_vgpr3
                                        ; implicit-def: $vgpr20
	s_cbranch_execnz .LBB46_194
	s_branch .LBB46_211
.LBB46_168:
                                        ; implicit-def: $sgpr10_sgpr11
                                        ; implicit-def: $vgpr2_vgpr3
                                        ; implicit-def: $vgpr20
	s_branch .LBB46_211
.LBB46_169:
                                        ; implicit-def: $vgpr2_vgpr3
                                        ; implicit-def: $vgpr20
	s_cbranch_execz .LBB46_193
; %bb.170:
	s_wait_dscnt 0x0
	v_mov_b64_e32 v[4:5], 0
	v_mov_b64_e32 v[2:3], 0
	v_dual_mov_b32 v7, 0 :: v_dual_mov_b32 v1, 0
	s_sub_co_i32 s20, s14, s20
	s_mov_b32 s2, exec_lo
	v_cmpx_gt_u32_e64 s20, v0
	s_cbranch_execz .LBB46_172
; %bb.171:
	s_clause 0x1
	global_load_b64 v[8:9], v0, s[4:5] scale_offset
	global_load_b64 v[10:11], v0, s[8:9] scale_offset
	v_mov_b32_e32 v1, 0
	s_delay_alu instid0(VALU_DEP_1)
	v_add_nc_u64_e32 v[2:3], s[6:7], v[0:1]
	s_wait_loadcnt 0x0
	v_cmp_neq_f64_e32 vcc_lo, v[8:9], v[10:11]
	v_cndmask_b32_e64 v1, 0, 1, vcc_lo
.LBB46_172:
	s_or_b32 exec_lo, exec_lo, s2
	v_or_b32_e32 v6, 0x80, v0
	s_delay_alu instid0(VALU_DEP_1)
	v_cmp_gt_u32_e32 vcc_lo, s20, v6
	s_and_saveexec_b32 s3, vcc_lo
	s_cbranch_execz .LBB46_174
; %bb.173:
	s_clause 0x1
	global_load_b64 v[8:9], v0, s[4:5] offset:1024 scale_offset
	global_load_b64 v[10:11], v0, s[8:9] offset:1024 scale_offset
	v_mov_b32_e32 v7, 0
	s_delay_alu instid0(VALU_DEP_1) | instskip(SKIP_2) | instid1(VALU_DEP_1)
	v_add_nc_u64_e32 v[4:5], s[6:7], v[6:7]
	s_wait_loadcnt 0x0
	v_cmp_neq_f64_e64 s2, v[8:9], v[10:11]
	v_cndmask_b32_e64 v7, 0, 1, s2
.LBB46_174:
	s_or_b32 exec_lo, exec_lo, s3
	s_delay_alu instid0(VALU_DEP_3) | instskip(NEXT) | instid1(VALU_DEP_2)
	v_min_i64 v[8:9], v[4:5], v[2:3]
	v_and_b32_e32 v6, 1, v7
	v_and_b32_e32 v10, 0xffff, v1
	;; [unrolled: 1-line block ×3, first 2 shown]
	s_mov_b32 s4, exec_lo
	s_delay_alu instid0(VALU_DEP_3) | instskip(SKIP_2) | instid1(VALU_DEP_1)
	v_cmp_eq_u32_e64 s2, 1, v6
	v_and_b32_e32 v6, 1, v1
	v_mbcnt_lo_u32_b32 v1, -1, 0
	v_cmp_ne_u32_e64 s3, 31, v1
	s_delay_alu instid0(VALU_DEP_4) | instskip(NEXT) | instid1(VALU_DEP_4)
	v_dual_cndmask_b32 v9, v3, v9, s2 :: v_dual_cndmask_b32 v8, v2, v8, s2
	v_cmp_eq_u32_e64 s2, 1, v6
	s_delay_alu instid0(VALU_DEP_1) | instskip(NEXT) | instid1(VALU_DEP_4)
	v_cndmask_b32_e64 v6, v7, 1, s2
	v_add_co_ci_u32_e64 v7, null, 0, v1, s3
	s_delay_alu instid0(VALU_DEP_4) | instskip(NEXT) | instid1(VALU_DEP_2)
	v_dual_cndmask_b32 v4, v4, v8, s2 :: v_dual_cndmask_b32 v5, v5, v9, s2
	v_dual_cndmask_b32 v20, v10, v6, vcc_lo :: v_dual_lshlrev_b32 v6, 2, v7
	s_min_u32 s3, s20, 0x80
	s_delay_alu instid0(VALU_DEP_2)
	v_dual_cndmask_b32 v2, v2, v4 :: v_dual_cndmask_b32 v3, v3, v5
	v_add_nc_u32_e32 v8, 1, v1
	ds_bpermute_b32 v7, v6, v20
	ds_bpermute_b32 v4, v6, v2
	;; [unrolled: 1-line block ×3, first 2 shown]
	v_and_b32_e32 v6, 0x60, v0
	s_delay_alu instid0(VALU_DEP_1) | instskip(NEXT) | instid1(VALU_DEP_1)
	v_sub_nc_u32_e64 v6, s3, v6 clamp
	v_cmpx_lt_u32_e64 v8, v6
	s_cbranch_execz .LBB46_176
; %bb.175:
	s_wait_dscnt 0x0
	v_min_i64 v[8:9], v[4:5], v[2:3]
	v_and_b32_e32 v10, 1, v20
	s_delay_alu instid0(VALU_DEP_1) | instskip(SKIP_3) | instid1(VALU_DEP_3)
	v_cmp_eq_u32_e32 vcc_lo, 1, v10
	v_and_b32_e32 v10, v20, v7
	v_and_b32_e32 v7, 0xff, v7
	v_cndmask_b32_e32 v2, v4, v2, vcc_lo
	v_cmp_eq_u32_e64 s2, 0, v10
	v_cndmask_b32_e32 v3, v5, v3, vcc_lo
	s_delay_alu instid0(VALU_DEP_4) | instskip(NEXT) | instid1(VALU_DEP_1)
	v_cndmask_b32_e64 v4, v7, 1, vcc_lo
	v_dual_cndmask_b32 v20, 1, v4, s2 :: v_dual_cndmask_b32 v2, v8, v2, s2
	s_delay_alu instid0(VALU_DEP_3)
	v_cndmask_b32_e64 v3, v9, v3, s2
.LBB46_176:
	s_or_b32 exec_lo, exec_lo, s4
	v_cmp_gt_u32_e32 vcc_lo, 30, v1
	v_add_nc_u32_e32 v8, 2, v1
	s_mov_b32 s4, exec_lo
	s_wait_dscnt 0x1
	v_cndmask_b32_e64 v4, 0, 2, vcc_lo
	s_wait_dscnt 0x0
	s_delay_alu instid0(VALU_DEP_1)
	v_add_lshl_u32 v5, v4, v1, 2
	ds_bpermute_b32 v7, v5, v20
	ds_bpermute_b32 v4, v5, v2
	ds_bpermute_b32 v5, v5, v3
	v_cmpx_lt_u32_e64 v8, v6
	s_cbranch_execz .LBB46_178
; %bb.177:
	s_wait_dscnt 0x0
	v_min_i64 v[8:9], v[4:5], v[2:3]
	v_and_b32_e32 v10, 1, v20
	s_delay_alu instid0(VALU_DEP_1) | instskip(SKIP_3) | instid1(VALU_DEP_3)
	v_cmp_eq_u32_e32 vcc_lo, 1, v10
	v_bitop3_b32 v10, v20, 1, v7 bitop3:0x80
	v_and_b32_e32 v7, 0xff, v7
	v_cndmask_b32_e32 v2, v4, v2, vcc_lo
	v_cmp_eq_u32_e64 s2, 0, v10
	v_cndmask_b32_e32 v3, v5, v3, vcc_lo
	s_delay_alu instid0(VALU_DEP_4) | instskip(NEXT) | instid1(VALU_DEP_1)
	v_cndmask_b32_e64 v4, v7, 1, vcc_lo
	v_dual_cndmask_b32 v20, 1, v4, s2 :: v_dual_cndmask_b32 v2, v8, v2, s2
	s_delay_alu instid0(VALU_DEP_3)
	v_cndmask_b32_e64 v3, v9, v3, s2
.LBB46_178:
	s_or_b32 exec_lo, exec_lo, s4
	v_cmp_gt_u32_e32 vcc_lo, 28, v1
	v_add_nc_u32_e32 v8, 4, v1
	s_mov_b32 s4, exec_lo
	s_wait_dscnt 0x1
	v_cndmask_b32_e64 v4, 0, 4, vcc_lo
	s_wait_dscnt 0x0
	s_delay_alu instid0(VALU_DEP_1)
	v_add_lshl_u32 v5, v4, v1, 2
	ds_bpermute_b32 v7, v5, v20
	ds_bpermute_b32 v4, v5, v2
	ds_bpermute_b32 v5, v5, v3
	v_cmpx_lt_u32_e64 v8, v6
	s_cbranch_execz .LBB46_180
; %bb.179:
	s_wait_dscnt 0x0
	v_min_i64 v[8:9], v[4:5], v[2:3]
	v_and_b32_e32 v10, 1, v20
	s_delay_alu instid0(VALU_DEP_1) | instskip(SKIP_3) | instid1(VALU_DEP_3)
	v_cmp_eq_u32_e32 vcc_lo, 1, v10
	v_bitop3_b32 v10, v20, 1, v7 bitop3:0x80
	v_and_b32_e32 v7, 0xff, v7
	v_cndmask_b32_e32 v2, v4, v2, vcc_lo
	v_cmp_eq_u32_e64 s2, 0, v10
	v_cndmask_b32_e32 v3, v5, v3, vcc_lo
	s_delay_alu instid0(VALU_DEP_4) | instskip(NEXT) | instid1(VALU_DEP_1)
	v_cndmask_b32_e64 v4, v7, 1, vcc_lo
	v_dual_cndmask_b32 v20, 1, v4, s2 :: v_dual_cndmask_b32 v2, v8, v2, s2
	s_delay_alu instid0(VALU_DEP_3)
	v_cndmask_b32_e64 v3, v9, v3, s2
.LBB46_180:
	;; [unrolled: 31-line block ×3, first 2 shown]
	s_or_b32 exec_lo, exec_lo, s4
	s_wait_dscnt 0x2
	v_dual_lshlrev_b32 v7, 2, v1 :: v_dual_add_nc_u32 v9, 16, v1
	s_wait_dscnt 0x0
	s_delay_alu instid0(VALU_DEP_1) | instskip(NEXT) | instid1(VALU_DEP_2)
	v_or_b32_e32 v5, 64, v7
	v_cmp_lt_u32_e32 vcc_lo, v9, v6
	v_mov_b32_e32 v6, v20
	ds_bpermute_b32 v8, v5, v20
	ds_bpermute_b32 v4, v5, v2
	ds_bpermute_b32 v5, v5, v3
	s_and_saveexec_b32 s4, vcc_lo
	s_cbranch_execz .LBB46_184
; %bb.183:
	s_wait_dscnt 0x0
	v_min_i64 v[10:11], v[4:5], v[2:3]
	v_and_b32_e32 v6, 1, v20
	v_bitop3_b32 v9, v20, 1, v8 bitop3:0x80
	s_delay_alu instid0(VALU_DEP_2) | instskip(NEXT) | instid1(VALU_DEP_2)
	v_cmp_eq_u32_e32 vcc_lo, 1, v6
	v_cmp_eq_u32_e64 s2, 0, v9
	v_cndmask_b32_e64 v6, v8, 1, vcc_lo
	v_dual_cndmask_b32 v3, v5, v3 :: v_dual_cndmask_b32 v2, v4, v2
	s_delay_alu instid0(VALU_DEP_2) | instskip(NEXT) | instid1(VALU_DEP_1)
	v_cndmask_b32_e64 v6, 1, v6, s2
	v_and_b32_e32 v20, 0xff, v6
	s_delay_alu instid0(VALU_DEP_3)
	v_dual_cndmask_b32 v3, v11, v3, s2 :: v_dual_cndmask_b32 v2, v10, v2, s2
.LBB46_184:
	s_or_b32 exec_lo, exec_lo, s4
	s_delay_alu instid0(SALU_CYCLE_1)
	s_mov_b32 s2, exec_lo
	v_cmpx_eq_u32_e32 0, v1
	s_cbranch_execz .LBB46_186
; %bb.185:
	s_wait_dscnt 0x1
	v_lshrrev_b32_e32 v4, 1, v0
	s_delay_alu instid0(VALU_DEP_1)
	v_and_b32_e32 v4, 48, v4
	ds_store_b8 v4, v6 offset:256
	ds_store_b64 v4, v[2:3] offset:264
.LBB46_186:
	s_or_b32 exec_lo, exec_lo, s2
	s_delay_alu instid0(SALU_CYCLE_1)
	s_mov_b32 s4, exec_lo
	s_wait_dscnt 0x0
	s_barrier_signal -1
	s_barrier_wait -1
	v_cmpx_gt_u32_e32 4, v0
	s_cbranch_execz .LBB46_192
; %bb.187:
	v_dual_lshlrev_b32 v2, 4, v1 :: v_dual_bitop2_b32 v6, 3, v1 bitop3:0x40
	s_add_co_i32 s3, s3, 31
	s_mov_b32 s5, exec_lo
	s_lshr_b32 s3, s3, 5
	ds_load_u8 v8, v2 offset:256
	ds_load_b64 v[2:3], v2 offset:264
	v_cmp_ne_u32_e32 vcc_lo, 3, v6
	v_add_nc_u32_e32 v9, 1, v6
	v_add_co_ci_u32_e64 v1, null, 0, v1, vcc_lo
	s_delay_alu instid0(VALU_DEP_1)
	v_lshlrev_b32_e32 v5, 2, v1
	s_wait_dscnt 0x1
	v_and_b32_e32 v20, 0xff, v8
	s_wait_dscnt 0x0
	ds_bpermute_b32 v4, v5, v2
	ds_bpermute_b32 v1, v5, v20
	;; [unrolled: 1-line block ×3, first 2 shown]
	v_cmpx_gt_u32_e64 s3, v9
	s_cbranch_execz .LBB46_189
; %bb.188:
	s_wait_dscnt 0x0
	v_min_i64 v[10:11], v[4:5], v[2:3]
	v_and_b32_e32 v8, 1, v8
	s_delay_alu instid0(VALU_DEP_1) | instskip(SKIP_3) | instid1(VALU_DEP_3)
	v_cmp_eq_u32_e32 vcc_lo, 1, v8
	v_bitop3_b32 v8, v20, 1, v1 bitop3:0x80
	v_and_b32_e32 v1, 0xff, v1
	v_cndmask_b32_e32 v2, v4, v2, vcc_lo
	v_cmp_eq_u32_e64 s2, 0, v8
	v_cndmask_b32_e32 v3, v5, v3, vcc_lo
	s_delay_alu instid0(VALU_DEP_4) | instskip(NEXT) | instid1(VALU_DEP_1)
	v_cndmask_b32_e64 v1, v1, 1, vcc_lo
	v_dual_cndmask_b32 v20, 1, v1, s2 :: v_dual_cndmask_b32 v2, v10, v2, s2
	s_delay_alu instid0(VALU_DEP_3)
	v_cndmask_b32_e64 v3, v11, v3, s2
.LBB46_189:
	s_or_b32 exec_lo, exec_lo, s5
	s_wait_dscnt 0x0
	v_dual_add_nc_u32 v6, 2, v6 :: v_dual_bitop2_b32 v5, 8, v7 bitop3:0x54
	ds_bpermute_b32 v1, v5, v20
	ds_bpermute_b32 v4, v5, v2
	ds_bpermute_b32 v5, v5, v3
	v_cmp_gt_u32_e32 vcc_lo, s3, v6
	s_and_saveexec_b32 s3, vcc_lo
	s_cbranch_execz .LBB46_191
; %bb.190:
	s_wait_dscnt 0x0
	v_min_i64 v[6:7], v[4:5], v[2:3]
	v_and_b32_e32 v8, 1, v20
	s_delay_alu instid0(VALU_DEP_1) | instskip(SKIP_2) | instid1(VALU_DEP_2)
	v_cmp_eq_u32_e32 vcc_lo, 1, v8
	v_bitop3_b32 v8, v20, 1, v1 bitop3:0x80
	v_cndmask_b32_e32 v2, v4, v2, vcc_lo
	v_cmp_eq_u32_e64 s2, 0, v8
	v_cndmask_b32_e32 v3, v5, v3, vcc_lo
	v_cndmask_b32_e64 v1, v1, 1, vcc_lo
	s_delay_alu instid0(VALU_DEP_1) | instskip(NEXT) | instid1(VALU_DEP_3)
	v_dual_cndmask_b32 v20, 1, v1, s2 :: v_dual_cndmask_b32 v2, v6, v2, s2
	v_cndmask_b32_e64 v3, v7, v3, s2
.LBB46_191:
	s_or_b32 exec_lo, exec_lo, s3
.LBB46_192:
	s_delay_alu instid0(SALU_CYCLE_1)
	s_or_b32 exec_lo, exec_lo, s4
.LBB46_193:
	v_cmp_eq_u32_e64 s2, 0, v0
	s_branch .LBB46_211
.LBB46_194:
	s_cmp_eq_u32 s26, 1
	s_cbranch_scc0 .LBB46_210
; %bb.195:
	s_bfe_u32 s2, ttmp6, 0x4000c
	s_and_b32 s3, ttmp6, 15
	s_add_co_i32 s2, s2, 1
	s_getreg_b32 s4, hwreg(HW_REG_IB_STS2, 6, 4)
	s_mul_i32 s2, ttmp9, s2
	s_mov_b32 s5, 0
	s_add_co_i32 s3, s3, s2
	s_cmp_eq_u32 s4, 0
	v_mbcnt_lo_u32_b32 v8, -1, 0
	s_cselect_b32 s10, ttmp9, s3
	s_mov_b32 s11, s5
	s_lshr_b64 s[2:3], s[14:15], 7
	s_lshl_b32 s4, s10, 7
	s_cmp_lg_u64 s[2:3], s[10:11]
	s_cbranch_scc0 .LBB46_214
; %bb.196:
	s_lshl_b64 s[2:3], s[4:5], 3
	s_delay_alu instid0(SALU_CYCLE_1)
	s_add_nc_u64 s[6:7], s[16:17], s[2:3]
	s_add_nc_u64 s[2:3], s[18:19], s[2:3]
	global_load_b64 v[2:3], v0, s[6:7] scale_offset
	s_wait_dscnt 0x0
	global_load_b64 v[4:5], v0, s[2:3] scale_offset
	s_wait_xcnt 0x0
	s_add_nc_u64 s[2:3], s[12:13], s[4:5]
	s_wait_loadcnt 0x0
	v_cmp_neq_f64_e32 vcc_lo, v[2:3], v[4:5]
	v_cndmask_b32_e64 v2, 0, 1, vcc_lo
	s_delay_alu instid0(VALU_DEP_1) | instskip(NEXT) | instid1(VALU_DEP_1)
	v_mov_b32_dpp v2, v2 quad_perm:[1,0,3,2] row_mask:0xf bank_mask:0xf
	v_dual_mov_b32 v1, 0 :: v_dual_bitop2_b32 v2, 1, v2 bitop3:0x40
	s_delay_alu instid0(VALU_DEP_1) | instskip(NEXT) | instid1(VALU_DEP_2)
	v_add_nc_u64_e32 v[6:7], s[2:3], v[0:1]
	v_cmp_eq_u32_e64 s2, 1, v2
	s_delay_alu instid0(VALU_DEP_2) | instskip(NEXT) | instid1(VALU_DEP_3)
	v_mov_b32_dpp v10, v6 quad_perm:[1,0,3,2] row_mask:0xf bank_mask:0xf
	v_mov_b32_dpp v11, v7 quad_perm:[1,0,3,2] row_mask:0xf bank_mask:0xf
	s_delay_alu instid0(VALU_DEP_1) | instskip(NEXT) | instid1(VALU_DEP_1)
	v_min_i64 v[12:13], v[6:7], v[10:11]
	v_dual_cndmask_b32 v4, v10, v12 :: v_dual_cndmask_b32 v3, v11, v13
	s_or_b32 vcc_lo, s2, vcc_lo
	s_delay_alu instid0(SALU_CYCLE_1) | instskip(NEXT) | instid1(VALU_DEP_2)
	v_cndmask_b32_e64 v9, 0, 1, vcc_lo
	v_dual_cndmask_b32 v2, v6, v4, s2 :: v_dual_cndmask_b32 v3, v7, v3, s2
	s_delay_alu instid0(VALU_DEP_2) | instskip(NEXT) | instid1(VALU_DEP_2)
	v_mov_b32_dpp v9, v9 quad_perm:[2,3,0,1] row_mask:0xf bank_mask:0xf
	v_mov_b32_dpp v4, v2 quad_perm:[2,3,0,1] row_mask:0xf bank_mask:0xf
	s_delay_alu instid0(VALU_DEP_3) | instskip(NEXT) | instid1(VALU_DEP_1)
	v_mov_b32_dpp v5, v3 quad_perm:[2,3,0,1] row_mask:0xf bank_mask:0xf
	v_min_i64 v[6:7], v[2:3], v[4:5]
	s_delay_alu instid0(VALU_DEP_1) | instskip(NEXT) | instid1(VALU_DEP_1)
	v_dual_cndmask_b32 v4, v4, v6, vcc_lo :: v_dual_bitop2_b32 v9, 1, v9 bitop3:0x40
	v_cmp_eq_u32_e64 s2, 1, v9
	s_delay_alu instid0(VALU_DEP_1) | instskip(SKIP_1) | instid1(SALU_CYCLE_1)
	v_dual_cndmask_b32 v5, v5, v7, vcc_lo :: v_dual_cndmask_b32 v2, v2, v4, s2
	s_or_b32 vcc_lo, s2, vcc_lo
	v_cndmask_b32_e64 v9, 0, 1, vcc_lo
	s_delay_alu instid0(VALU_DEP_2) | instskip(NEXT) | instid1(VALU_DEP_3)
	v_mov_b32_dpp v4, v2 row_ror:4 row_mask:0xf bank_mask:0xf
	v_cndmask_b32_e64 v3, v3, v5, s2
	s_delay_alu instid0(VALU_DEP_3) | instskip(NEXT) | instid1(VALU_DEP_2)
	v_mov_b32_dpp v9, v9 row_ror:4 row_mask:0xf bank_mask:0xf
	v_mov_b32_dpp v5, v3 row_ror:4 row_mask:0xf bank_mask:0xf
	s_delay_alu instid0(VALU_DEP_1) | instskip(NEXT) | instid1(VALU_DEP_1)
	v_min_i64 v[6:7], v[2:3], v[4:5]
	v_dual_cndmask_b32 v5, v5, v7, vcc_lo :: v_dual_bitop2_b32 v9, 1, v9 bitop3:0x40
	s_delay_alu instid0(VALU_DEP_2) | instskip(NEXT) | instid1(VALU_DEP_2)
	v_cndmask_b32_e32 v4, v4, v6, vcc_lo
	v_cmp_eq_u32_e64 s2, 1, v9
	s_delay_alu instid0(VALU_DEP_1) | instskip(SKIP_1) | instid1(SALU_CYCLE_1)
	v_dual_cndmask_b32 v3, v3, v5, s2 :: v_dual_cndmask_b32 v2, v2, v4, s2
	s_or_b32 vcc_lo, s2, vcc_lo
	v_cndmask_b32_e64 v9, 0, 1, vcc_lo
	s_delay_alu instid0(VALU_DEP_2) | instskip(NEXT) | instid1(VALU_DEP_3)
	v_mov_b32_dpp v5, v3 row_ror:8 row_mask:0xf bank_mask:0xf
	v_mov_b32_dpp v4, v2 row_ror:8 row_mask:0xf bank_mask:0xf
	s_delay_alu instid0(VALU_DEP_3) | instskip(NEXT) | instid1(VALU_DEP_2)
	v_mov_b32_dpp v9, v9 row_ror:8 row_mask:0xf bank_mask:0xf
	v_min_i64 v[6:7], v[2:3], v[4:5]
	s_delay_alu instid0(VALU_DEP_1) | instskip(NEXT) | instid1(VALU_DEP_1)
	v_dual_cndmask_b32 v4, v4, v6, vcc_lo :: v_dual_bitop2_b32 v9, 1, v9 bitop3:0x40
	v_cmp_eq_u32_e64 s2, 1, v9
	s_delay_alu instid0(VALU_DEP_1) | instskip(SKIP_1) | instid1(VALU_DEP_1)
	v_dual_cndmask_b32 v5, v5, v7, vcc_lo :: v_dual_cndmask_b32 v2, v2, v4, s2
	s_or_b32 vcc_lo, s2, vcc_lo
	v_cndmask_b32_e64 v3, v3, v5, s2
	v_cndmask_b32_e64 v9, 0, 1, vcc_lo
	ds_swizzle_b32 v4, v2 offset:swizzle(BROADCAST,32,15)
	ds_swizzle_b32 v5, v3 offset:swizzle(BROADCAST,32,15)
	;; [unrolled: 1-line block ×3, first 2 shown]
	s_wait_dscnt 0x1
	v_min_i64 v[6:7], v[2:3], v[4:5]
	s_wait_dscnt 0x0
	s_delay_alu instid0(VALU_DEP_1) | instskip(NEXT) | instid1(VALU_DEP_1)
	v_dual_cndmask_b32 v4, v4, v6, vcc_lo :: v_dual_bitop2_b32 v9, 1, v9 bitop3:0x40
	v_cmp_eq_u32_e64 s2, 1, v9
	s_delay_alu instid0(VALU_DEP_3) | instskip(SKIP_1) | instid1(VALU_DEP_1)
	v_cndmask_b32_e32 v5, v5, v7, vcc_lo
	s_or_b32 s3, s2, vcc_lo
	v_dual_cndmask_b32 v3, v3, v5, s2 :: v_dual_cndmask_b32 v2, v2, v4, s2
	v_cndmask_b32_e64 v5, 0, 1, s3
	s_mov_b32 s2, exec_lo
	ds_bpermute_b32 v3, v1, v3 offset:124
	ds_bpermute_b32 v2, v1, v2 offset:124
	;; [unrolled: 1-line block ×3, first 2 shown]
	v_cmpx_eq_u32_e32 0, v8
	s_cbranch_execz .LBB46_198
; %bb.197:
	v_lshrrev_b32_e32 v1, 1, v0
	s_delay_alu instid0(VALU_DEP_1)
	v_and_b32_e32 v1, 48, v1
	s_wait_dscnt 0x0
	ds_store_b8 v1, v20
	ds_store_b64 v1, v[2:3] offset:8
.LBB46_198:
	s_or_b32 exec_lo, exec_lo, s2
	s_delay_alu instid0(SALU_CYCLE_1)
	s_mov_b32 s2, exec_lo
	s_wait_dscnt 0x0
	s_barrier_signal -1
	s_barrier_wait -1
	v_cmpx_gt_u32_e32 32, v0
	s_cbranch_execz .LBB46_208
; %bb.199:
	v_and_b32_e32 v1, 3, v8
	s_mov_b32 s3, exec_lo
	s_delay_alu instid0(VALU_DEP_1) | instskip(SKIP_2) | instid1(VALU_DEP_1)
	v_cmp_ne_u32_e32 vcc_lo, 3, v1
	v_lshlrev_b32_e32 v2, 4, v1
	v_add_co_ci_u32_e64 v1, null, 0, v8, vcc_lo
	v_lshlrev_b32_e32 v1, 2, v1
	ds_load_u8 v9, v2
	ds_load_b64 v[2:3], v2 offset:8
	s_wait_dscnt 0x1
	v_and_b32_e32 v4, 0xff, v9
	s_wait_dscnt 0x0
	ds_bpermute_b32 v6, v1, v2
	ds_bpermute_b32 v7, v1, v3
	;; [unrolled: 1-line block ×3, first 2 shown]
                                        ; implicit-def: $vgpr4_vgpr5
	s_wait_dscnt 0x0
	v_and_b32_e32 v1, v9, v10
	s_delay_alu instid0(VALU_DEP_1) | instskip(NEXT) | instid1(VALU_DEP_1)
	v_and_b32_e32 v1, 1, v1
	v_cmpx_eq_u32_e32 1, v1
	s_xor_b32 s3, exec_lo, s3
; %bb.200:
	v_min_i64 v[4:5], v[6:7], v[2:3]
                                        ; implicit-def: $vgpr9
                                        ; implicit-def: $vgpr6_vgpr7
                                        ; implicit-def: $vgpr2_vgpr3
                                        ; implicit-def: $vgpr10
; %bb.201:
	s_or_saveexec_b32 s3, s3
	v_dual_lshlrev_b32 v11, 2, v8 :: v_dual_mov_b32 v1, 1
	s_xor_b32 exec_lo, exec_lo, s3
; %bb.202:
	v_and_b32_e32 v1, 1, v9
	s_delay_alu instid0(VALU_DEP_1) | instskip(SKIP_2) | instid1(VALU_DEP_2)
	v_cmp_eq_u32_e32 vcc_lo, 1, v1
	v_and_b32_e32 v1, 0xff, v10
	v_dual_cndmask_b32 v5, v7, v3 :: v_dual_cndmask_b32 v4, v6, v2
	v_cndmask_b32_e64 v1, v1, 1, vcc_lo
; %bb.203:
	s_or_b32 exec_lo, exec_lo, s3
	v_or_b32_e32 v2, 8, v11
	ds_bpermute_b32 v9, v2, v1
	ds_bpermute_b32 v6, v2, v4
	;; [unrolled: 1-line block ×3, first 2 shown]
	s_wait_dscnt 0x2
	v_and_b32_e32 v2, v1, v9
	s_delay_alu instid0(VALU_DEP_1) | instskip(NEXT) | instid1(VALU_DEP_1)
	v_and_b32_e32 v2, 1, v2
	v_cmp_eq_u32_e32 vcc_lo, 1, v2
                                        ; implicit-def: $vgpr2_vgpr3
	s_and_saveexec_b32 s3, vcc_lo
	s_delay_alu instid0(SALU_CYCLE_1)
	s_xor_b32 s3, exec_lo, s3
	s_cbranch_execz .LBB46_205
; %bb.204:
	s_wait_dscnt 0x0
	v_min_i64 v[2:3], v[6:7], v[4:5]
                                        ; implicit-def: $vgpr1
                                        ; implicit-def: $vgpr6_vgpr7
                                        ; implicit-def: $vgpr4_vgpr5
                                        ; implicit-def: $vgpr9
.LBB46_205:
	s_or_saveexec_b32 s3, s3
	v_mov_b32_e32 v20, 1
	s_xor_b32 exec_lo, exec_lo, s3
	s_cbranch_execz .LBB46_207
; %bb.206:
	v_and_b32_e32 v1, 1, v1
	s_delay_alu instid0(VALU_DEP_1)
	v_cmp_eq_u32_e32 vcc_lo, 1, v1
	s_wait_dscnt 0x0
	v_dual_cndmask_b32 v3, v7, v5 :: v_dual_cndmask_b32 v2, v6, v4
	v_cndmask_b32_e64 v20, v9, 1, vcc_lo
.LBB46_207:
	s_or_b32 exec_lo, exec_lo, s3
.LBB46_208:
	s_delay_alu instid0(SALU_CYCLE_1)
	s_or_b32 exec_lo, exec_lo, s2
.LBB46_209:
	v_cmp_eq_u32_e64 s2, 0, v0
	s_and_saveexec_b32 s3, s2
	s_cbranch_execnz .LBB46_212
	s_branch .LBB46_213
.LBB46_210:
                                        ; implicit-def: $sgpr10_sgpr11
                                        ; implicit-def: $vgpr2_vgpr3
                                        ; implicit-def: $vgpr20
.LBB46_211:
	s_delay_alu instid0(VALU_DEP_1)
	s_and_saveexec_b32 s3, s2
	s_cbranch_execz .LBB46_213
.LBB46_212:
	s_clause 0x1
	s_load_b64 s[2:3], s[0:1], 0x48
	s_load_b96 s[4:6], s[0:1], 0x38
	s_cmp_eq_u64 s[14:15], 0
	s_wait_xcnt 0x0
	s_cselect_b32 s0, -1, 0
	s_wait_dscnt 0x2
	s_wait_kmcnt 0x0
	v_min_i64 v[0:1], v[2:3], s[2:3]
	s_wait_dscnt 0x1
	v_and_b32_e32 v4, 1, v20
	s_bitcmp1_b32 s6, 0
	s_delay_alu instid0(VALU_DEP_1) | instskip(NEXT) | instid1(VALU_DEP_3)
	v_cmp_eq_u32_e32 vcc_lo, 1, v4
	v_cndmask_b32_e32 v1, s3, v1, vcc_lo
	s_delay_alu instid0(VALU_DEP_4) | instskip(SKIP_1) | instid1(SALU_CYCLE_1)
	v_cndmask_b32_e32 v0, s2, v0, vcc_lo
	s_cselect_b32 vcc_lo, -1, 0
	v_cndmask_b32_e64 v4, v20, 1, vcc_lo
	s_delay_alu instid0(VALU_DEP_2) | instskip(SKIP_1) | instid1(VALU_DEP_3)
	v_dual_cndmask_b32 v1, v3, v1 :: v_dual_cndmask_b32 v0, v2, v0
	v_mov_b32_e32 v2, 0
	v_cndmask_b32_e64 v3, v4, s6, s0
	s_delay_alu instid0(VALU_DEP_3) | instskip(NEXT) | instid1(VALU_DEP_4)
	v_cndmask_b32_e64 v1, v1, s3, s0
	v_cndmask_b32_e64 v0, v0, s2, s0
	s_lshl_b64 s[0:1], s[10:11], 4
	s_delay_alu instid0(SALU_CYCLE_1)
	s_add_nc_u64 s[0:1], s[4:5], s[0:1]
	s_clause 0x1
	global_store_b8 v2, v3, s[0:1]
	global_store_b64 v2, v[0:1], s[0:1] offset:8
.LBB46_213:
	s_endpgm
.LBB46_214:
                                        ; implicit-def: $vgpr2_vgpr3
                                        ; implicit-def: $vgpr20
	s_cbranch_execz .LBB46_209
; %bb.215:
	v_mov_b64_e32 v[2:3], 0
	s_wait_dscnt 0x1
	v_mov_b32_e32 v6, 0
	s_sub_co_i32 s2, s14, s4
	s_mov_b32 s3, exec_lo
	v_cmpx_gt_u32_e64 s2, v0
	s_cbranch_execz .LBB46_217
; %bb.216:
	s_lshl_b64 s[6:7], s[4:5], 3
	v_mov_b32_e32 v1, 0
	s_add_nc_u64 s[8:9], s[16:17], s[6:7]
	s_add_nc_u64 s[6:7], s[18:19], s[6:7]
	s_wait_dscnt 0x0
	s_clause 0x1
	global_load_b64 v[4:5], v0, s[8:9] scale_offset
	global_load_b64 v[6:7], v0, s[6:7] scale_offset
	s_add_nc_u64 s[4:5], s[12:13], s[4:5]
	s_delay_alu instid0(SALU_CYCLE_1)
	v_add_nc_u64_e32 v[2:3], s[4:5], v[0:1]
	s_wait_loadcnt 0x0
	v_cmp_neq_f64_e32 vcc_lo, v[4:5], v[6:7]
	v_cndmask_b32_e64 v6, 0, 1, vcc_lo
.LBB46_217:
	s_or_b32 exec_lo, exec_lo, s3
	v_cmp_ne_u32_e32 vcc_lo, 31, v8
	s_delay_alu instid0(VALU_DEP_2) | instskip(SKIP_4) | instid1(VALU_DEP_1)
	v_and_b32_e32 v20, 0xffff, v6
	s_min_u32 s3, s2, 0x80
	s_mov_b32 s4, exec_lo
	v_add_nc_u32_e32 v9, 1, v8
	v_add_co_ci_u32_e64 v1, null, 0, v8, vcc_lo
	v_lshlrev_b32_e32 v1, 2, v1
	s_wait_dscnt 0x0
	ds_bpermute_b32 v7, v1, v20
	ds_bpermute_b32 v4, v1, v2
	ds_bpermute_b32 v5, v1, v3
	v_and_b32_e32 v1, 0x60, v0
	s_delay_alu instid0(VALU_DEP_1) | instskip(NEXT) | instid1(VALU_DEP_1)
	v_sub_nc_u32_e64 v1, s3, v1 clamp
	v_cmpx_lt_u32_e64 v9, v1
	s_cbranch_execz .LBB46_219
; %bb.218:
	s_wait_dscnt 0x0
	v_min_i64 v[10:11], v[4:5], v[2:3]
	v_and_b32_e32 v6, 1, v6
	s_delay_alu instid0(VALU_DEP_1) | instskip(SKIP_3) | instid1(VALU_DEP_3)
	v_cmp_eq_u32_e32 vcc_lo, 1, v6
	v_and_b32_e32 v6, v7, v20
	v_and_b32_e32 v7, 0xff, v7
	v_dual_cndmask_b32 v2, v4, v2 :: v_dual_cndmask_b32 v3, v5, v3
	v_cmp_eq_u32_e64 s2, 0, v6
	s_delay_alu instid0(VALU_DEP_3) | instskip(NEXT) | instid1(VALU_DEP_1)
	v_cndmask_b32_e64 v4, v7, 1, vcc_lo
	v_dual_cndmask_b32 v20, 1, v4, s2 :: v_dual_cndmask_b32 v3, v11, v3, s2
	s_delay_alu instid0(VALU_DEP_4)
	v_cndmask_b32_e64 v2, v10, v2, s2
.LBB46_219:
	s_or_b32 exec_lo, exec_lo, s4
	v_cmp_gt_u32_e32 vcc_lo, 30, v8
	s_wait_dscnt 0x2
	v_add_nc_u32_e32 v7, 2, v8
	s_mov_b32 s4, exec_lo
	s_wait_dscnt 0x1
	v_cndmask_b32_e64 v4, 0, 2, vcc_lo
	s_wait_dscnt 0x0
	s_delay_alu instid0(VALU_DEP_1)
	v_add_lshl_u32 v5, v4, v8, 2
	ds_bpermute_b32 v6, v5, v20
	ds_bpermute_b32 v4, v5, v2
	;; [unrolled: 1-line block ×3, first 2 shown]
	v_cmpx_lt_u32_e64 v7, v1
	s_cbranch_execz .LBB46_221
; %bb.220:
	s_wait_dscnt 0x0
	v_min_i64 v[10:11], v[4:5], v[2:3]
	v_and_b32_e32 v7, 1, v20
	s_delay_alu instid0(VALU_DEP_1) | instskip(SKIP_3) | instid1(VALU_DEP_3)
	v_cmp_eq_u32_e32 vcc_lo, 1, v7
	v_bitop3_b32 v7, v20, 1, v6 bitop3:0x80
	v_and_b32_e32 v6, 0xff, v6
	v_cndmask_b32_e32 v2, v4, v2, vcc_lo
	v_cmp_eq_u32_e64 s2, 0, v7
	v_cndmask_b32_e32 v3, v5, v3, vcc_lo
	s_delay_alu instid0(VALU_DEP_4) | instskip(NEXT) | instid1(VALU_DEP_1)
	v_cndmask_b32_e64 v4, v6, 1, vcc_lo
	v_dual_cndmask_b32 v20, 1, v4, s2 :: v_dual_cndmask_b32 v2, v10, v2, s2
	s_delay_alu instid0(VALU_DEP_3)
	v_cndmask_b32_e64 v3, v11, v3, s2
.LBB46_221:
	s_or_b32 exec_lo, exec_lo, s4
	v_cmp_gt_u32_e32 vcc_lo, 28, v8
	v_add_nc_u32_e32 v7, 4, v8
	s_mov_b32 s4, exec_lo
	s_wait_dscnt 0x1
	v_cndmask_b32_e64 v4, 0, 4, vcc_lo
	s_wait_dscnt 0x0
	s_delay_alu instid0(VALU_DEP_1)
	v_add_lshl_u32 v5, v4, v8, 2
	ds_bpermute_b32 v6, v5, v20
	ds_bpermute_b32 v4, v5, v2
	ds_bpermute_b32 v5, v5, v3
	v_cmpx_lt_u32_e64 v7, v1
	s_cbranch_execz .LBB46_223
; %bb.222:
	s_wait_dscnt 0x0
	v_min_i64 v[10:11], v[4:5], v[2:3]
	v_and_b32_e32 v7, 1, v20
	s_delay_alu instid0(VALU_DEP_1) | instskip(SKIP_3) | instid1(VALU_DEP_3)
	v_cmp_eq_u32_e32 vcc_lo, 1, v7
	v_bitop3_b32 v7, v20, 1, v6 bitop3:0x80
	v_and_b32_e32 v6, 0xff, v6
	v_cndmask_b32_e32 v2, v4, v2, vcc_lo
	v_cmp_eq_u32_e64 s2, 0, v7
	v_cndmask_b32_e32 v3, v5, v3, vcc_lo
	s_delay_alu instid0(VALU_DEP_4) | instskip(NEXT) | instid1(VALU_DEP_1)
	v_cndmask_b32_e64 v4, v6, 1, vcc_lo
	v_dual_cndmask_b32 v20, 1, v4, s2 :: v_dual_cndmask_b32 v2, v10, v2, s2
	s_delay_alu instid0(VALU_DEP_3)
	v_cndmask_b32_e64 v3, v11, v3, s2
.LBB46_223:
	s_or_b32 exec_lo, exec_lo, s4
	v_cmp_gt_u32_e32 vcc_lo, 24, v8
	v_add_nc_u32_e32 v7, 8, v8
	s_mov_b32 s4, exec_lo
	s_wait_dscnt 0x1
	v_cndmask_b32_e64 v4, 0, 8, vcc_lo
	s_wait_dscnt 0x0
	s_delay_alu instid0(VALU_DEP_1)
	v_add_lshl_u32 v5, v4, v8, 2
	ds_bpermute_b32 v6, v5, v20
	ds_bpermute_b32 v4, v5, v2
	;; [unrolled: 1-line block ×3, first 2 shown]
	v_cmpx_lt_u32_e64 v7, v1
	s_cbranch_execz .LBB46_225
; %bb.224:
	s_wait_dscnt 0x0
	v_min_i64 v[10:11], v[4:5], v[2:3]
	v_and_b32_e32 v7, 1, v20
	s_delay_alu instid0(VALU_DEP_1) | instskip(SKIP_3) | instid1(VALU_DEP_3)
	v_cmp_eq_u32_e32 vcc_lo, 1, v7
	v_bitop3_b32 v7, v20, 1, v6 bitop3:0x80
	v_and_b32_e32 v6, 0xff, v6
	v_cndmask_b32_e32 v2, v4, v2, vcc_lo
	v_cmp_eq_u32_e64 s2, 0, v7
	v_cndmask_b32_e32 v3, v5, v3, vcc_lo
	s_delay_alu instid0(VALU_DEP_4) | instskip(NEXT) | instid1(VALU_DEP_1)
	v_cndmask_b32_e64 v4, v6, 1, vcc_lo
	v_dual_cndmask_b32 v20, 1, v4, s2 :: v_dual_cndmask_b32 v2, v10, v2, s2
	s_delay_alu instid0(VALU_DEP_3)
	v_cndmask_b32_e64 v3, v11, v3, s2
.LBB46_225:
	s_or_b32 exec_lo, exec_lo, s4
	s_wait_dscnt 0x2
	v_dual_lshlrev_b32 v6, 2, v8 :: v_dual_add_nc_u32 v9, 16, v8
	s_wait_dscnt 0x0
	s_delay_alu instid0(VALU_DEP_1) | instskip(NEXT) | instid1(VALU_DEP_2)
	v_or_b32_e32 v5, 64, v6
	v_cmp_lt_u32_e32 vcc_lo, v9, v1
	v_mov_b32_e32 v1, v20
	ds_bpermute_b32 v7, v5, v20
	ds_bpermute_b32 v4, v5, v2
	;; [unrolled: 1-line block ×3, first 2 shown]
	s_and_saveexec_b32 s4, vcc_lo
	s_cbranch_execz .LBB46_227
; %bb.226:
	s_wait_dscnt 0x0
	v_min_i64 v[10:11], v[4:5], v[2:3]
	v_and_b32_e32 v1, 1, v20
	v_bitop3_b32 v9, v20, 1, v7 bitop3:0x80
	s_delay_alu instid0(VALU_DEP_2) | instskip(NEXT) | instid1(VALU_DEP_2)
	v_cmp_eq_u32_e32 vcc_lo, 1, v1
	v_cmp_eq_u32_e64 s2, 0, v9
	v_cndmask_b32_e64 v1, v7, 1, vcc_lo
	v_dual_cndmask_b32 v3, v5, v3 :: v_dual_cndmask_b32 v2, v4, v2
	s_delay_alu instid0(VALU_DEP_2) | instskip(NEXT) | instid1(VALU_DEP_1)
	v_cndmask_b32_e64 v1, 1, v1, s2
	v_and_b32_e32 v20, 0xff, v1
	s_delay_alu instid0(VALU_DEP_3)
	v_dual_cndmask_b32 v3, v11, v3, s2 :: v_dual_cndmask_b32 v2, v10, v2, s2
.LBB46_227:
	s_or_b32 exec_lo, exec_lo, s4
	s_delay_alu instid0(SALU_CYCLE_1)
	s_mov_b32 s2, exec_lo
	v_cmpx_eq_u32_e32 0, v8
	s_cbranch_execz .LBB46_229
; %bb.228:
	s_wait_dscnt 0x1
	v_lshrrev_b32_e32 v4, 1, v0
	s_delay_alu instid0(VALU_DEP_1)
	v_and_b32_e32 v4, 48, v4
	ds_store_b8 v4, v1 offset:256
	ds_store_b64 v4, v[2:3] offset:264
.LBB46_229:
	s_or_b32 exec_lo, exec_lo, s2
	s_delay_alu instid0(SALU_CYCLE_1)
	s_mov_b32 s4, exec_lo
	s_wait_dscnt 0x0
	s_barrier_signal -1
	s_barrier_wait -1
	v_cmpx_gt_u32_e32 4, v0
	s_cbranch_execz .LBB46_235
; %bb.230:
	v_lshlrev_b32_e32 v1, 4, v8
	s_add_co_i32 s3, s3, 31
	s_mov_b32 s5, exec_lo
	s_lshr_b32 s3, s3, 5
	ds_load_u8 v7, v1 offset:256
	ds_load_b64 v[2:3], v1 offset:264
	v_and_b32_e32 v1, 3, v8
	s_delay_alu instid0(VALU_DEP_1) | instskip(SKIP_2) | instid1(VALU_DEP_1)
	v_cmp_ne_u32_e32 vcc_lo, 3, v1
	v_add_nc_u32_e32 v9, 1, v1
	v_add_co_ci_u32_e64 v4, null, 0, v8, vcc_lo
	v_lshlrev_b32_e32 v5, 2, v4
	s_wait_dscnt 0x1
	v_and_b32_e32 v20, 0xff, v7
	s_wait_dscnt 0x0
	ds_bpermute_b32 v4, v5, v2
	ds_bpermute_b32 v8, v5, v20
	;; [unrolled: 1-line block ×3, first 2 shown]
	v_cmpx_gt_u32_e64 s3, v9
	s_cbranch_execz .LBB46_232
; %bb.231:
	s_wait_dscnt 0x0
	v_min_i64 v[10:11], v[4:5], v[2:3]
	v_and_b32_e32 v7, 1, v7
	s_delay_alu instid0(VALU_DEP_1) | instskip(SKIP_3) | instid1(VALU_DEP_3)
	v_cmp_eq_u32_e32 vcc_lo, 1, v7
	v_bitop3_b32 v7, v20, 1, v8 bitop3:0x80
	v_and_b32_e32 v8, 0xff, v8
	v_cndmask_b32_e32 v2, v4, v2, vcc_lo
	v_cmp_eq_u32_e64 s2, 0, v7
	v_cndmask_b32_e32 v3, v5, v3, vcc_lo
	s_delay_alu instid0(VALU_DEP_4) | instskip(NEXT) | instid1(VALU_DEP_1)
	v_cndmask_b32_e64 v4, v8, 1, vcc_lo
	v_dual_cndmask_b32 v20, 1, v4, s2 :: v_dual_cndmask_b32 v2, v10, v2, s2
	s_delay_alu instid0(VALU_DEP_3)
	v_cndmask_b32_e64 v3, v11, v3, s2
.LBB46_232:
	s_or_b32 exec_lo, exec_lo, s5
	s_wait_dscnt 0x0
	v_dual_add_nc_u32 v1, 2, v1 :: v_dual_bitop2_b32 v5, 8, v6 bitop3:0x54
	ds_bpermute_b32 v6, v5, v20
	ds_bpermute_b32 v4, v5, v2
	;; [unrolled: 1-line block ×3, first 2 shown]
	v_cmp_gt_u32_e32 vcc_lo, s3, v1
	s_and_saveexec_b32 s3, vcc_lo
	s_cbranch_execz .LBB46_234
; %bb.233:
	s_wait_dscnt 0x0
	v_min_i64 v[8:9], v[4:5], v[2:3]
	v_and_b32_e32 v1, 1, v20
	s_delay_alu instid0(VALU_DEP_1) | instskip(SKIP_2) | instid1(VALU_DEP_2)
	v_cmp_eq_u32_e32 vcc_lo, 1, v1
	v_bitop3_b32 v1, v20, 1, v6 bitop3:0x80
	v_cndmask_b32_e32 v2, v4, v2, vcc_lo
	v_cmp_eq_u32_e64 s2, 0, v1
	v_cndmask_b32_e32 v3, v5, v3, vcc_lo
	v_cndmask_b32_e64 v1, v6, 1, vcc_lo
	s_delay_alu instid0(VALU_DEP_1) | instskip(NEXT) | instid1(VALU_DEP_3)
	v_dual_cndmask_b32 v20, 1, v1, s2 :: v_dual_cndmask_b32 v2, v8, v2, s2
	v_cndmask_b32_e64 v3, v9, v3, s2
.LBB46_234:
	s_or_b32 exec_lo, exec_lo, s3
.LBB46_235:
	s_delay_alu instid0(SALU_CYCLE_1)
	s_or_b32 exec_lo, exec_lo, s4
	v_cmp_eq_u32_e64 s2, 0, v0
	s_and_saveexec_b32 s3, s2
	s_cbranch_execnz .LBB46_212
	s_branch .LBB46_213
	.section	.rodata,"a",@progbits
	.p2align	6, 0x0
	.amdhsa_kernel _ZN7rocprim17ROCPRIM_400000_NS6detail17trampoline_kernelINS0_14default_configENS1_22reduce_config_selectorIN6thrust23THRUST_200600_302600_NS5tupleIblNS6_9null_typeES8_S8_S8_S8_S8_S8_S8_EEEEZNS1_11reduce_implILb1ES3_NS6_12zip_iteratorINS7_INS6_11hip_rocprim26transform_input_iterator_tIbNSD_35transform_pair_of_input_iterators_tIbNS6_6detail15normal_iteratorINS6_10device_ptrIKdEEEESL_NS6_8equal_toIdEEEENSG_9not_fun_tINSD_8identityEEEEENSD_19counting_iterator_tIlEES8_S8_S8_S8_S8_S8_S8_S8_EEEEPS9_S9_NSD_9__find_if7functorIS9_EEEE10hipError_tPvRmT1_T2_T3_mT4_P12ihipStream_tbEUlT_E1_NS1_11comp_targetILNS1_3genE0ELNS1_11target_archE4294967295ELNS1_3gpuE0ELNS1_3repE0EEENS1_30default_config_static_selectorELNS0_4arch9wavefront6targetE0EEEvS14_
		.amdhsa_group_segment_fixed_size 320
		.amdhsa_private_segment_fixed_size 0
		.amdhsa_kernarg_size 88
		.amdhsa_user_sgpr_count 2
		.amdhsa_user_sgpr_dispatch_ptr 0
		.amdhsa_user_sgpr_queue_ptr 0
		.amdhsa_user_sgpr_kernarg_segment_ptr 1
		.amdhsa_user_sgpr_dispatch_id 0
		.amdhsa_user_sgpr_kernarg_preload_length 0
		.amdhsa_user_sgpr_kernarg_preload_offset 0
		.amdhsa_user_sgpr_private_segment_size 0
		.amdhsa_wavefront_size32 1
		.amdhsa_uses_dynamic_stack 0
		.amdhsa_enable_private_segment 0
		.amdhsa_system_sgpr_workgroup_id_x 1
		.amdhsa_system_sgpr_workgroup_id_y 0
		.amdhsa_system_sgpr_workgroup_id_z 0
		.amdhsa_system_sgpr_workgroup_info 0
		.amdhsa_system_vgpr_workitem_id 0
		.amdhsa_next_free_vgpr 34
		.amdhsa_next_free_sgpr 28
		.amdhsa_named_barrier_count 0
		.amdhsa_reserve_vcc 1
		.amdhsa_float_round_mode_32 0
		.amdhsa_float_round_mode_16_64 0
		.amdhsa_float_denorm_mode_32 3
		.amdhsa_float_denorm_mode_16_64 3
		.amdhsa_fp16_overflow 0
		.amdhsa_memory_ordered 1
		.amdhsa_forward_progress 1
		.amdhsa_inst_pref_size 104
		.amdhsa_round_robin_scheduling 0
		.amdhsa_exception_fp_ieee_invalid_op 0
		.amdhsa_exception_fp_denorm_src 0
		.amdhsa_exception_fp_ieee_div_zero 0
		.amdhsa_exception_fp_ieee_overflow 0
		.amdhsa_exception_fp_ieee_underflow 0
		.amdhsa_exception_fp_ieee_inexact 0
		.amdhsa_exception_int_div_zero 0
	.end_amdhsa_kernel
	.section	.text._ZN7rocprim17ROCPRIM_400000_NS6detail17trampoline_kernelINS0_14default_configENS1_22reduce_config_selectorIN6thrust23THRUST_200600_302600_NS5tupleIblNS6_9null_typeES8_S8_S8_S8_S8_S8_S8_EEEEZNS1_11reduce_implILb1ES3_NS6_12zip_iteratorINS7_INS6_11hip_rocprim26transform_input_iterator_tIbNSD_35transform_pair_of_input_iterators_tIbNS6_6detail15normal_iteratorINS6_10device_ptrIKdEEEESL_NS6_8equal_toIdEEEENSG_9not_fun_tINSD_8identityEEEEENSD_19counting_iterator_tIlEES8_S8_S8_S8_S8_S8_S8_S8_EEEEPS9_S9_NSD_9__find_if7functorIS9_EEEE10hipError_tPvRmT1_T2_T3_mT4_P12ihipStream_tbEUlT_E1_NS1_11comp_targetILNS1_3genE0ELNS1_11target_archE4294967295ELNS1_3gpuE0ELNS1_3repE0EEENS1_30default_config_static_selectorELNS0_4arch9wavefront6targetE0EEEvS14_,"axG",@progbits,_ZN7rocprim17ROCPRIM_400000_NS6detail17trampoline_kernelINS0_14default_configENS1_22reduce_config_selectorIN6thrust23THRUST_200600_302600_NS5tupleIblNS6_9null_typeES8_S8_S8_S8_S8_S8_S8_EEEEZNS1_11reduce_implILb1ES3_NS6_12zip_iteratorINS7_INS6_11hip_rocprim26transform_input_iterator_tIbNSD_35transform_pair_of_input_iterators_tIbNS6_6detail15normal_iteratorINS6_10device_ptrIKdEEEESL_NS6_8equal_toIdEEEENSG_9not_fun_tINSD_8identityEEEEENSD_19counting_iterator_tIlEES8_S8_S8_S8_S8_S8_S8_S8_EEEEPS9_S9_NSD_9__find_if7functorIS9_EEEE10hipError_tPvRmT1_T2_T3_mT4_P12ihipStream_tbEUlT_E1_NS1_11comp_targetILNS1_3genE0ELNS1_11target_archE4294967295ELNS1_3gpuE0ELNS1_3repE0EEENS1_30default_config_static_selectorELNS0_4arch9wavefront6targetE0EEEvS14_,comdat
.Lfunc_end46:
	.size	_ZN7rocprim17ROCPRIM_400000_NS6detail17trampoline_kernelINS0_14default_configENS1_22reduce_config_selectorIN6thrust23THRUST_200600_302600_NS5tupleIblNS6_9null_typeES8_S8_S8_S8_S8_S8_S8_EEEEZNS1_11reduce_implILb1ES3_NS6_12zip_iteratorINS7_INS6_11hip_rocprim26transform_input_iterator_tIbNSD_35transform_pair_of_input_iterators_tIbNS6_6detail15normal_iteratorINS6_10device_ptrIKdEEEESL_NS6_8equal_toIdEEEENSG_9not_fun_tINSD_8identityEEEEENSD_19counting_iterator_tIlEES8_S8_S8_S8_S8_S8_S8_S8_EEEEPS9_S9_NSD_9__find_if7functorIS9_EEEE10hipError_tPvRmT1_T2_T3_mT4_P12ihipStream_tbEUlT_E1_NS1_11comp_targetILNS1_3genE0ELNS1_11target_archE4294967295ELNS1_3gpuE0ELNS1_3repE0EEENS1_30default_config_static_selectorELNS0_4arch9wavefront6targetE0EEEvS14_, .Lfunc_end46-_ZN7rocprim17ROCPRIM_400000_NS6detail17trampoline_kernelINS0_14default_configENS1_22reduce_config_selectorIN6thrust23THRUST_200600_302600_NS5tupleIblNS6_9null_typeES8_S8_S8_S8_S8_S8_S8_EEEEZNS1_11reduce_implILb1ES3_NS6_12zip_iteratorINS7_INS6_11hip_rocprim26transform_input_iterator_tIbNSD_35transform_pair_of_input_iterators_tIbNS6_6detail15normal_iteratorINS6_10device_ptrIKdEEEESL_NS6_8equal_toIdEEEENSG_9not_fun_tINSD_8identityEEEEENSD_19counting_iterator_tIlEES8_S8_S8_S8_S8_S8_S8_S8_EEEEPS9_S9_NSD_9__find_if7functorIS9_EEEE10hipError_tPvRmT1_T2_T3_mT4_P12ihipStream_tbEUlT_E1_NS1_11comp_targetILNS1_3genE0ELNS1_11target_archE4294967295ELNS1_3gpuE0ELNS1_3repE0EEENS1_30default_config_static_selectorELNS0_4arch9wavefront6targetE0EEEvS14_
                                        ; -- End function
	.set _ZN7rocprim17ROCPRIM_400000_NS6detail17trampoline_kernelINS0_14default_configENS1_22reduce_config_selectorIN6thrust23THRUST_200600_302600_NS5tupleIblNS6_9null_typeES8_S8_S8_S8_S8_S8_S8_EEEEZNS1_11reduce_implILb1ES3_NS6_12zip_iteratorINS7_INS6_11hip_rocprim26transform_input_iterator_tIbNSD_35transform_pair_of_input_iterators_tIbNS6_6detail15normal_iteratorINS6_10device_ptrIKdEEEESL_NS6_8equal_toIdEEEENSG_9not_fun_tINSD_8identityEEEEENSD_19counting_iterator_tIlEES8_S8_S8_S8_S8_S8_S8_S8_EEEEPS9_S9_NSD_9__find_if7functorIS9_EEEE10hipError_tPvRmT1_T2_T3_mT4_P12ihipStream_tbEUlT_E1_NS1_11comp_targetILNS1_3genE0ELNS1_11target_archE4294967295ELNS1_3gpuE0ELNS1_3repE0EEENS1_30default_config_static_selectorELNS0_4arch9wavefront6targetE0EEEvS14_.num_vgpr, 34
	.set _ZN7rocprim17ROCPRIM_400000_NS6detail17trampoline_kernelINS0_14default_configENS1_22reduce_config_selectorIN6thrust23THRUST_200600_302600_NS5tupleIblNS6_9null_typeES8_S8_S8_S8_S8_S8_S8_EEEEZNS1_11reduce_implILb1ES3_NS6_12zip_iteratorINS7_INS6_11hip_rocprim26transform_input_iterator_tIbNSD_35transform_pair_of_input_iterators_tIbNS6_6detail15normal_iteratorINS6_10device_ptrIKdEEEESL_NS6_8equal_toIdEEEENSG_9not_fun_tINSD_8identityEEEEENSD_19counting_iterator_tIlEES8_S8_S8_S8_S8_S8_S8_S8_EEEEPS9_S9_NSD_9__find_if7functorIS9_EEEE10hipError_tPvRmT1_T2_T3_mT4_P12ihipStream_tbEUlT_E1_NS1_11comp_targetILNS1_3genE0ELNS1_11target_archE4294967295ELNS1_3gpuE0ELNS1_3repE0EEENS1_30default_config_static_selectorELNS0_4arch9wavefront6targetE0EEEvS14_.num_agpr, 0
	.set _ZN7rocprim17ROCPRIM_400000_NS6detail17trampoline_kernelINS0_14default_configENS1_22reduce_config_selectorIN6thrust23THRUST_200600_302600_NS5tupleIblNS6_9null_typeES8_S8_S8_S8_S8_S8_S8_EEEEZNS1_11reduce_implILb1ES3_NS6_12zip_iteratorINS7_INS6_11hip_rocprim26transform_input_iterator_tIbNSD_35transform_pair_of_input_iterators_tIbNS6_6detail15normal_iteratorINS6_10device_ptrIKdEEEESL_NS6_8equal_toIdEEEENSG_9not_fun_tINSD_8identityEEEEENSD_19counting_iterator_tIlEES8_S8_S8_S8_S8_S8_S8_S8_EEEEPS9_S9_NSD_9__find_if7functorIS9_EEEE10hipError_tPvRmT1_T2_T3_mT4_P12ihipStream_tbEUlT_E1_NS1_11comp_targetILNS1_3genE0ELNS1_11target_archE4294967295ELNS1_3gpuE0ELNS1_3repE0EEENS1_30default_config_static_selectorELNS0_4arch9wavefront6targetE0EEEvS14_.numbered_sgpr, 28
	.set _ZN7rocprim17ROCPRIM_400000_NS6detail17trampoline_kernelINS0_14default_configENS1_22reduce_config_selectorIN6thrust23THRUST_200600_302600_NS5tupleIblNS6_9null_typeES8_S8_S8_S8_S8_S8_S8_EEEEZNS1_11reduce_implILb1ES3_NS6_12zip_iteratorINS7_INS6_11hip_rocprim26transform_input_iterator_tIbNSD_35transform_pair_of_input_iterators_tIbNS6_6detail15normal_iteratorINS6_10device_ptrIKdEEEESL_NS6_8equal_toIdEEEENSG_9not_fun_tINSD_8identityEEEEENSD_19counting_iterator_tIlEES8_S8_S8_S8_S8_S8_S8_S8_EEEEPS9_S9_NSD_9__find_if7functorIS9_EEEE10hipError_tPvRmT1_T2_T3_mT4_P12ihipStream_tbEUlT_E1_NS1_11comp_targetILNS1_3genE0ELNS1_11target_archE4294967295ELNS1_3gpuE0ELNS1_3repE0EEENS1_30default_config_static_selectorELNS0_4arch9wavefront6targetE0EEEvS14_.num_named_barrier, 0
	.set _ZN7rocprim17ROCPRIM_400000_NS6detail17trampoline_kernelINS0_14default_configENS1_22reduce_config_selectorIN6thrust23THRUST_200600_302600_NS5tupleIblNS6_9null_typeES8_S8_S8_S8_S8_S8_S8_EEEEZNS1_11reduce_implILb1ES3_NS6_12zip_iteratorINS7_INS6_11hip_rocprim26transform_input_iterator_tIbNSD_35transform_pair_of_input_iterators_tIbNS6_6detail15normal_iteratorINS6_10device_ptrIKdEEEESL_NS6_8equal_toIdEEEENSG_9not_fun_tINSD_8identityEEEEENSD_19counting_iterator_tIlEES8_S8_S8_S8_S8_S8_S8_S8_EEEEPS9_S9_NSD_9__find_if7functorIS9_EEEE10hipError_tPvRmT1_T2_T3_mT4_P12ihipStream_tbEUlT_E1_NS1_11comp_targetILNS1_3genE0ELNS1_11target_archE4294967295ELNS1_3gpuE0ELNS1_3repE0EEENS1_30default_config_static_selectorELNS0_4arch9wavefront6targetE0EEEvS14_.private_seg_size, 0
	.set _ZN7rocprim17ROCPRIM_400000_NS6detail17trampoline_kernelINS0_14default_configENS1_22reduce_config_selectorIN6thrust23THRUST_200600_302600_NS5tupleIblNS6_9null_typeES8_S8_S8_S8_S8_S8_S8_EEEEZNS1_11reduce_implILb1ES3_NS6_12zip_iteratorINS7_INS6_11hip_rocprim26transform_input_iterator_tIbNSD_35transform_pair_of_input_iterators_tIbNS6_6detail15normal_iteratorINS6_10device_ptrIKdEEEESL_NS6_8equal_toIdEEEENSG_9not_fun_tINSD_8identityEEEEENSD_19counting_iterator_tIlEES8_S8_S8_S8_S8_S8_S8_S8_EEEEPS9_S9_NSD_9__find_if7functorIS9_EEEE10hipError_tPvRmT1_T2_T3_mT4_P12ihipStream_tbEUlT_E1_NS1_11comp_targetILNS1_3genE0ELNS1_11target_archE4294967295ELNS1_3gpuE0ELNS1_3repE0EEENS1_30default_config_static_selectorELNS0_4arch9wavefront6targetE0EEEvS14_.uses_vcc, 1
	.set _ZN7rocprim17ROCPRIM_400000_NS6detail17trampoline_kernelINS0_14default_configENS1_22reduce_config_selectorIN6thrust23THRUST_200600_302600_NS5tupleIblNS6_9null_typeES8_S8_S8_S8_S8_S8_S8_EEEEZNS1_11reduce_implILb1ES3_NS6_12zip_iteratorINS7_INS6_11hip_rocprim26transform_input_iterator_tIbNSD_35transform_pair_of_input_iterators_tIbNS6_6detail15normal_iteratorINS6_10device_ptrIKdEEEESL_NS6_8equal_toIdEEEENSG_9not_fun_tINSD_8identityEEEEENSD_19counting_iterator_tIlEES8_S8_S8_S8_S8_S8_S8_S8_EEEEPS9_S9_NSD_9__find_if7functorIS9_EEEE10hipError_tPvRmT1_T2_T3_mT4_P12ihipStream_tbEUlT_E1_NS1_11comp_targetILNS1_3genE0ELNS1_11target_archE4294967295ELNS1_3gpuE0ELNS1_3repE0EEENS1_30default_config_static_selectorELNS0_4arch9wavefront6targetE0EEEvS14_.uses_flat_scratch, 0
	.set _ZN7rocprim17ROCPRIM_400000_NS6detail17trampoline_kernelINS0_14default_configENS1_22reduce_config_selectorIN6thrust23THRUST_200600_302600_NS5tupleIblNS6_9null_typeES8_S8_S8_S8_S8_S8_S8_EEEEZNS1_11reduce_implILb1ES3_NS6_12zip_iteratorINS7_INS6_11hip_rocprim26transform_input_iterator_tIbNSD_35transform_pair_of_input_iterators_tIbNS6_6detail15normal_iteratorINS6_10device_ptrIKdEEEESL_NS6_8equal_toIdEEEENSG_9not_fun_tINSD_8identityEEEEENSD_19counting_iterator_tIlEES8_S8_S8_S8_S8_S8_S8_S8_EEEEPS9_S9_NSD_9__find_if7functorIS9_EEEE10hipError_tPvRmT1_T2_T3_mT4_P12ihipStream_tbEUlT_E1_NS1_11comp_targetILNS1_3genE0ELNS1_11target_archE4294967295ELNS1_3gpuE0ELNS1_3repE0EEENS1_30default_config_static_selectorELNS0_4arch9wavefront6targetE0EEEvS14_.has_dyn_sized_stack, 0
	.set _ZN7rocprim17ROCPRIM_400000_NS6detail17trampoline_kernelINS0_14default_configENS1_22reduce_config_selectorIN6thrust23THRUST_200600_302600_NS5tupleIblNS6_9null_typeES8_S8_S8_S8_S8_S8_S8_EEEEZNS1_11reduce_implILb1ES3_NS6_12zip_iteratorINS7_INS6_11hip_rocprim26transform_input_iterator_tIbNSD_35transform_pair_of_input_iterators_tIbNS6_6detail15normal_iteratorINS6_10device_ptrIKdEEEESL_NS6_8equal_toIdEEEENSG_9not_fun_tINSD_8identityEEEEENSD_19counting_iterator_tIlEES8_S8_S8_S8_S8_S8_S8_S8_EEEEPS9_S9_NSD_9__find_if7functorIS9_EEEE10hipError_tPvRmT1_T2_T3_mT4_P12ihipStream_tbEUlT_E1_NS1_11comp_targetILNS1_3genE0ELNS1_11target_archE4294967295ELNS1_3gpuE0ELNS1_3repE0EEENS1_30default_config_static_selectorELNS0_4arch9wavefront6targetE0EEEvS14_.has_recursion, 0
	.set _ZN7rocprim17ROCPRIM_400000_NS6detail17trampoline_kernelINS0_14default_configENS1_22reduce_config_selectorIN6thrust23THRUST_200600_302600_NS5tupleIblNS6_9null_typeES8_S8_S8_S8_S8_S8_S8_EEEEZNS1_11reduce_implILb1ES3_NS6_12zip_iteratorINS7_INS6_11hip_rocprim26transform_input_iterator_tIbNSD_35transform_pair_of_input_iterators_tIbNS6_6detail15normal_iteratorINS6_10device_ptrIKdEEEESL_NS6_8equal_toIdEEEENSG_9not_fun_tINSD_8identityEEEEENSD_19counting_iterator_tIlEES8_S8_S8_S8_S8_S8_S8_S8_EEEEPS9_S9_NSD_9__find_if7functorIS9_EEEE10hipError_tPvRmT1_T2_T3_mT4_P12ihipStream_tbEUlT_E1_NS1_11comp_targetILNS1_3genE0ELNS1_11target_archE4294967295ELNS1_3gpuE0ELNS1_3repE0EEENS1_30default_config_static_selectorELNS0_4arch9wavefront6targetE0EEEvS14_.has_indirect_call, 0
	.section	.AMDGPU.csdata,"",@progbits
; Kernel info:
; codeLenInByte = 13308
; TotalNumSgprs: 30
; NumVgprs: 34
; ScratchSize: 0
; MemoryBound: 0
; FloatMode: 240
; IeeeMode: 1
; LDSByteSize: 320 bytes/workgroup (compile time only)
; SGPRBlocks: 0
; VGPRBlocks: 2
; NumSGPRsForWavesPerEU: 30
; NumVGPRsForWavesPerEU: 34
; NamedBarCnt: 0
; Occupancy: 16
; WaveLimiterHint : 0
; COMPUTE_PGM_RSRC2:SCRATCH_EN: 0
; COMPUTE_PGM_RSRC2:USER_SGPR: 2
; COMPUTE_PGM_RSRC2:TRAP_HANDLER: 0
; COMPUTE_PGM_RSRC2:TGID_X_EN: 1
; COMPUTE_PGM_RSRC2:TGID_Y_EN: 0
; COMPUTE_PGM_RSRC2:TGID_Z_EN: 0
; COMPUTE_PGM_RSRC2:TIDIG_COMP_CNT: 0
	.section	.text._ZN7rocprim17ROCPRIM_400000_NS6detail17trampoline_kernelINS0_14default_configENS1_22reduce_config_selectorIN6thrust23THRUST_200600_302600_NS5tupleIblNS6_9null_typeES8_S8_S8_S8_S8_S8_S8_EEEEZNS1_11reduce_implILb1ES3_NS6_12zip_iteratorINS7_INS6_11hip_rocprim26transform_input_iterator_tIbNSD_35transform_pair_of_input_iterators_tIbNS6_6detail15normal_iteratorINS6_10device_ptrIKdEEEESL_NS6_8equal_toIdEEEENSG_9not_fun_tINSD_8identityEEEEENSD_19counting_iterator_tIlEES8_S8_S8_S8_S8_S8_S8_S8_EEEEPS9_S9_NSD_9__find_if7functorIS9_EEEE10hipError_tPvRmT1_T2_T3_mT4_P12ihipStream_tbEUlT_E1_NS1_11comp_targetILNS1_3genE5ELNS1_11target_archE942ELNS1_3gpuE9ELNS1_3repE0EEENS1_30default_config_static_selectorELNS0_4arch9wavefront6targetE0EEEvS14_,"axG",@progbits,_ZN7rocprim17ROCPRIM_400000_NS6detail17trampoline_kernelINS0_14default_configENS1_22reduce_config_selectorIN6thrust23THRUST_200600_302600_NS5tupleIblNS6_9null_typeES8_S8_S8_S8_S8_S8_S8_EEEEZNS1_11reduce_implILb1ES3_NS6_12zip_iteratorINS7_INS6_11hip_rocprim26transform_input_iterator_tIbNSD_35transform_pair_of_input_iterators_tIbNS6_6detail15normal_iteratorINS6_10device_ptrIKdEEEESL_NS6_8equal_toIdEEEENSG_9not_fun_tINSD_8identityEEEEENSD_19counting_iterator_tIlEES8_S8_S8_S8_S8_S8_S8_S8_EEEEPS9_S9_NSD_9__find_if7functorIS9_EEEE10hipError_tPvRmT1_T2_T3_mT4_P12ihipStream_tbEUlT_E1_NS1_11comp_targetILNS1_3genE5ELNS1_11target_archE942ELNS1_3gpuE9ELNS1_3repE0EEENS1_30default_config_static_selectorELNS0_4arch9wavefront6targetE0EEEvS14_,comdat
	.protected	_ZN7rocprim17ROCPRIM_400000_NS6detail17trampoline_kernelINS0_14default_configENS1_22reduce_config_selectorIN6thrust23THRUST_200600_302600_NS5tupleIblNS6_9null_typeES8_S8_S8_S8_S8_S8_S8_EEEEZNS1_11reduce_implILb1ES3_NS6_12zip_iteratorINS7_INS6_11hip_rocprim26transform_input_iterator_tIbNSD_35transform_pair_of_input_iterators_tIbNS6_6detail15normal_iteratorINS6_10device_ptrIKdEEEESL_NS6_8equal_toIdEEEENSG_9not_fun_tINSD_8identityEEEEENSD_19counting_iterator_tIlEES8_S8_S8_S8_S8_S8_S8_S8_EEEEPS9_S9_NSD_9__find_if7functorIS9_EEEE10hipError_tPvRmT1_T2_T3_mT4_P12ihipStream_tbEUlT_E1_NS1_11comp_targetILNS1_3genE5ELNS1_11target_archE942ELNS1_3gpuE9ELNS1_3repE0EEENS1_30default_config_static_selectorELNS0_4arch9wavefront6targetE0EEEvS14_ ; -- Begin function _ZN7rocprim17ROCPRIM_400000_NS6detail17trampoline_kernelINS0_14default_configENS1_22reduce_config_selectorIN6thrust23THRUST_200600_302600_NS5tupleIblNS6_9null_typeES8_S8_S8_S8_S8_S8_S8_EEEEZNS1_11reduce_implILb1ES3_NS6_12zip_iteratorINS7_INS6_11hip_rocprim26transform_input_iterator_tIbNSD_35transform_pair_of_input_iterators_tIbNS6_6detail15normal_iteratorINS6_10device_ptrIKdEEEESL_NS6_8equal_toIdEEEENSG_9not_fun_tINSD_8identityEEEEENSD_19counting_iterator_tIlEES8_S8_S8_S8_S8_S8_S8_S8_EEEEPS9_S9_NSD_9__find_if7functorIS9_EEEE10hipError_tPvRmT1_T2_T3_mT4_P12ihipStream_tbEUlT_E1_NS1_11comp_targetILNS1_3genE5ELNS1_11target_archE942ELNS1_3gpuE9ELNS1_3repE0EEENS1_30default_config_static_selectorELNS0_4arch9wavefront6targetE0EEEvS14_
	.globl	_ZN7rocprim17ROCPRIM_400000_NS6detail17trampoline_kernelINS0_14default_configENS1_22reduce_config_selectorIN6thrust23THRUST_200600_302600_NS5tupleIblNS6_9null_typeES8_S8_S8_S8_S8_S8_S8_EEEEZNS1_11reduce_implILb1ES3_NS6_12zip_iteratorINS7_INS6_11hip_rocprim26transform_input_iterator_tIbNSD_35transform_pair_of_input_iterators_tIbNS6_6detail15normal_iteratorINS6_10device_ptrIKdEEEESL_NS6_8equal_toIdEEEENSG_9not_fun_tINSD_8identityEEEEENSD_19counting_iterator_tIlEES8_S8_S8_S8_S8_S8_S8_S8_EEEEPS9_S9_NSD_9__find_if7functorIS9_EEEE10hipError_tPvRmT1_T2_T3_mT4_P12ihipStream_tbEUlT_E1_NS1_11comp_targetILNS1_3genE5ELNS1_11target_archE942ELNS1_3gpuE9ELNS1_3repE0EEENS1_30default_config_static_selectorELNS0_4arch9wavefront6targetE0EEEvS14_
	.p2align	8
	.type	_ZN7rocprim17ROCPRIM_400000_NS6detail17trampoline_kernelINS0_14default_configENS1_22reduce_config_selectorIN6thrust23THRUST_200600_302600_NS5tupleIblNS6_9null_typeES8_S8_S8_S8_S8_S8_S8_EEEEZNS1_11reduce_implILb1ES3_NS6_12zip_iteratorINS7_INS6_11hip_rocprim26transform_input_iterator_tIbNSD_35transform_pair_of_input_iterators_tIbNS6_6detail15normal_iteratorINS6_10device_ptrIKdEEEESL_NS6_8equal_toIdEEEENSG_9not_fun_tINSD_8identityEEEEENSD_19counting_iterator_tIlEES8_S8_S8_S8_S8_S8_S8_S8_EEEEPS9_S9_NSD_9__find_if7functorIS9_EEEE10hipError_tPvRmT1_T2_T3_mT4_P12ihipStream_tbEUlT_E1_NS1_11comp_targetILNS1_3genE5ELNS1_11target_archE942ELNS1_3gpuE9ELNS1_3repE0EEENS1_30default_config_static_selectorELNS0_4arch9wavefront6targetE0EEEvS14_,@function
_ZN7rocprim17ROCPRIM_400000_NS6detail17trampoline_kernelINS0_14default_configENS1_22reduce_config_selectorIN6thrust23THRUST_200600_302600_NS5tupleIblNS6_9null_typeES8_S8_S8_S8_S8_S8_S8_EEEEZNS1_11reduce_implILb1ES3_NS6_12zip_iteratorINS7_INS6_11hip_rocprim26transform_input_iterator_tIbNSD_35transform_pair_of_input_iterators_tIbNS6_6detail15normal_iteratorINS6_10device_ptrIKdEEEESL_NS6_8equal_toIdEEEENSG_9not_fun_tINSD_8identityEEEEENSD_19counting_iterator_tIlEES8_S8_S8_S8_S8_S8_S8_S8_EEEEPS9_S9_NSD_9__find_if7functorIS9_EEEE10hipError_tPvRmT1_T2_T3_mT4_P12ihipStream_tbEUlT_E1_NS1_11comp_targetILNS1_3genE5ELNS1_11target_archE942ELNS1_3gpuE9ELNS1_3repE0EEENS1_30default_config_static_selectorELNS0_4arch9wavefront6targetE0EEEvS14_: ; @_ZN7rocprim17ROCPRIM_400000_NS6detail17trampoline_kernelINS0_14default_configENS1_22reduce_config_selectorIN6thrust23THRUST_200600_302600_NS5tupleIblNS6_9null_typeES8_S8_S8_S8_S8_S8_S8_EEEEZNS1_11reduce_implILb1ES3_NS6_12zip_iteratorINS7_INS6_11hip_rocprim26transform_input_iterator_tIbNSD_35transform_pair_of_input_iterators_tIbNS6_6detail15normal_iteratorINS6_10device_ptrIKdEEEESL_NS6_8equal_toIdEEEENSG_9not_fun_tINSD_8identityEEEEENSD_19counting_iterator_tIlEES8_S8_S8_S8_S8_S8_S8_S8_EEEEPS9_S9_NSD_9__find_if7functorIS9_EEEE10hipError_tPvRmT1_T2_T3_mT4_P12ihipStream_tbEUlT_E1_NS1_11comp_targetILNS1_3genE5ELNS1_11target_archE942ELNS1_3gpuE9ELNS1_3repE0EEENS1_30default_config_static_selectorELNS0_4arch9wavefront6targetE0EEEvS14_
; %bb.0:
	.section	.rodata,"a",@progbits
	.p2align	6, 0x0
	.amdhsa_kernel _ZN7rocprim17ROCPRIM_400000_NS6detail17trampoline_kernelINS0_14default_configENS1_22reduce_config_selectorIN6thrust23THRUST_200600_302600_NS5tupleIblNS6_9null_typeES8_S8_S8_S8_S8_S8_S8_EEEEZNS1_11reduce_implILb1ES3_NS6_12zip_iteratorINS7_INS6_11hip_rocprim26transform_input_iterator_tIbNSD_35transform_pair_of_input_iterators_tIbNS6_6detail15normal_iteratorINS6_10device_ptrIKdEEEESL_NS6_8equal_toIdEEEENSG_9not_fun_tINSD_8identityEEEEENSD_19counting_iterator_tIlEES8_S8_S8_S8_S8_S8_S8_S8_EEEEPS9_S9_NSD_9__find_if7functorIS9_EEEE10hipError_tPvRmT1_T2_T3_mT4_P12ihipStream_tbEUlT_E1_NS1_11comp_targetILNS1_3genE5ELNS1_11target_archE942ELNS1_3gpuE9ELNS1_3repE0EEENS1_30default_config_static_selectorELNS0_4arch9wavefront6targetE0EEEvS14_
		.amdhsa_group_segment_fixed_size 0
		.amdhsa_private_segment_fixed_size 0
		.amdhsa_kernarg_size 88
		.amdhsa_user_sgpr_count 2
		.amdhsa_user_sgpr_dispatch_ptr 0
		.amdhsa_user_sgpr_queue_ptr 0
		.amdhsa_user_sgpr_kernarg_segment_ptr 1
		.amdhsa_user_sgpr_dispatch_id 0
		.amdhsa_user_sgpr_kernarg_preload_length 0
		.amdhsa_user_sgpr_kernarg_preload_offset 0
		.amdhsa_user_sgpr_private_segment_size 0
		.amdhsa_wavefront_size32 1
		.amdhsa_uses_dynamic_stack 0
		.amdhsa_enable_private_segment 0
		.amdhsa_system_sgpr_workgroup_id_x 1
		.amdhsa_system_sgpr_workgroup_id_y 0
		.amdhsa_system_sgpr_workgroup_id_z 0
		.amdhsa_system_sgpr_workgroup_info 0
		.amdhsa_system_vgpr_workitem_id 0
		.amdhsa_next_free_vgpr 1
		.amdhsa_next_free_sgpr 1
		.amdhsa_named_barrier_count 0
		.amdhsa_reserve_vcc 0
		.amdhsa_float_round_mode_32 0
		.amdhsa_float_round_mode_16_64 0
		.amdhsa_float_denorm_mode_32 3
		.amdhsa_float_denorm_mode_16_64 3
		.amdhsa_fp16_overflow 0
		.amdhsa_memory_ordered 1
		.amdhsa_forward_progress 1
		.amdhsa_inst_pref_size 0
		.amdhsa_round_robin_scheduling 0
		.amdhsa_exception_fp_ieee_invalid_op 0
		.amdhsa_exception_fp_denorm_src 0
		.amdhsa_exception_fp_ieee_div_zero 0
		.amdhsa_exception_fp_ieee_overflow 0
		.amdhsa_exception_fp_ieee_underflow 0
		.amdhsa_exception_fp_ieee_inexact 0
		.amdhsa_exception_int_div_zero 0
	.end_amdhsa_kernel
	.section	.text._ZN7rocprim17ROCPRIM_400000_NS6detail17trampoline_kernelINS0_14default_configENS1_22reduce_config_selectorIN6thrust23THRUST_200600_302600_NS5tupleIblNS6_9null_typeES8_S8_S8_S8_S8_S8_S8_EEEEZNS1_11reduce_implILb1ES3_NS6_12zip_iteratorINS7_INS6_11hip_rocprim26transform_input_iterator_tIbNSD_35transform_pair_of_input_iterators_tIbNS6_6detail15normal_iteratorINS6_10device_ptrIKdEEEESL_NS6_8equal_toIdEEEENSG_9not_fun_tINSD_8identityEEEEENSD_19counting_iterator_tIlEES8_S8_S8_S8_S8_S8_S8_S8_EEEEPS9_S9_NSD_9__find_if7functorIS9_EEEE10hipError_tPvRmT1_T2_T3_mT4_P12ihipStream_tbEUlT_E1_NS1_11comp_targetILNS1_3genE5ELNS1_11target_archE942ELNS1_3gpuE9ELNS1_3repE0EEENS1_30default_config_static_selectorELNS0_4arch9wavefront6targetE0EEEvS14_,"axG",@progbits,_ZN7rocprim17ROCPRIM_400000_NS6detail17trampoline_kernelINS0_14default_configENS1_22reduce_config_selectorIN6thrust23THRUST_200600_302600_NS5tupleIblNS6_9null_typeES8_S8_S8_S8_S8_S8_S8_EEEEZNS1_11reduce_implILb1ES3_NS6_12zip_iteratorINS7_INS6_11hip_rocprim26transform_input_iterator_tIbNSD_35transform_pair_of_input_iterators_tIbNS6_6detail15normal_iteratorINS6_10device_ptrIKdEEEESL_NS6_8equal_toIdEEEENSG_9not_fun_tINSD_8identityEEEEENSD_19counting_iterator_tIlEES8_S8_S8_S8_S8_S8_S8_S8_EEEEPS9_S9_NSD_9__find_if7functorIS9_EEEE10hipError_tPvRmT1_T2_T3_mT4_P12ihipStream_tbEUlT_E1_NS1_11comp_targetILNS1_3genE5ELNS1_11target_archE942ELNS1_3gpuE9ELNS1_3repE0EEENS1_30default_config_static_selectorELNS0_4arch9wavefront6targetE0EEEvS14_,comdat
.Lfunc_end47:
	.size	_ZN7rocprim17ROCPRIM_400000_NS6detail17trampoline_kernelINS0_14default_configENS1_22reduce_config_selectorIN6thrust23THRUST_200600_302600_NS5tupleIblNS6_9null_typeES8_S8_S8_S8_S8_S8_S8_EEEEZNS1_11reduce_implILb1ES3_NS6_12zip_iteratorINS7_INS6_11hip_rocprim26transform_input_iterator_tIbNSD_35transform_pair_of_input_iterators_tIbNS6_6detail15normal_iteratorINS6_10device_ptrIKdEEEESL_NS6_8equal_toIdEEEENSG_9not_fun_tINSD_8identityEEEEENSD_19counting_iterator_tIlEES8_S8_S8_S8_S8_S8_S8_S8_EEEEPS9_S9_NSD_9__find_if7functorIS9_EEEE10hipError_tPvRmT1_T2_T3_mT4_P12ihipStream_tbEUlT_E1_NS1_11comp_targetILNS1_3genE5ELNS1_11target_archE942ELNS1_3gpuE9ELNS1_3repE0EEENS1_30default_config_static_selectorELNS0_4arch9wavefront6targetE0EEEvS14_, .Lfunc_end47-_ZN7rocprim17ROCPRIM_400000_NS6detail17trampoline_kernelINS0_14default_configENS1_22reduce_config_selectorIN6thrust23THRUST_200600_302600_NS5tupleIblNS6_9null_typeES8_S8_S8_S8_S8_S8_S8_EEEEZNS1_11reduce_implILb1ES3_NS6_12zip_iteratorINS7_INS6_11hip_rocprim26transform_input_iterator_tIbNSD_35transform_pair_of_input_iterators_tIbNS6_6detail15normal_iteratorINS6_10device_ptrIKdEEEESL_NS6_8equal_toIdEEEENSG_9not_fun_tINSD_8identityEEEEENSD_19counting_iterator_tIlEES8_S8_S8_S8_S8_S8_S8_S8_EEEEPS9_S9_NSD_9__find_if7functorIS9_EEEE10hipError_tPvRmT1_T2_T3_mT4_P12ihipStream_tbEUlT_E1_NS1_11comp_targetILNS1_3genE5ELNS1_11target_archE942ELNS1_3gpuE9ELNS1_3repE0EEENS1_30default_config_static_selectorELNS0_4arch9wavefront6targetE0EEEvS14_
                                        ; -- End function
	.set _ZN7rocprim17ROCPRIM_400000_NS6detail17trampoline_kernelINS0_14default_configENS1_22reduce_config_selectorIN6thrust23THRUST_200600_302600_NS5tupleIblNS6_9null_typeES8_S8_S8_S8_S8_S8_S8_EEEEZNS1_11reduce_implILb1ES3_NS6_12zip_iteratorINS7_INS6_11hip_rocprim26transform_input_iterator_tIbNSD_35transform_pair_of_input_iterators_tIbNS6_6detail15normal_iteratorINS6_10device_ptrIKdEEEESL_NS6_8equal_toIdEEEENSG_9not_fun_tINSD_8identityEEEEENSD_19counting_iterator_tIlEES8_S8_S8_S8_S8_S8_S8_S8_EEEEPS9_S9_NSD_9__find_if7functorIS9_EEEE10hipError_tPvRmT1_T2_T3_mT4_P12ihipStream_tbEUlT_E1_NS1_11comp_targetILNS1_3genE5ELNS1_11target_archE942ELNS1_3gpuE9ELNS1_3repE0EEENS1_30default_config_static_selectorELNS0_4arch9wavefront6targetE0EEEvS14_.num_vgpr, 0
	.set _ZN7rocprim17ROCPRIM_400000_NS6detail17trampoline_kernelINS0_14default_configENS1_22reduce_config_selectorIN6thrust23THRUST_200600_302600_NS5tupleIblNS6_9null_typeES8_S8_S8_S8_S8_S8_S8_EEEEZNS1_11reduce_implILb1ES3_NS6_12zip_iteratorINS7_INS6_11hip_rocprim26transform_input_iterator_tIbNSD_35transform_pair_of_input_iterators_tIbNS6_6detail15normal_iteratorINS6_10device_ptrIKdEEEESL_NS6_8equal_toIdEEEENSG_9not_fun_tINSD_8identityEEEEENSD_19counting_iterator_tIlEES8_S8_S8_S8_S8_S8_S8_S8_EEEEPS9_S9_NSD_9__find_if7functorIS9_EEEE10hipError_tPvRmT1_T2_T3_mT4_P12ihipStream_tbEUlT_E1_NS1_11comp_targetILNS1_3genE5ELNS1_11target_archE942ELNS1_3gpuE9ELNS1_3repE0EEENS1_30default_config_static_selectorELNS0_4arch9wavefront6targetE0EEEvS14_.num_agpr, 0
	.set _ZN7rocprim17ROCPRIM_400000_NS6detail17trampoline_kernelINS0_14default_configENS1_22reduce_config_selectorIN6thrust23THRUST_200600_302600_NS5tupleIblNS6_9null_typeES8_S8_S8_S8_S8_S8_S8_EEEEZNS1_11reduce_implILb1ES3_NS6_12zip_iteratorINS7_INS6_11hip_rocprim26transform_input_iterator_tIbNSD_35transform_pair_of_input_iterators_tIbNS6_6detail15normal_iteratorINS6_10device_ptrIKdEEEESL_NS6_8equal_toIdEEEENSG_9not_fun_tINSD_8identityEEEEENSD_19counting_iterator_tIlEES8_S8_S8_S8_S8_S8_S8_S8_EEEEPS9_S9_NSD_9__find_if7functorIS9_EEEE10hipError_tPvRmT1_T2_T3_mT4_P12ihipStream_tbEUlT_E1_NS1_11comp_targetILNS1_3genE5ELNS1_11target_archE942ELNS1_3gpuE9ELNS1_3repE0EEENS1_30default_config_static_selectorELNS0_4arch9wavefront6targetE0EEEvS14_.numbered_sgpr, 0
	.set _ZN7rocprim17ROCPRIM_400000_NS6detail17trampoline_kernelINS0_14default_configENS1_22reduce_config_selectorIN6thrust23THRUST_200600_302600_NS5tupleIblNS6_9null_typeES8_S8_S8_S8_S8_S8_S8_EEEEZNS1_11reduce_implILb1ES3_NS6_12zip_iteratorINS7_INS6_11hip_rocprim26transform_input_iterator_tIbNSD_35transform_pair_of_input_iterators_tIbNS6_6detail15normal_iteratorINS6_10device_ptrIKdEEEESL_NS6_8equal_toIdEEEENSG_9not_fun_tINSD_8identityEEEEENSD_19counting_iterator_tIlEES8_S8_S8_S8_S8_S8_S8_S8_EEEEPS9_S9_NSD_9__find_if7functorIS9_EEEE10hipError_tPvRmT1_T2_T3_mT4_P12ihipStream_tbEUlT_E1_NS1_11comp_targetILNS1_3genE5ELNS1_11target_archE942ELNS1_3gpuE9ELNS1_3repE0EEENS1_30default_config_static_selectorELNS0_4arch9wavefront6targetE0EEEvS14_.num_named_barrier, 0
	.set _ZN7rocprim17ROCPRIM_400000_NS6detail17trampoline_kernelINS0_14default_configENS1_22reduce_config_selectorIN6thrust23THRUST_200600_302600_NS5tupleIblNS6_9null_typeES8_S8_S8_S8_S8_S8_S8_EEEEZNS1_11reduce_implILb1ES3_NS6_12zip_iteratorINS7_INS6_11hip_rocprim26transform_input_iterator_tIbNSD_35transform_pair_of_input_iterators_tIbNS6_6detail15normal_iteratorINS6_10device_ptrIKdEEEESL_NS6_8equal_toIdEEEENSG_9not_fun_tINSD_8identityEEEEENSD_19counting_iterator_tIlEES8_S8_S8_S8_S8_S8_S8_S8_EEEEPS9_S9_NSD_9__find_if7functorIS9_EEEE10hipError_tPvRmT1_T2_T3_mT4_P12ihipStream_tbEUlT_E1_NS1_11comp_targetILNS1_3genE5ELNS1_11target_archE942ELNS1_3gpuE9ELNS1_3repE0EEENS1_30default_config_static_selectorELNS0_4arch9wavefront6targetE0EEEvS14_.private_seg_size, 0
	.set _ZN7rocprim17ROCPRIM_400000_NS6detail17trampoline_kernelINS0_14default_configENS1_22reduce_config_selectorIN6thrust23THRUST_200600_302600_NS5tupleIblNS6_9null_typeES8_S8_S8_S8_S8_S8_S8_EEEEZNS1_11reduce_implILb1ES3_NS6_12zip_iteratorINS7_INS6_11hip_rocprim26transform_input_iterator_tIbNSD_35transform_pair_of_input_iterators_tIbNS6_6detail15normal_iteratorINS6_10device_ptrIKdEEEESL_NS6_8equal_toIdEEEENSG_9not_fun_tINSD_8identityEEEEENSD_19counting_iterator_tIlEES8_S8_S8_S8_S8_S8_S8_S8_EEEEPS9_S9_NSD_9__find_if7functorIS9_EEEE10hipError_tPvRmT1_T2_T3_mT4_P12ihipStream_tbEUlT_E1_NS1_11comp_targetILNS1_3genE5ELNS1_11target_archE942ELNS1_3gpuE9ELNS1_3repE0EEENS1_30default_config_static_selectorELNS0_4arch9wavefront6targetE0EEEvS14_.uses_vcc, 0
	.set _ZN7rocprim17ROCPRIM_400000_NS6detail17trampoline_kernelINS0_14default_configENS1_22reduce_config_selectorIN6thrust23THRUST_200600_302600_NS5tupleIblNS6_9null_typeES8_S8_S8_S8_S8_S8_S8_EEEEZNS1_11reduce_implILb1ES3_NS6_12zip_iteratorINS7_INS6_11hip_rocprim26transform_input_iterator_tIbNSD_35transform_pair_of_input_iterators_tIbNS6_6detail15normal_iteratorINS6_10device_ptrIKdEEEESL_NS6_8equal_toIdEEEENSG_9not_fun_tINSD_8identityEEEEENSD_19counting_iterator_tIlEES8_S8_S8_S8_S8_S8_S8_S8_EEEEPS9_S9_NSD_9__find_if7functorIS9_EEEE10hipError_tPvRmT1_T2_T3_mT4_P12ihipStream_tbEUlT_E1_NS1_11comp_targetILNS1_3genE5ELNS1_11target_archE942ELNS1_3gpuE9ELNS1_3repE0EEENS1_30default_config_static_selectorELNS0_4arch9wavefront6targetE0EEEvS14_.uses_flat_scratch, 0
	.set _ZN7rocprim17ROCPRIM_400000_NS6detail17trampoline_kernelINS0_14default_configENS1_22reduce_config_selectorIN6thrust23THRUST_200600_302600_NS5tupleIblNS6_9null_typeES8_S8_S8_S8_S8_S8_S8_EEEEZNS1_11reduce_implILb1ES3_NS6_12zip_iteratorINS7_INS6_11hip_rocprim26transform_input_iterator_tIbNSD_35transform_pair_of_input_iterators_tIbNS6_6detail15normal_iteratorINS6_10device_ptrIKdEEEESL_NS6_8equal_toIdEEEENSG_9not_fun_tINSD_8identityEEEEENSD_19counting_iterator_tIlEES8_S8_S8_S8_S8_S8_S8_S8_EEEEPS9_S9_NSD_9__find_if7functorIS9_EEEE10hipError_tPvRmT1_T2_T3_mT4_P12ihipStream_tbEUlT_E1_NS1_11comp_targetILNS1_3genE5ELNS1_11target_archE942ELNS1_3gpuE9ELNS1_3repE0EEENS1_30default_config_static_selectorELNS0_4arch9wavefront6targetE0EEEvS14_.has_dyn_sized_stack, 0
	.set _ZN7rocprim17ROCPRIM_400000_NS6detail17trampoline_kernelINS0_14default_configENS1_22reduce_config_selectorIN6thrust23THRUST_200600_302600_NS5tupleIblNS6_9null_typeES8_S8_S8_S8_S8_S8_S8_EEEEZNS1_11reduce_implILb1ES3_NS6_12zip_iteratorINS7_INS6_11hip_rocprim26transform_input_iterator_tIbNSD_35transform_pair_of_input_iterators_tIbNS6_6detail15normal_iteratorINS6_10device_ptrIKdEEEESL_NS6_8equal_toIdEEEENSG_9not_fun_tINSD_8identityEEEEENSD_19counting_iterator_tIlEES8_S8_S8_S8_S8_S8_S8_S8_EEEEPS9_S9_NSD_9__find_if7functorIS9_EEEE10hipError_tPvRmT1_T2_T3_mT4_P12ihipStream_tbEUlT_E1_NS1_11comp_targetILNS1_3genE5ELNS1_11target_archE942ELNS1_3gpuE9ELNS1_3repE0EEENS1_30default_config_static_selectorELNS0_4arch9wavefront6targetE0EEEvS14_.has_recursion, 0
	.set _ZN7rocprim17ROCPRIM_400000_NS6detail17trampoline_kernelINS0_14default_configENS1_22reduce_config_selectorIN6thrust23THRUST_200600_302600_NS5tupleIblNS6_9null_typeES8_S8_S8_S8_S8_S8_S8_EEEEZNS1_11reduce_implILb1ES3_NS6_12zip_iteratorINS7_INS6_11hip_rocprim26transform_input_iterator_tIbNSD_35transform_pair_of_input_iterators_tIbNS6_6detail15normal_iteratorINS6_10device_ptrIKdEEEESL_NS6_8equal_toIdEEEENSG_9not_fun_tINSD_8identityEEEEENSD_19counting_iterator_tIlEES8_S8_S8_S8_S8_S8_S8_S8_EEEEPS9_S9_NSD_9__find_if7functorIS9_EEEE10hipError_tPvRmT1_T2_T3_mT4_P12ihipStream_tbEUlT_E1_NS1_11comp_targetILNS1_3genE5ELNS1_11target_archE942ELNS1_3gpuE9ELNS1_3repE0EEENS1_30default_config_static_selectorELNS0_4arch9wavefront6targetE0EEEvS14_.has_indirect_call, 0
	.section	.AMDGPU.csdata,"",@progbits
; Kernel info:
; codeLenInByte = 0
; TotalNumSgprs: 0
; NumVgprs: 0
; ScratchSize: 0
; MemoryBound: 0
; FloatMode: 240
; IeeeMode: 1
; LDSByteSize: 0 bytes/workgroup (compile time only)
; SGPRBlocks: 0
; VGPRBlocks: 0
; NumSGPRsForWavesPerEU: 1
; NumVGPRsForWavesPerEU: 1
; NamedBarCnt: 0
; Occupancy: 16
; WaveLimiterHint : 0
; COMPUTE_PGM_RSRC2:SCRATCH_EN: 0
; COMPUTE_PGM_RSRC2:USER_SGPR: 2
; COMPUTE_PGM_RSRC2:TRAP_HANDLER: 0
; COMPUTE_PGM_RSRC2:TGID_X_EN: 1
; COMPUTE_PGM_RSRC2:TGID_Y_EN: 0
; COMPUTE_PGM_RSRC2:TGID_Z_EN: 0
; COMPUTE_PGM_RSRC2:TIDIG_COMP_CNT: 0
	.section	.text._ZN7rocprim17ROCPRIM_400000_NS6detail17trampoline_kernelINS0_14default_configENS1_22reduce_config_selectorIN6thrust23THRUST_200600_302600_NS5tupleIblNS6_9null_typeES8_S8_S8_S8_S8_S8_S8_EEEEZNS1_11reduce_implILb1ES3_NS6_12zip_iteratorINS7_INS6_11hip_rocprim26transform_input_iterator_tIbNSD_35transform_pair_of_input_iterators_tIbNS6_6detail15normal_iteratorINS6_10device_ptrIKdEEEESL_NS6_8equal_toIdEEEENSG_9not_fun_tINSD_8identityEEEEENSD_19counting_iterator_tIlEES8_S8_S8_S8_S8_S8_S8_S8_EEEEPS9_S9_NSD_9__find_if7functorIS9_EEEE10hipError_tPvRmT1_T2_T3_mT4_P12ihipStream_tbEUlT_E1_NS1_11comp_targetILNS1_3genE4ELNS1_11target_archE910ELNS1_3gpuE8ELNS1_3repE0EEENS1_30default_config_static_selectorELNS0_4arch9wavefront6targetE0EEEvS14_,"axG",@progbits,_ZN7rocprim17ROCPRIM_400000_NS6detail17trampoline_kernelINS0_14default_configENS1_22reduce_config_selectorIN6thrust23THRUST_200600_302600_NS5tupleIblNS6_9null_typeES8_S8_S8_S8_S8_S8_S8_EEEEZNS1_11reduce_implILb1ES3_NS6_12zip_iteratorINS7_INS6_11hip_rocprim26transform_input_iterator_tIbNSD_35transform_pair_of_input_iterators_tIbNS6_6detail15normal_iteratorINS6_10device_ptrIKdEEEESL_NS6_8equal_toIdEEEENSG_9not_fun_tINSD_8identityEEEEENSD_19counting_iterator_tIlEES8_S8_S8_S8_S8_S8_S8_S8_EEEEPS9_S9_NSD_9__find_if7functorIS9_EEEE10hipError_tPvRmT1_T2_T3_mT4_P12ihipStream_tbEUlT_E1_NS1_11comp_targetILNS1_3genE4ELNS1_11target_archE910ELNS1_3gpuE8ELNS1_3repE0EEENS1_30default_config_static_selectorELNS0_4arch9wavefront6targetE0EEEvS14_,comdat
	.protected	_ZN7rocprim17ROCPRIM_400000_NS6detail17trampoline_kernelINS0_14default_configENS1_22reduce_config_selectorIN6thrust23THRUST_200600_302600_NS5tupleIblNS6_9null_typeES8_S8_S8_S8_S8_S8_S8_EEEEZNS1_11reduce_implILb1ES3_NS6_12zip_iteratorINS7_INS6_11hip_rocprim26transform_input_iterator_tIbNSD_35transform_pair_of_input_iterators_tIbNS6_6detail15normal_iteratorINS6_10device_ptrIKdEEEESL_NS6_8equal_toIdEEEENSG_9not_fun_tINSD_8identityEEEEENSD_19counting_iterator_tIlEES8_S8_S8_S8_S8_S8_S8_S8_EEEEPS9_S9_NSD_9__find_if7functorIS9_EEEE10hipError_tPvRmT1_T2_T3_mT4_P12ihipStream_tbEUlT_E1_NS1_11comp_targetILNS1_3genE4ELNS1_11target_archE910ELNS1_3gpuE8ELNS1_3repE0EEENS1_30default_config_static_selectorELNS0_4arch9wavefront6targetE0EEEvS14_ ; -- Begin function _ZN7rocprim17ROCPRIM_400000_NS6detail17trampoline_kernelINS0_14default_configENS1_22reduce_config_selectorIN6thrust23THRUST_200600_302600_NS5tupleIblNS6_9null_typeES8_S8_S8_S8_S8_S8_S8_EEEEZNS1_11reduce_implILb1ES3_NS6_12zip_iteratorINS7_INS6_11hip_rocprim26transform_input_iterator_tIbNSD_35transform_pair_of_input_iterators_tIbNS6_6detail15normal_iteratorINS6_10device_ptrIKdEEEESL_NS6_8equal_toIdEEEENSG_9not_fun_tINSD_8identityEEEEENSD_19counting_iterator_tIlEES8_S8_S8_S8_S8_S8_S8_S8_EEEEPS9_S9_NSD_9__find_if7functorIS9_EEEE10hipError_tPvRmT1_T2_T3_mT4_P12ihipStream_tbEUlT_E1_NS1_11comp_targetILNS1_3genE4ELNS1_11target_archE910ELNS1_3gpuE8ELNS1_3repE0EEENS1_30default_config_static_selectorELNS0_4arch9wavefront6targetE0EEEvS14_
	.globl	_ZN7rocprim17ROCPRIM_400000_NS6detail17trampoline_kernelINS0_14default_configENS1_22reduce_config_selectorIN6thrust23THRUST_200600_302600_NS5tupleIblNS6_9null_typeES8_S8_S8_S8_S8_S8_S8_EEEEZNS1_11reduce_implILb1ES3_NS6_12zip_iteratorINS7_INS6_11hip_rocprim26transform_input_iterator_tIbNSD_35transform_pair_of_input_iterators_tIbNS6_6detail15normal_iteratorINS6_10device_ptrIKdEEEESL_NS6_8equal_toIdEEEENSG_9not_fun_tINSD_8identityEEEEENSD_19counting_iterator_tIlEES8_S8_S8_S8_S8_S8_S8_S8_EEEEPS9_S9_NSD_9__find_if7functorIS9_EEEE10hipError_tPvRmT1_T2_T3_mT4_P12ihipStream_tbEUlT_E1_NS1_11comp_targetILNS1_3genE4ELNS1_11target_archE910ELNS1_3gpuE8ELNS1_3repE0EEENS1_30default_config_static_selectorELNS0_4arch9wavefront6targetE0EEEvS14_
	.p2align	8
	.type	_ZN7rocprim17ROCPRIM_400000_NS6detail17trampoline_kernelINS0_14default_configENS1_22reduce_config_selectorIN6thrust23THRUST_200600_302600_NS5tupleIblNS6_9null_typeES8_S8_S8_S8_S8_S8_S8_EEEEZNS1_11reduce_implILb1ES3_NS6_12zip_iteratorINS7_INS6_11hip_rocprim26transform_input_iterator_tIbNSD_35transform_pair_of_input_iterators_tIbNS6_6detail15normal_iteratorINS6_10device_ptrIKdEEEESL_NS6_8equal_toIdEEEENSG_9not_fun_tINSD_8identityEEEEENSD_19counting_iterator_tIlEES8_S8_S8_S8_S8_S8_S8_S8_EEEEPS9_S9_NSD_9__find_if7functorIS9_EEEE10hipError_tPvRmT1_T2_T3_mT4_P12ihipStream_tbEUlT_E1_NS1_11comp_targetILNS1_3genE4ELNS1_11target_archE910ELNS1_3gpuE8ELNS1_3repE0EEENS1_30default_config_static_selectorELNS0_4arch9wavefront6targetE0EEEvS14_,@function
_ZN7rocprim17ROCPRIM_400000_NS6detail17trampoline_kernelINS0_14default_configENS1_22reduce_config_selectorIN6thrust23THRUST_200600_302600_NS5tupleIblNS6_9null_typeES8_S8_S8_S8_S8_S8_S8_EEEEZNS1_11reduce_implILb1ES3_NS6_12zip_iteratorINS7_INS6_11hip_rocprim26transform_input_iterator_tIbNSD_35transform_pair_of_input_iterators_tIbNS6_6detail15normal_iteratorINS6_10device_ptrIKdEEEESL_NS6_8equal_toIdEEEENSG_9not_fun_tINSD_8identityEEEEENSD_19counting_iterator_tIlEES8_S8_S8_S8_S8_S8_S8_S8_EEEEPS9_S9_NSD_9__find_if7functorIS9_EEEE10hipError_tPvRmT1_T2_T3_mT4_P12ihipStream_tbEUlT_E1_NS1_11comp_targetILNS1_3genE4ELNS1_11target_archE910ELNS1_3gpuE8ELNS1_3repE0EEENS1_30default_config_static_selectorELNS0_4arch9wavefront6targetE0EEEvS14_: ; @_ZN7rocprim17ROCPRIM_400000_NS6detail17trampoline_kernelINS0_14default_configENS1_22reduce_config_selectorIN6thrust23THRUST_200600_302600_NS5tupleIblNS6_9null_typeES8_S8_S8_S8_S8_S8_S8_EEEEZNS1_11reduce_implILb1ES3_NS6_12zip_iteratorINS7_INS6_11hip_rocprim26transform_input_iterator_tIbNSD_35transform_pair_of_input_iterators_tIbNS6_6detail15normal_iteratorINS6_10device_ptrIKdEEEESL_NS6_8equal_toIdEEEENSG_9not_fun_tINSD_8identityEEEEENSD_19counting_iterator_tIlEES8_S8_S8_S8_S8_S8_S8_S8_EEEEPS9_S9_NSD_9__find_if7functorIS9_EEEE10hipError_tPvRmT1_T2_T3_mT4_P12ihipStream_tbEUlT_E1_NS1_11comp_targetILNS1_3genE4ELNS1_11target_archE910ELNS1_3gpuE8ELNS1_3repE0EEENS1_30default_config_static_selectorELNS0_4arch9wavefront6targetE0EEEvS14_
; %bb.0:
	.section	.rodata,"a",@progbits
	.p2align	6, 0x0
	.amdhsa_kernel _ZN7rocprim17ROCPRIM_400000_NS6detail17trampoline_kernelINS0_14default_configENS1_22reduce_config_selectorIN6thrust23THRUST_200600_302600_NS5tupleIblNS6_9null_typeES8_S8_S8_S8_S8_S8_S8_EEEEZNS1_11reduce_implILb1ES3_NS6_12zip_iteratorINS7_INS6_11hip_rocprim26transform_input_iterator_tIbNSD_35transform_pair_of_input_iterators_tIbNS6_6detail15normal_iteratorINS6_10device_ptrIKdEEEESL_NS6_8equal_toIdEEEENSG_9not_fun_tINSD_8identityEEEEENSD_19counting_iterator_tIlEES8_S8_S8_S8_S8_S8_S8_S8_EEEEPS9_S9_NSD_9__find_if7functorIS9_EEEE10hipError_tPvRmT1_T2_T3_mT4_P12ihipStream_tbEUlT_E1_NS1_11comp_targetILNS1_3genE4ELNS1_11target_archE910ELNS1_3gpuE8ELNS1_3repE0EEENS1_30default_config_static_selectorELNS0_4arch9wavefront6targetE0EEEvS14_
		.amdhsa_group_segment_fixed_size 0
		.amdhsa_private_segment_fixed_size 0
		.amdhsa_kernarg_size 88
		.amdhsa_user_sgpr_count 2
		.amdhsa_user_sgpr_dispatch_ptr 0
		.amdhsa_user_sgpr_queue_ptr 0
		.amdhsa_user_sgpr_kernarg_segment_ptr 1
		.amdhsa_user_sgpr_dispatch_id 0
		.amdhsa_user_sgpr_kernarg_preload_length 0
		.amdhsa_user_sgpr_kernarg_preload_offset 0
		.amdhsa_user_sgpr_private_segment_size 0
		.amdhsa_wavefront_size32 1
		.amdhsa_uses_dynamic_stack 0
		.amdhsa_enable_private_segment 0
		.amdhsa_system_sgpr_workgroup_id_x 1
		.amdhsa_system_sgpr_workgroup_id_y 0
		.amdhsa_system_sgpr_workgroup_id_z 0
		.amdhsa_system_sgpr_workgroup_info 0
		.amdhsa_system_vgpr_workitem_id 0
		.amdhsa_next_free_vgpr 1
		.amdhsa_next_free_sgpr 1
		.amdhsa_named_barrier_count 0
		.amdhsa_reserve_vcc 0
		.amdhsa_float_round_mode_32 0
		.amdhsa_float_round_mode_16_64 0
		.amdhsa_float_denorm_mode_32 3
		.amdhsa_float_denorm_mode_16_64 3
		.amdhsa_fp16_overflow 0
		.amdhsa_memory_ordered 1
		.amdhsa_forward_progress 1
		.amdhsa_inst_pref_size 0
		.amdhsa_round_robin_scheduling 0
		.amdhsa_exception_fp_ieee_invalid_op 0
		.amdhsa_exception_fp_denorm_src 0
		.amdhsa_exception_fp_ieee_div_zero 0
		.amdhsa_exception_fp_ieee_overflow 0
		.amdhsa_exception_fp_ieee_underflow 0
		.amdhsa_exception_fp_ieee_inexact 0
		.amdhsa_exception_int_div_zero 0
	.end_amdhsa_kernel
	.section	.text._ZN7rocprim17ROCPRIM_400000_NS6detail17trampoline_kernelINS0_14default_configENS1_22reduce_config_selectorIN6thrust23THRUST_200600_302600_NS5tupleIblNS6_9null_typeES8_S8_S8_S8_S8_S8_S8_EEEEZNS1_11reduce_implILb1ES3_NS6_12zip_iteratorINS7_INS6_11hip_rocprim26transform_input_iterator_tIbNSD_35transform_pair_of_input_iterators_tIbNS6_6detail15normal_iteratorINS6_10device_ptrIKdEEEESL_NS6_8equal_toIdEEEENSG_9not_fun_tINSD_8identityEEEEENSD_19counting_iterator_tIlEES8_S8_S8_S8_S8_S8_S8_S8_EEEEPS9_S9_NSD_9__find_if7functorIS9_EEEE10hipError_tPvRmT1_T2_T3_mT4_P12ihipStream_tbEUlT_E1_NS1_11comp_targetILNS1_3genE4ELNS1_11target_archE910ELNS1_3gpuE8ELNS1_3repE0EEENS1_30default_config_static_selectorELNS0_4arch9wavefront6targetE0EEEvS14_,"axG",@progbits,_ZN7rocprim17ROCPRIM_400000_NS6detail17trampoline_kernelINS0_14default_configENS1_22reduce_config_selectorIN6thrust23THRUST_200600_302600_NS5tupleIblNS6_9null_typeES8_S8_S8_S8_S8_S8_S8_EEEEZNS1_11reduce_implILb1ES3_NS6_12zip_iteratorINS7_INS6_11hip_rocprim26transform_input_iterator_tIbNSD_35transform_pair_of_input_iterators_tIbNS6_6detail15normal_iteratorINS6_10device_ptrIKdEEEESL_NS6_8equal_toIdEEEENSG_9not_fun_tINSD_8identityEEEEENSD_19counting_iterator_tIlEES8_S8_S8_S8_S8_S8_S8_S8_EEEEPS9_S9_NSD_9__find_if7functorIS9_EEEE10hipError_tPvRmT1_T2_T3_mT4_P12ihipStream_tbEUlT_E1_NS1_11comp_targetILNS1_3genE4ELNS1_11target_archE910ELNS1_3gpuE8ELNS1_3repE0EEENS1_30default_config_static_selectorELNS0_4arch9wavefront6targetE0EEEvS14_,comdat
.Lfunc_end48:
	.size	_ZN7rocprim17ROCPRIM_400000_NS6detail17trampoline_kernelINS0_14default_configENS1_22reduce_config_selectorIN6thrust23THRUST_200600_302600_NS5tupleIblNS6_9null_typeES8_S8_S8_S8_S8_S8_S8_EEEEZNS1_11reduce_implILb1ES3_NS6_12zip_iteratorINS7_INS6_11hip_rocprim26transform_input_iterator_tIbNSD_35transform_pair_of_input_iterators_tIbNS6_6detail15normal_iteratorINS6_10device_ptrIKdEEEESL_NS6_8equal_toIdEEEENSG_9not_fun_tINSD_8identityEEEEENSD_19counting_iterator_tIlEES8_S8_S8_S8_S8_S8_S8_S8_EEEEPS9_S9_NSD_9__find_if7functorIS9_EEEE10hipError_tPvRmT1_T2_T3_mT4_P12ihipStream_tbEUlT_E1_NS1_11comp_targetILNS1_3genE4ELNS1_11target_archE910ELNS1_3gpuE8ELNS1_3repE0EEENS1_30default_config_static_selectorELNS0_4arch9wavefront6targetE0EEEvS14_, .Lfunc_end48-_ZN7rocprim17ROCPRIM_400000_NS6detail17trampoline_kernelINS0_14default_configENS1_22reduce_config_selectorIN6thrust23THRUST_200600_302600_NS5tupleIblNS6_9null_typeES8_S8_S8_S8_S8_S8_S8_EEEEZNS1_11reduce_implILb1ES3_NS6_12zip_iteratorINS7_INS6_11hip_rocprim26transform_input_iterator_tIbNSD_35transform_pair_of_input_iterators_tIbNS6_6detail15normal_iteratorINS6_10device_ptrIKdEEEESL_NS6_8equal_toIdEEEENSG_9not_fun_tINSD_8identityEEEEENSD_19counting_iterator_tIlEES8_S8_S8_S8_S8_S8_S8_S8_EEEEPS9_S9_NSD_9__find_if7functorIS9_EEEE10hipError_tPvRmT1_T2_T3_mT4_P12ihipStream_tbEUlT_E1_NS1_11comp_targetILNS1_3genE4ELNS1_11target_archE910ELNS1_3gpuE8ELNS1_3repE0EEENS1_30default_config_static_selectorELNS0_4arch9wavefront6targetE0EEEvS14_
                                        ; -- End function
	.set _ZN7rocprim17ROCPRIM_400000_NS6detail17trampoline_kernelINS0_14default_configENS1_22reduce_config_selectorIN6thrust23THRUST_200600_302600_NS5tupleIblNS6_9null_typeES8_S8_S8_S8_S8_S8_S8_EEEEZNS1_11reduce_implILb1ES3_NS6_12zip_iteratorINS7_INS6_11hip_rocprim26transform_input_iterator_tIbNSD_35transform_pair_of_input_iterators_tIbNS6_6detail15normal_iteratorINS6_10device_ptrIKdEEEESL_NS6_8equal_toIdEEEENSG_9not_fun_tINSD_8identityEEEEENSD_19counting_iterator_tIlEES8_S8_S8_S8_S8_S8_S8_S8_EEEEPS9_S9_NSD_9__find_if7functorIS9_EEEE10hipError_tPvRmT1_T2_T3_mT4_P12ihipStream_tbEUlT_E1_NS1_11comp_targetILNS1_3genE4ELNS1_11target_archE910ELNS1_3gpuE8ELNS1_3repE0EEENS1_30default_config_static_selectorELNS0_4arch9wavefront6targetE0EEEvS14_.num_vgpr, 0
	.set _ZN7rocprim17ROCPRIM_400000_NS6detail17trampoline_kernelINS0_14default_configENS1_22reduce_config_selectorIN6thrust23THRUST_200600_302600_NS5tupleIblNS6_9null_typeES8_S8_S8_S8_S8_S8_S8_EEEEZNS1_11reduce_implILb1ES3_NS6_12zip_iteratorINS7_INS6_11hip_rocprim26transform_input_iterator_tIbNSD_35transform_pair_of_input_iterators_tIbNS6_6detail15normal_iteratorINS6_10device_ptrIKdEEEESL_NS6_8equal_toIdEEEENSG_9not_fun_tINSD_8identityEEEEENSD_19counting_iterator_tIlEES8_S8_S8_S8_S8_S8_S8_S8_EEEEPS9_S9_NSD_9__find_if7functorIS9_EEEE10hipError_tPvRmT1_T2_T3_mT4_P12ihipStream_tbEUlT_E1_NS1_11comp_targetILNS1_3genE4ELNS1_11target_archE910ELNS1_3gpuE8ELNS1_3repE0EEENS1_30default_config_static_selectorELNS0_4arch9wavefront6targetE0EEEvS14_.num_agpr, 0
	.set _ZN7rocprim17ROCPRIM_400000_NS6detail17trampoline_kernelINS0_14default_configENS1_22reduce_config_selectorIN6thrust23THRUST_200600_302600_NS5tupleIblNS6_9null_typeES8_S8_S8_S8_S8_S8_S8_EEEEZNS1_11reduce_implILb1ES3_NS6_12zip_iteratorINS7_INS6_11hip_rocprim26transform_input_iterator_tIbNSD_35transform_pair_of_input_iterators_tIbNS6_6detail15normal_iteratorINS6_10device_ptrIKdEEEESL_NS6_8equal_toIdEEEENSG_9not_fun_tINSD_8identityEEEEENSD_19counting_iterator_tIlEES8_S8_S8_S8_S8_S8_S8_S8_EEEEPS9_S9_NSD_9__find_if7functorIS9_EEEE10hipError_tPvRmT1_T2_T3_mT4_P12ihipStream_tbEUlT_E1_NS1_11comp_targetILNS1_3genE4ELNS1_11target_archE910ELNS1_3gpuE8ELNS1_3repE0EEENS1_30default_config_static_selectorELNS0_4arch9wavefront6targetE0EEEvS14_.numbered_sgpr, 0
	.set _ZN7rocprim17ROCPRIM_400000_NS6detail17trampoline_kernelINS0_14default_configENS1_22reduce_config_selectorIN6thrust23THRUST_200600_302600_NS5tupleIblNS6_9null_typeES8_S8_S8_S8_S8_S8_S8_EEEEZNS1_11reduce_implILb1ES3_NS6_12zip_iteratorINS7_INS6_11hip_rocprim26transform_input_iterator_tIbNSD_35transform_pair_of_input_iterators_tIbNS6_6detail15normal_iteratorINS6_10device_ptrIKdEEEESL_NS6_8equal_toIdEEEENSG_9not_fun_tINSD_8identityEEEEENSD_19counting_iterator_tIlEES8_S8_S8_S8_S8_S8_S8_S8_EEEEPS9_S9_NSD_9__find_if7functorIS9_EEEE10hipError_tPvRmT1_T2_T3_mT4_P12ihipStream_tbEUlT_E1_NS1_11comp_targetILNS1_3genE4ELNS1_11target_archE910ELNS1_3gpuE8ELNS1_3repE0EEENS1_30default_config_static_selectorELNS0_4arch9wavefront6targetE0EEEvS14_.num_named_barrier, 0
	.set _ZN7rocprim17ROCPRIM_400000_NS6detail17trampoline_kernelINS0_14default_configENS1_22reduce_config_selectorIN6thrust23THRUST_200600_302600_NS5tupleIblNS6_9null_typeES8_S8_S8_S8_S8_S8_S8_EEEEZNS1_11reduce_implILb1ES3_NS6_12zip_iteratorINS7_INS6_11hip_rocprim26transform_input_iterator_tIbNSD_35transform_pair_of_input_iterators_tIbNS6_6detail15normal_iteratorINS6_10device_ptrIKdEEEESL_NS6_8equal_toIdEEEENSG_9not_fun_tINSD_8identityEEEEENSD_19counting_iterator_tIlEES8_S8_S8_S8_S8_S8_S8_S8_EEEEPS9_S9_NSD_9__find_if7functorIS9_EEEE10hipError_tPvRmT1_T2_T3_mT4_P12ihipStream_tbEUlT_E1_NS1_11comp_targetILNS1_3genE4ELNS1_11target_archE910ELNS1_3gpuE8ELNS1_3repE0EEENS1_30default_config_static_selectorELNS0_4arch9wavefront6targetE0EEEvS14_.private_seg_size, 0
	.set _ZN7rocprim17ROCPRIM_400000_NS6detail17trampoline_kernelINS0_14default_configENS1_22reduce_config_selectorIN6thrust23THRUST_200600_302600_NS5tupleIblNS6_9null_typeES8_S8_S8_S8_S8_S8_S8_EEEEZNS1_11reduce_implILb1ES3_NS6_12zip_iteratorINS7_INS6_11hip_rocprim26transform_input_iterator_tIbNSD_35transform_pair_of_input_iterators_tIbNS6_6detail15normal_iteratorINS6_10device_ptrIKdEEEESL_NS6_8equal_toIdEEEENSG_9not_fun_tINSD_8identityEEEEENSD_19counting_iterator_tIlEES8_S8_S8_S8_S8_S8_S8_S8_EEEEPS9_S9_NSD_9__find_if7functorIS9_EEEE10hipError_tPvRmT1_T2_T3_mT4_P12ihipStream_tbEUlT_E1_NS1_11comp_targetILNS1_3genE4ELNS1_11target_archE910ELNS1_3gpuE8ELNS1_3repE0EEENS1_30default_config_static_selectorELNS0_4arch9wavefront6targetE0EEEvS14_.uses_vcc, 0
	.set _ZN7rocprim17ROCPRIM_400000_NS6detail17trampoline_kernelINS0_14default_configENS1_22reduce_config_selectorIN6thrust23THRUST_200600_302600_NS5tupleIblNS6_9null_typeES8_S8_S8_S8_S8_S8_S8_EEEEZNS1_11reduce_implILb1ES3_NS6_12zip_iteratorINS7_INS6_11hip_rocprim26transform_input_iterator_tIbNSD_35transform_pair_of_input_iterators_tIbNS6_6detail15normal_iteratorINS6_10device_ptrIKdEEEESL_NS6_8equal_toIdEEEENSG_9not_fun_tINSD_8identityEEEEENSD_19counting_iterator_tIlEES8_S8_S8_S8_S8_S8_S8_S8_EEEEPS9_S9_NSD_9__find_if7functorIS9_EEEE10hipError_tPvRmT1_T2_T3_mT4_P12ihipStream_tbEUlT_E1_NS1_11comp_targetILNS1_3genE4ELNS1_11target_archE910ELNS1_3gpuE8ELNS1_3repE0EEENS1_30default_config_static_selectorELNS0_4arch9wavefront6targetE0EEEvS14_.uses_flat_scratch, 0
	.set _ZN7rocprim17ROCPRIM_400000_NS6detail17trampoline_kernelINS0_14default_configENS1_22reduce_config_selectorIN6thrust23THRUST_200600_302600_NS5tupleIblNS6_9null_typeES8_S8_S8_S8_S8_S8_S8_EEEEZNS1_11reduce_implILb1ES3_NS6_12zip_iteratorINS7_INS6_11hip_rocprim26transform_input_iterator_tIbNSD_35transform_pair_of_input_iterators_tIbNS6_6detail15normal_iteratorINS6_10device_ptrIKdEEEESL_NS6_8equal_toIdEEEENSG_9not_fun_tINSD_8identityEEEEENSD_19counting_iterator_tIlEES8_S8_S8_S8_S8_S8_S8_S8_EEEEPS9_S9_NSD_9__find_if7functorIS9_EEEE10hipError_tPvRmT1_T2_T3_mT4_P12ihipStream_tbEUlT_E1_NS1_11comp_targetILNS1_3genE4ELNS1_11target_archE910ELNS1_3gpuE8ELNS1_3repE0EEENS1_30default_config_static_selectorELNS0_4arch9wavefront6targetE0EEEvS14_.has_dyn_sized_stack, 0
	.set _ZN7rocprim17ROCPRIM_400000_NS6detail17trampoline_kernelINS0_14default_configENS1_22reduce_config_selectorIN6thrust23THRUST_200600_302600_NS5tupleIblNS6_9null_typeES8_S8_S8_S8_S8_S8_S8_EEEEZNS1_11reduce_implILb1ES3_NS6_12zip_iteratorINS7_INS6_11hip_rocprim26transform_input_iterator_tIbNSD_35transform_pair_of_input_iterators_tIbNS6_6detail15normal_iteratorINS6_10device_ptrIKdEEEESL_NS6_8equal_toIdEEEENSG_9not_fun_tINSD_8identityEEEEENSD_19counting_iterator_tIlEES8_S8_S8_S8_S8_S8_S8_S8_EEEEPS9_S9_NSD_9__find_if7functorIS9_EEEE10hipError_tPvRmT1_T2_T3_mT4_P12ihipStream_tbEUlT_E1_NS1_11comp_targetILNS1_3genE4ELNS1_11target_archE910ELNS1_3gpuE8ELNS1_3repE0EEENS1_30default_config_static_selectorELNS0_4arch9wavefront6targetE0EEEvS14_.has_recursion, 0
	.set _ZN7rocprim17ROCPRIM_400000_NS6detail17trampoline_kernelINS0_14default_configENS1_22reduce_config_selectorIN6thrust23THRUST_200600_302600_NS5tupleIblNS6_9null_typeES8_S8_S8_S8_S8_S8_S8_EEEEZNS1_11reduce_implILb1ES3_NS6_12zip_iteratorINS7_INS6_11hip_rocprim26transform_input_iterator_tIbNSD_35transform_pair_of_input_iterators_tIbNS6_6detail15normal_iteratorINS6_10device_ptrIKdEEEESL_NS6_8equal_toIdEEEENSG_9not_fun_tINSD_8identityEEEEENSD_19counting_iterator_tIlEES8_S8_S8_S8_S8_S8_S8_S8_EEEEPS9_S9_NSD_9__find_if7functorIS9_EEEE10hipError_tPvRmT1_T2_T3_mT4_P12ihipStream_tbEUlT_E1_NS1_11comp_targetILNS1_3genE4ELNS1_11target_archE910ELNS1_3gpuE8ELNS1_3repE0EEENS1_30default_config_static_selectorELNS0_4arch9wavefront6targetE0EEEvS14_.has_indirect_call, 0
	.section	.AMDGPU.csdata,"",@progbits
; Kernel info:
; codeLenInByte = 0
; TotalNumSgprs: 0
; NumVgprs: 0
; ScratchSize: 0
; MemoryBound: 0
; FloatMode: 240
; IeeeMode: 1
; LDSByteSize: 0 bytes/workgroup (compile time only)
; SGPRBlocks: 0
; VGPRBlocks: 0
; NumSGPRsForWavesPerEU: 1
; NumVGPRsForWavesPerEU: 1
; NamedBarCnt: 0
; Occupancy: 16
; WaveLimiterHint : 0
; COMPUTE_PGM_RSRC2:SCRATCH_EN: 0
; COMPUTE_PGM_RSRC2:USER_SGPR: 2
; COMPUTE_PGM_RSRC2:TRAP_HANDLER: 0
; COMPUTE_PGM_RSRC2:TGID_X_EN: 1
; COMPUTE_PGM_RSRC2:TGID_Y_EN: 0
; COMPUTE_PGM_RSRC2:TGID_Z_EN: 0
; COMPUTE_PGM_RSRC2:TIDIG_COMP_CNT: 0
	.section	.text._ZN7rocprim17ROCPRIM_400000_NS6detail17trampoline_kernelINS0_14default_configENS1_22reduce_config_selectorIN6thrust23THRUST_200600_302600_NS5tupleIblNS6_9null_typeES8_S8_S8_S8_S8_S8_S8_EEEEZNS1_11reduce_implILb1ES3_NS6_12zip_iteratorINS7_INS6_11hip_rocprim26transform_input_iterator_tIbNSD_35transform_pair_of_input_iterators_tIbNS6_6detail15normal_iteratorINS6_10device_ptrIKdEEEESL_NS6_8equal_toIdEEEENSG_9not_fun_tINSD_8identityEEEEENSD_19counting_iterator_tIlEES8_S8_S8_S8_S8_S8_S8_S8_EEEEPS9_S9_NSD_9__find_if7functorIS9_EEEE10hipError_tPvRmT1_T2_T3_mT4_P12ihipStream_tbEUlT_E1_NS1_11comp_targetILNS1_3genE3ELNS1_11target_archE908ELNS1_3gpuE7ELNS1_3repE0EEENS1_30default_config_static_selectorELNS0_4arch9wavefront6targetE0EEEvS14_,"axG",@progbits,_ZN7rocprim17ROCPRIM_400000_NS6detail17trampoline_kernelINS0_14default_configENS1_22reduce_config_selectorIN6thrust23THRUST_200600_302600_NS5tupleIblNS6_9null_typeES8_S8_S8_S8_S8_S8_S8_EEEEZNS1_11reduce_implILb1ES3_NS6_12zip_iteratorINS7_INS6_11hip_rocprim26transform_input_iterator_tIbNSD_35transform_pair_of_input_iterators_tIbNS6_6detail15normal_iteratorINS6_10device_ptrIKdEEEESL_NS6_8equal_toIdEEEENSG_9not_fun_tINSD_8identityEEEEENSD_19counting_iterator_tIlEES8_S8_S8_S8_S8_S8_S8_S8_EEEEPS9_S9_NSD_9__find_if7functorIS9_EEEE10hipError_tPvRmT1_T2_T3_mT4_P12ihipStream_tbEUlT_E1_NS1_11comp_targetILNS1_3genE3ELNS1_11target_archE908ELNS1_3gpuE7ELNS1_3repE0EEENS1_30default_config_static_selectorELNS0_4arch9wavefront6targetE0EEEvS14_,comdat
	.protected	_ZN7rocprim17ROCPRIM_400000_NS6detail17trampoline_kernelINS0_14default_configENS1_22reduce_config_selectorIN6thrust23THRUST_200600_302600_NS5tupleIblNS6_9null_typeES8_S8_S8_S8_S8_S8_S8_EEEEZNS1_11reduce_implILb1ES3_NS6_12zip_iteratorINS7_INS6_11hip_rocprim26transform_input_iterator_tIbNSD_35transform_pair_of_input_iterators_tIbNS6_6detail15normal_iteratorINS6_10device_ptrIKdEEEESL_NS6_8equal_toIdEEEENSG_9not_fun_tINSD_8identityEEEEENSD_19counting_iterator_tIlEES8_S8_S8_S8_S8_S8_S8_S8_EEEEPS9_S9_NSD_9__find_if7functorIS9_EEEE10hipError_tPvRmT1_T2_T3_mT4_P12ihipStream_tbEUlT_E1_NS1_11comp_targetILNS1_3genE3ELNS1_11target_archE908ELNS1_3gpuE7ELNS1_3repE0EEENS1_30default_config_static_selectorELNS0_4arch9wavefront6targetE0EEEvS14_ ; -- Begin function _ZN7rocprim17ROCPRIM_400000_NS6detail17trampoline_kernelINS0_14default_configENS1_22reduce_config_selectorIN6thrust23THRUST_200600_302600_NS5tupleIblNS6_9null_typeES8_S8_S8_S8_S8_S8_S8_EEEEZNS1_11reduce_implILb1ES3_NS6_12zip_iteratorINS7_INS6_11hip_rocprim26transform_input_iterator_tIbNSD_35transform_pair_of_input_iterators_tIbNS6_6detail15normal_iteratorINS6_10device_ptrIKdEEEESL_NS6_8equal_toIdEEEENSG_9not_fun_tINSD_8identityEEEEENSD_19counting_iterator_tIlEES8_S8_S8_S8_S8_S8_S8_S8_EEEEPS9_S9_NSD_9__find_if7functorIS9_EEEE10hipError_tPvRmT1_T2_T3_mT4_P12ihipStream_tbEUlT_E1_NS1_11comp_targetILNS1_3genE3ELNS1_11target_archE908ELNS1_3gpuE7ELNS1_3repE0EEENS1_30default_config_static_selectorELNS0_4arch9wavefront6targetE0EEEvS14_
	.globl	_ZN7rocprim17ROCPRIM_400000_NS6detail17trampoline_kernelINS0_14default_configENS1_22reduce_config_selectorIN6thrust23THRUST_200600_302600_NS5tupleIblNS6_9null_typeES8_S8_S8_S8_S8_S8_S8_EEEEZNS1_11reduce_implILb1ES3_NS6_12zip_iteratorINS7_INS6_11hip_rocprim26transform_input_iterator_tIbNSD_35transform_pair_of_input_iterators_tIbNS6_6detail15normal_iteratorINS6_10device_ptrIKdEEEESL_NS6_8equal_toIdEEEENSG_9not_fun_tINSD_8identityEEEEENSD_19counting_iterator_tIlEES8_S8_S8_S8_S8_S8_S8_S8_EEEEPS9_S9_NSD_9__find_if7functorIS9_EEEE10hipError_tPvRmT1_T2_T3_mT4_P12ihipStream_tbEUlT_E1_NS1_11comp_targetILNS1_3genE3ELNS1_11target_archE908ELNS1_3gpuE7ELNS1_3repE0EEENS1_30default_config_static_selectorELNS0_4arch9wavefront6targetE0EEEvS14_
	.p2align	8
	.type	_ZN7rocprim17ROCPRIM_400000_NS6detail17trampoline_kernelINS0_14default_configENS1_22reduce_config_selectorIN6thrust23THRUST_200600_302600_NS5tupleIblNS6_9null_typeES8_S8_S8_S8_S8_S8_S8_EEEEZNS1_11reduce_implILb1ES3_NS6_12zip_iteratorINS7_INS6_11hip_rocprim26transform_input_iterator_tIbNSD_35transform_pair_of_input_iterators_tIbNS6_6detail15normal_iteratorINS6_10device_ptrIKdEEEESL_NS6_8equal_toIdEEEENSG_9not_fun_tINSD_8identityEEEEENSD_19counting_iterator_tIlEES8_S8_S8_S8_S8_S8_S8_S8_EEEEPS9_S9_NSD_9__find_if7functorIS9_EEEE10hipError_tPvRmT1_T2_T3_mT4_P12ihipStream_tbEUlT_E1_NS1_11comp_targetILNS1_3genE3ELNS1_11target_archE908ELNS1_3gpuE7ELNS1_3repE0EEENS1_30default_config_static_selectorELNS0_4arch9wavefront6targetE0EEEvS14_,@function
_ZN7rocprim17ROCPRIM_400000_NS6detail17trampoline_kernelINS0_14default_configENS1_22reduce_config_selectorIN6thrust23THRUST_200600_302600_NS5tupleIblNS6_9null_typeES8_S8_S8_S8_S8_S8_S8_EEEEZNS1_11reduce_implILb1ES3_NS6_12zip_iteratorINS7_INS6_11hip_rocprim26transform_input_iterator_tIbNSD_35transform_pair_of_input_iterators_tIbNS6_6detail15normal_iteratorINS6_10device_ptrIKdEEEESL_NS6_8equal_toIdEEEENSG_9not_fun_tINSD_8identityEEEEENSD_19counting_iterator_tIlEES8_S8_S8_S8_S8_S8_S8_S8_EEEEPS9_S9_NSD_9__find_if7functorIS9_EEEE10hipError_tPvRmT1_T2_T3_mT4_P12ihipStream_tbEUlT_E1_NS1_11comp_targetILNS1_3genE3ELNS1_11target_archE908ELNS1_3gpuE7ELNS1_3repE0EEENS1_30default_config_static_selectorELNS0_4arch9wavefront6targetE0EEEvS14_: ; @_ZN7rocprim17ROCPRIM_400000_NS6detail17trampoline_kernelINS0_14default_configENS1_22reduce_config_selectorIN6thrust23THRUST_200600_302600_NS5tupleIblNS6_9null_typeES8_S8_S8_S8_S8_S8_S8_EEEEZNS1_11reduce_implILb1ES3_NS6_12zip_iteratorINS7_INS6_11hip_rocprim26transform_input_iterator_tIbNSD_35transform_pair_of_input_iterators_tIbNS6_6detail15normal_iteratorINS6_10device_ptrIKdEEEESL_NS6_8equal_toIdEEEENSG_9not_fun_tINSD_8identityEEEEENSD_19counting_iterator_tIlEES8_S8_S8_S8_S8_S8_S8_S8_EEEEPS9_S9_NSD_9__find_if7functorIS9_EEEE10hipError_tPvRmT1_T2_T3_mT4_P12ihipStream_tbEUlT_E1_NS1_11comp_targetILNS1_3genE3ELNS1_11target_archE908ELNS1_3gpuE7ELNS1_3repE0EEENS1_30default_config_static_selectorELNS0_4arch9wavefront6targetE0EEEvS14_
; %bb.0:
	.section	.rodata,"a",@progbits
	.p2align	6, 0x0
	.amdhsa_kernel _ZN7rocprim17ROCPRIM_400000_NS6detail17trampoline_kernelINS0_14default_configENS1_22reduce_config_selectorIN6thrust23THRUST_200600_302600_NS5tupleIblNS6_9null_typeES8_S8_S8_S8_S8_S8_S8_EEEEZNS1_11reduce_implILb1ES3_NS6_12zip_iteratorINS7_INS6_11hip_rocprim26transform_input_iterator_tIbNSD_35transform_pair_of_input_iterators_tIbNS6_6detail15normal_iteratorINS6_10device_ptrIKdEEEESL_NS6_8equal_toIdEEEENSG_9not_fun_tINSD_8identityEEEEENSD_19counting_iterator_tIlEES8_S8_S8_S8_S8_S8_S8_S8_EEEEPS9_S9_NSD_9__find_if7functorIS9_EEEE10hipError_tPvRmT1_T2_T3_mT4_P12ihipStream_tbEUlT_E1_NS1_11comp_targetILNS1_3genE3ELNS1_11target_archE908ELNS1_3gpuE7ELNS1_3repE0EEENS1_30default_config_static_selectorELNS0_4arch9wavefront6targetE0EEEvS14_
		.amdhsa_group_segment_fixed_size 0
		.amdhsa_private_segment_fixed_size 0
		.amdhsa_kernarg_size 88
		.amdhsa_user_sgpr_count 2
		.amdhsa_user_sgpr_dispatch_ptr 0
		.amdhsa_user_sgpr_queue_ptr 0
		.amdhsa_user_sgpr_kernarg_segment_ptr 1
		.amdhsa_user_sgpr_dispatch_id 0
		.amdhsa_user_sgpr_kernarg_preload_length 0
		.amdhsa_user_sgpr_kernarg_preload_offset 0
		.amdhsa_user_sgpr_private_segment_size 0
		.amdhsa_wavefront_size32 1
		.amdhsa_uses_dynamic_stack 0
		.amdhsa_enable_private_segment 0
		.amdhsa_system_sgpr_workgroup_id_x 1
		.amdhsa_system_sgpr_workgroup_id_y 0
		.amdhsa_system_sgpr_workgroup_id_z 0
		.amdhsa_system_sgpr_workgroup_info 0
		.amdhsa_system_vgpr_workitem_id 0
		.amdhsa_next_free_vgpr 1
		.amdhsa_next_free_sgpr 1
		.amdhsa_named_barrier_count 0
		.amdhsa_reserve_vcc 0
		.amdhsa_float_round_mode_32 0
		.amdhsa_float_round_mode_16_64 0
		.amdhsa_float_denorm_mode_32 3
		.amdhsa_float_denorm_mode_16_64 3
		.amdhsa_fp16_overflow 0
		.amdhsa_memory_ordered 1
		.amdhsa_forward_progress 1
		.amdhsa_inst_pref_size 0
		.amdhsa_round_robin_scheduling 0
		.amdhsa_exception_fp_ieee_invalid_op 0
		.amdhsa_exception_fp_denorm_src 0
		.amdhsa_exception_fp_ieee_div_zero 0
		.amdhsa_exception_fp_ieee_overflow 0
		.amdhsa_exception_fp_ieee_underflow 0
		.amdhsa_exception_fp_ieee_inexact 0
		.amdhsa_exception_int_div_zero 0
	.end_amdhsa_kernel
	.section	.text._ZN7rocprim17ROCPRIM_400000_NS6detail17trampoline_kernelINS0_14default_configENS1_22reduce_config_selectorIN6thrust23THRUST_200600_302600_NS5tupleIblNS6_9null_typeES8_S8_S8_S8_S8_S8_S8_EEEEZNS1_11reduce_implILb1ES3_NS6_12zip_iteratorINS7_INS6_11hip_rocprim26transform_input_iterator_tIbNSD_35transform_pair_of_input_iterators_tIbNS6_6detail15normal_iteratorINS6_10device_ptrIKdEEEESL_NS6_8equal_toIdEEEENSG_9not_fun_tINSD_8identityEEEEENSD_19counting_iterator_tIlEES8_S8_S8_S8_S8_S8_S8_S8_EEEEPS9_S9_NSD_9__find_if7functorIS9_EEEE10hipError_tPvRmT1_T2_T3_mT4_P12ihipStream_tbEUlT_E1_NS1_11comp_targetILNS1_3genE3ELNS1_11target_archE908ELNS1_3gpuE7ELNS1_3repE0EEENS1_30default_config_static_selectorELNS0_4arch9wavefront6targetE0EEEvS14_,"axG",@progbits,_ZN7rocprim17ROCPRIM_400000_NS6detail17trampoline_kernelINS0_14default_configENS1_22reduce_config_selectorIN6thrust23THRUST_200600_302600_NS5tupleIblNS6_9null_typeES8_S8_S8_S8_S8_S8_S8_EEEEZNS1_11reduce_implILb1ES3_NS6_12zip_iteratorINS7_INS6_11hip_rocprim26transform_input_iterator_tIbNSD_35transform_pair_of_input_iterators_tIbNS6_6detail15normal_iteratorINS6_10device_ptrIKdEEEESL_NS6_8equal_toIdEEEENSG_9not_fun_tINSD_8identityEEEEENSD_19counting_iterator_tIlEES8_S8_S8_S8_S8_S8_S8_S8_EEEEPS9_S9_NSD_9__find_if7functorIS9_EEEE10hipError_tPvRmT1_T2_T3_mT4_P12ihipStream_tbEUlT_E1_NS1_11comp_targetILNS1_3genE3ELNS1_11target_archE908ELNS1_3gpuE7ELNS1_3repE0EEENS1_30default_config_static_selectorELNS0_4arch9wavefront6targetE0EEEvS14_,comdat
.Lfunc_end49:
	.size	_ZN7rocprim17ROCPRIM_400000_NS6detail17trampoline_kernelINS0_14default_configENS1_22reduce_config_selectorIN6thrust23THRUST_200600_302600_NS5tupleIblNS6_9null_typeES8_S8_S8_S8_S8_S8_S8_EEEEZNS1_11reduce_implILb1ES3_NS6_12zip_iteratorINS7_INS6_11hip_rocprim26transform_input_iterator_tIbNSD_35transform_pair_of_input_iterators_tIbNS6_6detail15normal_iteratorINS6_10device_ptrIKdEEEESL_NS6_8equal_toIdEEEENSG_9not_fun_tINSD_8identityEEEEENSD_19counting_iterator_tIlEES8_S8_S8_S8_S8_S8_S8_S8_EEEEPS9_S9_NSD_9__find_if7functorIS9_EEEE10hipError_tPvRmT1_T2_T3_mT4_P12ihipStream_tbEUlT_E1_NS1_11comp_targetILNS1_3genE3ELNS1_11target_archE908ELNS1_3gpuE7ELNS1_3repE0EEENS1_30default_config_static_selectorELNS0_4arch9wavefront6targetE0EEEvS14_, .Lfunc_end49-_ZN7rocprim17ROCPRIM_400000_NS6detail17trampoline_kernelINS0_14default_configENS1_22reduce_config_selectorIN6thrust23THRUST_200600_302600_NS5tupleIblNS6_9null_typeES8_S8_S8_S8_S8_S8_S8_EEEEZNS1_11reduce_implILb1ES3_NS6_12zip_iteratorINS7_INS6_11hip_rocprim26transform_input_iterator_tIbNSD_35transform_pair_of_input_iterators_tIbNS6_6detail15normal_iteratorINS6_10device_ptrIKdEEEESL_NS6_8equal_toIdEEEENSG_9not_fun_tINSD_8identityEEEEENSD_19counting_iterator_tIlEES8_S8_S8_S8_S8_S8_S8_S8_EEEEPS9_S9_NSD_9__find_if7functorIS9_EEEE10hipError_tPvRmT1_T2_T3_mT4_P12ihipStream_tbEUlT_E1_NS1_11comp_targetILNS1_3genE3ELNS1_11target_archE908ELNS1_3gpuE7ELNS1_3repE0EEENS1_30default_config_static_selectorELNS0_4arch9wavefront6targetE0EEEvS14_
                                        ; -- End function
	.set _ZN7rocprim17ROCPRIM_400000_NS6detail17trampoline_kernelINS0_14default_configENS1_22reduce_config_selectorIN6thrust23THRUST_200600_302600_NS5tupleIblNS6_9null_typeES8_S8_S8_S8_S8_S8_S8_EEEEZNS1_11reduce_implILb1ES3_NS6_12zip_iteratorINS7_INS6_11hip_rocprim26transform_input_iterator_tIbNSD_35transform_pair_of_input_iterators_tIbNS6_6detail15normal_iteratorINS6_10device_ptrIKdEEEESL_NS6_8equal_toIdEEEENSG_9not_fun_tINSD_8identityEEEEENSD_19counting_iterator_tIlEES8_S8_S8_S8_S8_S8_S8_S8_EEEEPS9_S9_NSD_9__find_if7functorIS9_EEEE10hipError_tPvRmT1_T2_T3_mT4_P12ihipStream_tbEUlT_E1_NS1_11comp_targetILNS1_3genE3ELNS1_11target_archE908ELNS1_3gpuE7ELNS1_3repE0EEENS1_30default_config_static_selectorELNS0_4arch9wavefront6targetE0EEEvS14_.num_vgpr, 0
	.set _ZN7rocprim17ROCPRIM_400000_NS6detail17trampoline_kernelINS0_14default_configENS1_22reduce_config_selectorIN6thrust23THRUST_200600_302600_NS5tupleIblNS6_9null_typeES8_S8_S8_S8_S8_S8_S8_EEEEZNS1_11reduce_implILb1ES3_NS6_12zip_iteratorINS7_INS6_11hip_rocprim26transform_input_iterator_tIbNSD_35transform_pair_of_input_iterators_tIbNS6_6detail15normal_iteratorINS6_10device_ptrIKdEEEESL_NS6_8equal_toIdEEEENSG_9not_fun_tINSD_8identityEEEEENSD_19counting_iterator_tIlEES8_S8_S8_S8_S8_S8_S8_S8_EEEEPS9_S9_NSD_9__find_if7functorIS9_EEEE10hipError_tPvRmT1_T2_T3_mT4_P12ihipStream_tbEUlT_E1_NS1_11comp_targetILNS1_3genE3ELNS1_11target_archE908ELNS1_3gpuE7ELNS1_3repE0EEENS1_30default_config_static_selectorELNS0_4arch9wavefront6targetE0EEEvS14_.num_agpr, 0
	.set _ZN7rocprim17ROCPRIM_400000_NS6detail17trampoline_kernelINS0_14default_configENS1_22reduce_config_selectorIN6thrust23THRUST_200600_302600_NS5tupleIblNS6_9null_typeES8_S8_S8_S8_S8_S8_S8_EEEEZNS1_11reduce_implILb1ES3_NS6_12zip_iteratorINS7_INS6_11hip_rocprim26transform_input_iterator_tIbNSD_35transform_pair_of_input_iterators_tIbNS6_6detail15normal_iteratorINS6_10device_ptrIKdEEEESL_NS6_8equal_toIdEEEENSG_9not_fun_tINSD_8identityEEEEENSD_19counting_iterator_tIlEES8_S8_S8_S8_S8_S8_S8_S8_EEEEPS9_S9_NSD_9__find_if7functorIS9_EEEE10hipError_tPvRmT1_T2_T3_mT4_P12ihipStream_tbEUlT_E1_NS1_11comp_targetILNS1_3genE3ELNS1_11target_archE908ELNS1_3gpuE7ELNS1_3repE0EEENS1_30default_config_static_selectorELNS0_4arch9wavefront6targetE0EEEvS14_.numbered_sgpr, 0
	.set _ZN7rocprim17ROCPRIM_400000_NS6detail17trampoline_kernelINS0_14default_configENS1_22reduce_config_selectorIN6thrust23THRUST_200600_302600_NS5tupleIblNS6_9null_typeES8_S8_S8_S8_S8_S8_S8_EEEEZNS1_11reduce_implILb1ES3_NS6_12zip_iteratorINS7_INS6_11hip_rocprim26transform_input_iterator_tIbNSD_35transform_pair_of_input_iterators_tIbNS6_6detail15normal_iteratorINS6_10device_ptrIKdEEEESL_NS6_8equal_toIdEEEENSG_9not_fun_tINSD_8identityEEEEENSD_19counting_iterator_tIlEES8_S8_S8_S8_S8_S8_S8_S8_EEEEPS9_S9_NSD_9__find_if7functorIS9_EEEE10hipError_tPvRmT1_T2_T3_mT4_P12ihipStream_tbEUlT_E1_NS1_11comp_targetILNS1_3genE3ELNS1_11target_archE908ELNS1_3gpuE7ELNS1_3repE0EEENS1_30default_config_static_selectorELNS0_4arch9wavefront6targetE0EEEvS14_.num_named_barrier, 0
	.set _ZN7rocprim17ROCPRIM_400000_NS6detail17trampoline_kernelINS0_14default_configENS1_22reduce_config_selectorIN6thrust23THRUST_200600_302600_NS5tupleIblNS6_9null_typeES8_S8_S8_S8_S8_S8_S8_EEEEZNS1_11reduce_implILb1ES3_NS6_12zip_iteratorINS7_INS6_11hip_rocprim26transform_input_iterator_tIbNSD_35transform_pair_of_input_iterators_tIbNS6_6detail15normal_iteratorINS6_10device_ptrIKdEEEESL_NS6_8equal_toIdEEEENSG_9not_fun_tINSD_8identityEEEEENSD_19counting_iterator_tIlEES8_S8_S8_S8_S8_S8_S8_S8_EEEEPS9_S9_NSD_9__find_if7functorIS9_EEEE10hipError_tPvRmT1_T2_T3_mT4_P12ihipStream_tbEUlT_E1_NS1_11comp_targetILNS1_3genE3ELNS1_11target_archE908ELNS1_3gpuE7ELNS1_3repE0EEENS1_30default_config_static_selectorELNS0_4arch9wavefront6targetE0EEEvS14_.private_seg_size, 0
	.set _ZN7rocprim17ROCPRIM_400000_NS6detail17trampoline_kernelINS0_14default_configENS1_22reduce_config_selectorIN6thrust23THRUST_200600_302600_NS5tupleIblNS6_9null_typeES8_S8_S8_S8_S8_S8_S8_EEEEZNS1_11reduce_implILb1ES3_NS6_12zip_iteratorINS7_INS6_11hip_rocprim26transform_input_iterator_tIbNSD_35transform_pair_of_input_iterators_tIbNS6_6detail15normal_iteratorINS6_10device_ptrIKdEEEESL_NS6_8equal_toIdEEEENSG_9not_fun_tINSD_8identityEEEEENSD_19counting_iterator_tIlEES8_S8_S8_S8_S8_S8_S8_S8_EEEEPS9_S9_NSD_9__find_if7functorIS9_EEEE10hipError_tPvRmT1_T2_T3_mT4_P12ihipStream_tbEUlT_E1_NS1_11comp_targetILNS1_3genE3ELNS1_11target_archE908ELNS1_3gpuE7ELNS1_3repE0EEENS1_30default_config_static_selectorELNS0_4arch9wavefront6targetE0EEEvS14_.uses_vcc, 0
	.set _ZN7rocprim17ROCPRIM_400000_NS6detail17trampoline_kernelINS0_14default_configENS1_22reduce_config_selectorIN6thrust23THRUST_200600_302600_NS5tupleIblNS6_9null_typeES8_S8_S8_S8_S8_S8_S8_EEEEZNS1_11reduce_implILb1ES3_NS6_12zip_iteratorINS7_INS6_11hip_rocprim26transform_input_iterator_tIbNSD_35transform_pair_of_input_iterators_tIbNS6_6detail15normal_iteratorINS6_10device_ptrIKdEEEESL_NS6_8equal_toIdEEEENSG_9not_fun_tINSD_8identityEEEEENSD_19counting_iterator_tIlEES8_S8_S8_S8_S8_S8_S8_S8_EEEEPS9_S9_NSD_9__find_if7functorIS9_EEEE10hipError_tPvRmT1_T2_T3_mT4_P12ihipStream_tbEUlT_E1_NS1_11comp_targetILNS1_3genE3ELNS1_11target_archE908ELNS1_3gpuE7ELNS1_3repE0EEENS1_30default_config_static_selectorELNS0_4arch9wavefront6targetE0EEEvS14_.uses_flat_scratch, 0
	.set _ZN7rocprim17ROCPRIM_400000_NS6detail17trampoline_kernelINS0_14default_configENS1_22reduce_config_selectorIN6thrust23THRUST_200600_302600_NS5tupleIblNS6_9null_typeES8_S8_S8_S8_S8_S8_S8_EEEEZNS1_11reduce_implILb1ES3_NS6_12zip_iteratorINS7_INS6_11hip_rocprim26transform_input_iterator_tIbNSD_35transform_pair_of_input_iterators_tIbNS6_6detail15normal_iteratorINS6_10device_ptrIKdEEEESL_NS6_8equal_toIdEEEENSG_9not_fun_tINSD_8identityEEEEENSD_19counting_iterator_tIlEES8_S8_S8_S8_S8_S8_S8_S8_EEEEPS9_S9_NSD_9__find_if7functorIS9_EEEE10hipError_tPvRmT1_T2_T3_mT4_P12ihipStream_tbEUlT_E1_NS1_11comp_targetILNS1_3genE3ELNS1_11target_archE908ELNS1_3gpuE7ELNS1_3repE0EEENS1_30default_config_static_selectorELNS0_4arch9wavefront6targetE0EEEvS14_.has_dyn_sized_stack, 0
	.set _ZN7rocprim17ROCPRIM_400000_NS6detail17trampoline_kernelINS0_14default_configENS1_22reduce_config_selectorIN6thrust23THRUST_200600_302600_NS5tupleIblNS6_9null_typeES8_S8_S8_S8_S8_S8_S8_EEEEZNS1_11reduce_implILb1ES3_NS6_12zip_iteratorINS7_INS6_11hip_rocprim26transform_input_iterator_tIbNSD_35transform_pair_of_input_iterators_tIbNS6_6detail15normal_iteratorINS6_10device_ptrIKdEEEESL_NS6_8equal_toIdEEEENSG_9not_fun_tINSD_8identityEEEEENSD_19counting_iterator_tIlEES8_S8_S8_S8_S8_S8_S8_S8_EEEEPS9_S9_NSD_9__find_if7functorIS9_EEEE10hipError_tPvRmT1_T2_T3_mT4_P12ihipStream_tbEUlT_E1_NS1_11comp_targetILNS1_3genE3ELNS1_11target_archE908ELNS1_3gpuE7ELNS1_3repE0EEENS1_30default_config_static_selectorELNS0_4arch9wavefront6targetE0EEEvS14_.has_recursion, 0
	.set _ZN7rocprim17ROCPRIM_400000_NS6detail17trampoline_kernelINS0_14default_configENS1_22reduce_config_selectorIN6thrust23THRUST_200600_302600_NS5tupleIblNS6_9null_typeES8_S8_S8_S8_S8_S8_S8_EEEEZNS1_11reduce_implILb1ES3_NS6_12zip_iteratorINS7_INS6_11hip_rocprim26transform_input_iterator_tIbNSD_35transform_pair_of_input_iterators_tIbNS6_6detail15normal_iteratorINS6_10device_ptrIKdEEEESL_NS6_8equal_toIdEEEENSG_9not_fun_tINSD_8identityEEEEENSD_19counting_iterator_tIlEES8_S8_S8_S8_S8_S8_S8_S8_EEEEPS9_S9_NSD_9__find_if7functorIS9_EEEE10hipError_tPvRmT1_T2_T3_mT4_P12ihipStream_tbEUlT_E1_NS1_11comp_targetILNS1_3genE3ELNS1_11target_archE908ELNS1_3gpuE7ELNS1_3repE0EEENS1_30default_config_static_selectorELNS0_4arch9wavefront6targetE0EEEvS14_.has_indirect_call, 0
	.section	.AMDGPU.csdata,"",@progbits
; Kernel info:
; codeLenInByte = 0
; TotalNumSgprs: 0
; NumVgprs: 0
; ScratchSize: 0
; MemoryBound: 0
; FloatMode: 240
; IeeeMode: 1
; LDSByteSize: 0 bytes/workgroup (compile time only)
; SGPRBlocks: 0
; VGPRBlocks: 0
; NumSGPRsForWavesPerEU: 1
; NumVGPRsForWavesPerEU: 1
; NamedBarCnt: 0
; Occupancy: 16
; WaveLimiterHint : 0
; COMPUTE_PGM_RSRC2:SCRATCH_EN: 0
; COMPUTE_PGM_RSRC2:USER_SGPR: 2
; COMPUTE_PGM_RSRC2:TRAP_HANDLER: 0
; COMPUTE_PGM_RSRC2:TGID_X_EN: 1
; COMPUTE_PGM_RSRC2:TGID_Y_EN: 0
; COMPUTE_PGM_RSRC2:TGID_Z_EN: 0
; COMPUTE_PGM_RSRC2:TIDIG_COMP_CNT: 0
	.section	.text._ZN7rocprim17ROCPRIM_400000_NS6detail17trampoline_kernelINS0_14default_configENS1_22reduce_config_selectorIN6thrust23THRUST_200600_302600_NS5tupleIblNS6_9null_typeES8_S8_S8_S8_S8_S8_S8_EEEEZNS1_11reduce_implILb1ES3_NS6_12zip_iteratorINS7_INS6_11hip_rocprim26transform_input_iterator_tIbNSD_35transform_pair_of_input_iterators_tIbNS6_6detail15normal_iteratorINS6_10device_ptrIKdEEEESL_NS6_8equal_toIdEEEENSG_9not_fun_tINSD_8identityEEEEENSD_19counting_iterator_tIlEES8_S8_S8_S8_S8_S8_S8_S8_EEEEPS9_S9_NSD_9__find_if7functorIS9_EEEE10hipError_tPvRmT1_T2_T3_mT4_P12ihipStream_tbEUlT_E1_NS1_11comp_targetILNS1_3genE2ELNS1_11target_archE906ELNS1_3gpuE6ELNS1_3repE0EEENS1_30default_config_static_selectorELNS0_4arch9wavefront6targetE0EEEvS14_,"axG",@progbits,_ZN7rocprim17ROCPRIM_400000_NS6detail17trampoline_kernelINS0_14default_configENS1_22reduce_config_selectorIN6thrust23THRUST_200600_302600_NS5tupleIblNS6_9null_typeES8_S8_S8_S8_S8_S8_S8_EEEEZNS1_11reduce_implILb1ES3_NS6_12zip_iteratorINS7_INS6_11hip_rocprim26transform_input_iterator_tIbNSD_35transform_pair_of_input_iterators_tIbNS6_6detail15normal_iteratorINS6_10device_ptrIKdEEEESL_NS6_8equal_toIdEEEENSG_9not_fun_tINSD_8identityEEEEENSD_19counting_iterator_tIlEES8_S8_S8_S8_S8_S8_S8_S8_EEEEPS9_S9_NSD_9__find_if7functorIS9_EEEE10hipError_tPvRmT1_T2_T3_mT4_P12ihipStream_tbEUlT_E1_NS1_11comp_targetILNS1_3genE2ELNS1_11target_archE906ELNS1_3gpuE6ELNS1_3repE0EEENS1_30default_config_static_selectorELNS0_4arch9wavefront6targetE0EEEvS14_,comdat
	.protected	_ZN7rocprim17ROCPRIM_400000_NS6detail17trampoline_kernelINS0_14default_configENS1_22reduce_config_selectorIN6thrust23THRUST_200600_302600_NS5tupleIblNS6_9null_typeES8_S8_S8_S8_S8_S8_S8_EEEEZNS1_11reduce_implILb1ES3_NS6_12zip_iteratorINS7_INS6_11hip_rocprim26transform_input_iterator_tIbNSD_35transform_pair_of_input_iterators_tIbNS6_6detail15normal_iteratorINS6_10device_ptrIKdEEEESL_NS6_8equal_toIdEEEENSG_9not_fun_tINSD_8identityEEEEENSD_19counting_iterator_tIlEES8_S8_S8_S8_S8_S8_S8_S8_EEEEPS9_S9_NSD_9__find_if7functorIS9_EEEE10hipError_tPvRmT1_T2_T3_mT4_P12ihipStream_tbEUlT_E1_NS1_11comp_targetILNS1_3genE2ELNS1_11target_archE906ELNS1_3gpuE6ELNS1_3repE0EEENS1_30default_config_static_selectorELNS0_4arch9wavefront6targetE0EEEvS14_ ; -- Begin function _ZN7rocprim17ROCPRIM_400000_NS6detail17trampoline_kernelINS0_14default_configENS1_22reduce_config_selectorIN6thrust23THRUST_200600_302600_NS5tupleIblNS6_9null_typeES8_S8_S8_S8_S8_S8_S8_EEEEZNS1_11reduce_implILb1ES3_NS6_12zip_iteratorINS7_INS6_11hip_rocprim26transform_input_iterator_tIbNSD_35transform_pair_of_input_iterators_tIbNS6_6detail15normal_iteratorINS6_10device_ptrIKdEEEESL_NS6_8equal_toIdEEEENSG_9not_fun_tINSD_8identityEEEEENSD_19counting_iterator_tIlEES8_S8_S8_S8_S8_S8_S8_S8_EEEEPS9_S9_NSD_9__find_if7functorIS9_EEEE10hipError_tPvRmT1_T2_T3_mT4_P12ihipStream_tbEUlT_E1_NS1_11comp_targetILNS1_3genE2ELNS1_11target_archE906ELNS1_3gpuE6ELNS1_3repE0EEENS1_30default_config_static_selectorELNS0_4arch9wavefront6targetE0EEEvS14_
	.globl	_ZN7rocprim17ROCPRIM_400000_NS6detail17trampoline_kernelINS0_14default_configENS1_22reduce_config_selectorIN6thrust23THRUST_200600_302600_NS5tupleIblNS6_9null_typeES8_S8_S8_S8_S8_S8_S8_EEEEZNS1_11reduce_implILb1ES3_NS6_12zip_iteratorINS7_INS6_11hip_rocprim26transform_input_iterator_tIbNSD_35transform_pair_of_input_iterators_tIbNS6_6detail15normal_iteratorINS6_10device_ptrIKdEEEESL_NS6_8equal_toIdEEEENSG_9not_fun_tINSD_8identityEEEEENSD_19counting_iterator_tIlEES8_S8_S8_S8_S8_S8_S8_S8_EEEEPS9_S9_NSD_9__find_if7functorIS9_EEEE10hipError_tPvRmT1_T2_T3_mT4_P12ihipStream_tbEUlT_E1_NS1_11comp_targetILNS1_3genE2ELNS1_11target_archE906ELNS1_3gpuE6ELNS1_3repE0EEENS1_30default_config_static_selectorELNS0_4arch9wavefront6targetE0EEEvS14_
	.p2align	8
	.type	_ZN7rocprim17ROCPRIM_400000_NS6detail17trampoline_kernelINS0_14default_configENS1_22reduce_config_selectorIN6thrust23THRUST_200600_302600_NS5tupleIblNS6_9null_typeES8_S8_S8_S8_S8_S8_S8_EEEEZNS1_11reduce_implILb1ES3_NS6_12zip_iteratorINS7_INS6_11hip_rocprim26transform_input_iterator_tIbNSD_35transform_pair_of_input_iterators_tIbNS6_6detail15normal_iteratorINS6_10device_ptrIKdEEEESL_NS6_8equal_toIdEEEENSG_9not_fun_tINSD_8identityEEEEENSD_19counting_iterator_tIlEES8_S8_S8_S8_S8_S8_S8_S8_EEEEPS9_S9_NSD_9__find_if7functorIS9_EEEE10hipError_tPvRmT1_T2_T3_mT4_P12ihipStream_tbEUlT_E1_NS1_11comp_targetILNS1_3genE2ELNS1_11target_archE906ELNS1_3gpuE6ELNS1_3repE0EEENS1_30default_config_static_selectorELNS0_4arch9wavefront6targetE0EEEvS14_,@function
_ZN7rocprim17ROCPRIM_400000_NS6detail17trampoline_kernelINS0_14default_configENS1_22reduce_config_selectorIN6thrust23THRUST_200600_302600_NS5tupleIblNS6_9null_typeES8_S8_S8_S8_S8_S8_S8_EEEEZNS1_11reduce_implILb1ES3_NS6_12zip_iteratorINS7_INS6_11hip_rocprim26transform_input_iterator_tIbNSD_35transform_pair_of_input_iterators_tIbNS6_6detail15normal_iteratorINS6_10device_ptrIKdEEEESL_NS6_8equal_toIdEEEENSG_9not_fun_tINSD_8identityEEEEENSD_19counting_iterator_tIlEES8_S8_S8_S8_S8_S8_S8_S8_EEEEPS9_S9_NSD_9__find_if7functorIS9_EEEE10hipError_tPvRmT1_T2_T3_mT4_P12ihipStream_tbEUlT_E1_NS1_11comp_targetILNS1_3genE2ELNS1_11target_archE906ELNS1_3gpuE6ELNS1_3repE0EEENS1_30default_config_static_selectorELNS0_4arch9wavefront6targetE0EEEvS14_: ; @_ZN7rocprim17ROCPRIM_400000_NS6detail17trampoline_kernelINS0_14default_configENS1_22reduce_config_selectorIN6thrust23THRUST_200600_302600_NS5tupleIblNS6_9null_typeES8_S8_S8_S8_S8_S8_S8_EEEEZNS1_11reduce_implILb1ES3_NS6_12zip_iteratorINS7_INS6_11hip_rocprim26transform_input_iterator_tIbNSD_35transform_pair_of_input_iterators_tIbNS6_6detail15normal_iteratorINS6_10device_ptrIKdEEEESL_NS6_8equal_toIdEEEENSG_9not_fun_tINSD_8identityEEEEENSD_19counting_iterator_tIlEES8_S8_S8_S8_S8_S8_S8_S8_EEEEPS9_S9_NSD_9__find_if7functorIS9_EEEE10hipError_tPvRmT1_T2_T3_mT4_P12ihipStream_tbEUlT_E1_NS1_11comp_targetILNS1_3genE2ELNS1_11target_archE906ELNS1_3gpuE6ELNS1_3repE0EEENS1_30default_config_static_selectorELNS0_4arch9wavefront6targetE0EEEvS14_
; %bb.0:
	.section	.rodata,"a",@progbits
	.p2align	6, 0x0
	.amdhsa_kernel _ZN7rocprim17ROCPRIM_400000_NS6detail17trampoline_kernelINS0_14default_configENS1_22reduce_config_selectorIN6thrust23THRUST_200600_302600_NS5tupleIblNS6_9null_typeES8_S8_S8_S8_S8_S8_S8_EEEEZNS1_11reduce_implILb1ES3_NS6_12zip_iteratorINS7_INS6_11hip_rocprim26transform_input_iterator_tIbNSD_35transform_pair_of_input_iterators_tIbNS6_6detail15normal_iteratorINS6_10device_ptrIKdEEEESL_NS6_8equal_toIdEEEENSG_9not_fun_tINSD_8identityEEEEENSD_19counting_iterator_tIlEES8_S8_S8_S8_S8_S8_S8_S8_EEEEPS9_S9_NSD_9__find_if7functorIS9_EEEE10hipError_tPvRmT1_T2_T3_mT4_P12ihipStream_tbEUlT_E1_NS1_11comp_targetILNS1_3genE2ELNS1_11target_archE906ELNS1_3gpuE6ELNS1_3repE0EEENS1_30default_config_static_selectorELNS0_4arch9wavefront6targetE0EEEvS14_
		.amdhsa_group_segment_fixed_size 0
		.amdhsa_private_segment_fixed_size 0
		.amdhsa_kernarg_size 88
		.amdhsa_user_sgpr_count 2
		.amdhsa_user_sgpr_dispatch_ptr 0
		.amdhsa_user_sgpr_queue_ptr 0
		.amdhsa_user_sgpr_kernarg_segment_ptr 1
		.amdhsa_user_sgpr_dispatch_id 0
		.amdhsa_user_sgpr_kernarg_preload_length 0
		.amdhsa_user_sgpr_kernarg_preload_offset 0
		.amdhsa_user_sgpr_private_segment_size 0
		.amdhsa_wavefront_size32 1
		.amdhsa_uses_dynamic_stack 0
		.amdhsa_enable_private_segment 0
		.amdhsa_system_sgpr_workgroup_id_x 1
		.amdhsa_system_sgpr_workgroup_id_y 0
		.amdhsa_system_sgpr_workgroup_id_z 0
		.amdhsa_system_sgpr_workgroup_info 0
		.amdhsa_system_vgpr_workitem_id 0
		.amdhsa_next_free_vgpr 1
		.amdhsa_next_free_sgpr 1
		.amdhsa_named_barrier_count 0
		.amdhsa_reserve_vcc 0
		.amdhsa_float_round_mode_32 0
		.amdhsa_float_round_mode_16_64 0
		.amdhsa_float_denorm_mode_32 3
		.amdhsa_float_denorm_mode_16_64 3
		.amdhsa_fp16_overflow 0
		.amdhsa_memory_ordered 1
		.amdhsa_forward_progress 1
		.amdhsa_inst_pref_size 0
		.amdhsa_round_robin_scheduling 0
		.amdhsa_exception_fp_ieee_invalid_op 0
		.amdhsa_exception_fp_denorm_src 0
		.amdhsa_exception_fp_ieee_div_zero 0
		.amdhsa_exception_fp_ieee_overflow 0
		.amdhsa_exception_fp_ieee_underflow 0
		.amdhsa_exception_fp_ieee_inexact 0
		.amdhsa_exception_int_div_zero 0
	.end_amdhsa_kernel
	.section	.text._ZN7rocprim17ROCPRIM_400000_NS6detail17trampoline_kernelINS0_14default_configENS1_22reduce_config_selectorIN6thrust23THRUST_200600_302600_NS5tupleIblNS6_9null_typeES8_S8_S8_S8_S8_S8_S8_EEEEZNS1_11reduce_implILb1ES3_NS6_12zip_iteratorINS7_INS6_11hip_rocprim26transform_input_iterator_tIbNSD_35transform_pair_of_input_iterators_tIbNS6_6detail15normal_iteratorINS6_10device_ptrIKdEEEESL_NS6_8equal_toIdEEEENSG_9not_fun_tINSD_8identityEEEEENSD_19counting_iterator_tIlEES8_S8_S8_S8_S8_S8_S8_S8_EEEEPS9_S9_NSD_9__find_if7functorIS9_EEEE10hipError_tPvRmT1_T2_T3_mT4_P12ihipStream_tbEUlT_E1_NS1_11comp_targetILNS1_3genE2ELNS1_11target_archE906ELNS1_3gpuE6ELNS1_3repE0EEENS1_30default_config_static_selectorELNS0_4arch9wavefront6targetE0EEEvS14_,"axG",@progbits,_ZN7rocprim17ROCPRIM_400000_NS6detail17trampoline_kernelINS0_14default_configENS1_22reduce_config_selectorIN6thrust23THRUST_200600_302600_NS5tupleIblNS6_9null_typeES8_S8_S8_S8_S8_S8_S8_EEEEZNS1_11reduce_implILb1ES3_NS6_12zip_iteratorINS7_INS6_11hip_rocprim26transform_input_iterator_tIbNSD_35transform_pair_of_input_iterators_tIbNS6_6detail15normal_iteratorINS6_10device_ptrIKdEEEESL_NS6_8equal_toIdEEEENSG_9not_fun_tINSD_8identityEEEEENSD_19counting_iterator_tIlEES8_S8_S8_S8_S8_S8_S8_S8_EEEEPS9_S9_NSD_9__find_if7functorIS9_EEEE10hipError_tPvRmT1_T2_T3_mT4_P12ihipStream_tbEUlT_E1_NS1_11comp_targetILNS1_3genE2ELNS1_11target_archE906ELNS1_3gpuE6ELNS1_3repE0EEENS1_30default_config_static_selectorELNS0_4arch9wavefront6targetE0EEEvS14_,comdat
.Lfunc_end50:
	.size	_ZN7rocprim17ROCPRIM_400000_NS6detail17trampoline_kernelINS0_14default_configENS1_22reduce_config_selectorIN6thrust23THRUST_200600_302600_NS5tupleIblNS6_9null_typeES8_S8_S8_S8_S8_S8_S8_EEEEZNS1_11reduce_implILb1ES3_NS6_12zip_iteratorINS7_INS6_11hip_rocprim26transform_input_iterator_tIbNSD_35transform_pair_of_input_iterators_tIbNS6_6detail15normal_iteratorINS6_10device_ptrIKdEEEESL_NS6_8equal_toIdEEEENSG_9not_fun_tINSD_8identityEEEEENSD_19counting_iterator_tIlEES8_S8_S8_S8_S8_S8_S8_S8_EEEEPS9_S9_NSD_9__find_if7functorIS9_EEEE10hipError_tPvRmT1_T2_T3_mT4_P12ihipStream_tbEUlT_E1_NS1_11comp_targetILNS1_3genE2ELNS1_11target_archE906ELNS1_3gpuE6ELNS1_3repE0EEENS1_30default_config_static_selectorELNS0_4arch9wavefront6targetE0EEEvS14_, .Lfunc_end50-_ZN7rocprim17ROCPRIM_400000_NS6detail17trampoline_kernelINS0_14default_configENS1_22reduce_config_selectorIN6thrust23THRUST_200600_302600_NS5tupleIblNS6_9null_typeES8_S8_S8_S8_S8_S8_S8_EEEEZNS1_11reduce_implILb1ES3_NS6_12zip_iteratorINS7_INS6_11hip_rocprim26transform_input_iterator_tIbNSD_35transform_pair_of_input_iterators_tIbNS6_6detail15normal_iteratorINS6_10device_ptrIKdEEEESL_NS6_8equal_toIdEEEENSG_9not_fun_tINSD_8identityEEEEENSD_19counting_iterator_tIlEES8_S8_S8_S8_S8_S8_S8_S8_EEEEPS9_S9_NSD_9__find_if7functorIS9_EEEE10hipError_tPvRmT1_T2_T3_mT4_P12ihipStream_tbEUlT_E1_NS1_11comp_targetILNS1_3genE2ELNS1_11target_archE906ELNS1_3gpuE6ELNS1_3repE0EEENS1_30default_config_static_selectorELNS0_4arch9wavefront6targetE0EEEvS14_
                                        ; -- End function
	.set _ZN7rocprim17ROCPRIM_400000_NS6detail17trampoline_kernelINS0_14default_configENS1_22reduce_config_selectorIN6thrust23THRUST_200600_302600_NS5tupleIblNS6_9null_typeES8_S8_S8_S8_S8_S8_S8_EEEEZNS1_11reduce_implILb1ES3_NS6_12zip_iteratorINS7_INS6_11hip_rocprim26transform_input_iterator_tIbNSD_35transform_pair_of_input_iterators_tIbNS6_6detail15normal_iteratorINS6_10device_ptrIKdEEEESL_NS6_8equal_toIdEEEENSG_9not_fun_tINSD_8identityEEEEENSD_19counting_iterator_tIlEES8_S8_S8_S8_S8_S8_S8_S8_EEEEPS9_S9_NSD_9__find_if7functorIS9_EEEE10hipError_tPvRmT1_T2_T3_mT4_P12ihipStream_tbEUlT_E1_NS1_11comp_targetILNS1_3genE2ELNS1_11target_archE906ELNS1_3gpuE6ELNS1_3repE0EEENS1_30default_config_static_selectorELNS0_4arch9wavefront6targetE0EEEvS14_.num_vgpr, 0
	.set _ZN7rocprim17ROCPRIM_400000_NS6detail17trampoline_kernelINS0_14default_configENS1_22reduce_config_selectorIN6thrust23THRUST_200600_302600_NS5tupleIblNS6_9null_typeES8_S8_S8_S8_S8_S8_S8_EEEEZNS1_11reduce_implILb1ES3_NS6_12zip_iteratorINS7_INS6_11hip_rocprim26transform_input_iterator_tIbNSD_35transform_pair_of_input_iterators_tIbNS6_6detail15normal_iteratorINS6_10device_ptrIKdEEEESL_NS6_8equal_toIdEEEENSG_9not_fun_tINSD_8identityEEEEENSD_19counting_iterator_tIlEES8_S8_S8_S8_S8_S8_S8_S8_EEEEPS9_S9_NSD_9__find_if7functorIS9_EEEE10hipError_tPvRmT1_T2_T3_mT4_P12ihipStream_tbEUlT_E1_NS1_11comp_targetILNS1_3genE2ELNS1_11target_archE906ELNS1_3gpuE6ELNS1_3repE0EEENS1_30default_config_static_selectorELNS0_4arch9wavefront6targetE0EEEvS14_.num_agpr, 0
	.set _ZN7rocprim17ROCPRIM_400000_NS6detail17trampoline_kernelINS0_14default_configENS1_22reduce_config_selectorIN6thrust23THRUST_200600_302600_NS5tupleIblNS6_9null_typeES8_S8_S8_S8_S8_S8_S8_EEEEZNS1_11reduce_implILb1ES3_NS6_12zip_iteratorINS7_INS6_11hip_rocprim26transform_input_iterator_tIbNSD_35transform_pair_of_input_iterators_tIbNS6_6detail15normal_iteratorINS6_10device_ptrIKdEEEESL_NS6_8equal_toIdEEEENSG_9not_fun_tINSD_8identityEEEEENSD_19counting_iterator_tIlEES8_S8_S8_S8_S8_S8_S8_S8_EEEEPS9_S9_NSD_9__find_if7functorIS9_EEEE10hipError_tPvRmT1_T2_T3_mT4_P12ihipStream_tbEUlT_E1_NS1_11comp_targetILNS1_3genE2ELNS1_11target_archE906ELNS1_3gpuE6ELNS1_3repE0EEENS1_30default_config_static_selectorELNS0_4arch9wavefront6targetE0EEEvS14_.numbered_sgpr, 0
	.set _ZN7rocprim17ROCPRIM_400000_NS6detail17trampoline_kernelINS0_14default_configENS1_22reduce_config_selectorIN6thrust23THRUST_200600_302600_NS5tupleIblNS6_9null_typeES8_S8_S8_S8_S8_S8_S8_EEEEZNS1_11reduce_implILb1ES3_NS6_12zip_iteratorINS7_INS6_11hip_rocprim26transform_input_iterator_tIbNSD_35transform_pair_of_input_iterators_tIbNS6_6detail15normal_iteratorINS6_10device_ptrIKdEEEESL_NS6_8equal_toIdEEEENSG_9not_fun_tINSD_8identityEEEEENSD_19counting_iterator_tIlEES8_S8_S8_S8_S8_S8_S8_S8_EEEEPS9_S9_NSD_9__find_if7functorIS9_EEEE10hipError_tPvRmT1_T2_T3_mT4_P12ihipStream_tbEUlT_E1_NS1_11comp_targetILNS1_3genE2ELNS1_11target_archE906ELNS1_3gpuE6ELNS1_3repE0EEENS1_30default_config_static_selectorELNS0_4arch9wavefront6targetE0EEEvS14_.num_named_barrier, 0
	.set _ZN7rocprim17ROCPRIM_400000_NS6detail17trampoline_kernelINS0_14default_configENS1_22reduce_config_selectorIN6thrust23THRUST_200600_302600_NS5tupleIblNS6_9null_typeES8_S8_S8_S8_S8_S8_S8_EEEEZNS1_11reduce_implILb1ES3_NS6_12zip_iteratorINS7_INS6_11hip_rocprim26transform_input_iterator_tIbNSD_35transform_pair_of_input_iterators_tIbNS6_6detail15normal_iteratorINS6_10device_ptrIKdEEEESL_NS6_8equal_toIdEEEENSG_9not_fun_tINSD_8identityEEEEENSD_19counting_iterator_tIlEES8_S8_S8_S8_S8_S8_S8_S8_EEEEPS9_S9_NSD_9__find_if7functorIS9_EEEE10hipError_tPvRmT1_T2_T3_mT4_P12ihipStream_tbEUlT_E1_NS1_11comp_targetILNS1_3genE2ELNS1_11target_archE906ELNS1_3gpuE6ELNS1_3repE0EEENS1_30default_config_static_selectorELNS0_4arch9wavefront6targetE0EEEvS14_.private_seg_size, 0
	.set _ZN7rocprim17ROCPRIM_400000_NS6detail17trampoline_kernelINS0_14default_configENS1_22reduce_config_selectorIN6thrust23THRUST_200600_302600_NS5tupleIblNS6_9null_typeES8_S8_S8_S8_S8_S8_S8_EEEEZNS1_11reduce_implILb1ES3_NS6_12zip_iteratorINS7_INS6_11hip_rocprim26transform_input_iterator_tIbNSD_35transform_pair_of_input_iterators_tIbNS6_6detail15normal_iteratorINS6_10device_ptrIKdEEEESL_NS6_8equal_toIdEEEENSG_9not_fun_tINSD_8identityEEEEENSD_19counting_iterator_tIlEES8_S8_S8_S8_S8_S8_S8_S8_EEEEPS9_S9_NSD_9__find_if7functorIS9_EEEE10hipError_tPvRmT1_T2_T3_mT4_P12ihipStream_tbEUlT_E1_NS1_11comp_targetILNS1_3genE2ELNS1_11target_archE906ELNS1_3gpuE6ELNS1_3repE0EEENS1_30default_config_static_selectorELNS0_4arch9wavefront6targetE0EEEvS14_.uses_vcc, 0
	.set _ZN7rocprim17ROCPRIM_400000_NS6detail17trampoline_kernelINS0_14default_configENS1_22reduce_config_selectorIN6thrust23THRUST_200600_302600_NS5tupleIblNS6_9null_typeES8_S8_S8_S8_S8_S8_S8_EEEEZNS1_11reduce_implILb1ES3_NS6_12zip_iteratorINS7_INS6_11hip_rocprim26transform_input_iterator_tIbNSD_35transform_pair_of_input_iterators_tIbNS6_6detail15normal_iteratorINS6_10device_ptrIKdEEEESL_NS6_8equal_toIdEEEENSG_9not_fun_tINSD_8identityEEEEENSD_19counting_iterator_tIlEES8_S8_S8_S8_S8_S8_S8_S8_EEEEPS9_S9_NSD_9__find_if7functorIS9_EEEE10hipError_tPvRmT1_T2_T3_mT4_P12ihipStream_tbEUlT_E1_NS1_11comp_targetILNS1_3genE2ELNS1_11target_archE906ELNS1_3gpuE6ELNS1_3repE0EEENS1_30default_config_static_selectorELNS0_4arch9wavefront6targetE0EEEvS14_.uses_flat_scratch, 0
	.set _ZN7rocprim17ROCPRIM_400000_NS6detail17trampoline_kernelINS0_14default_configENS1_22reduce_config_selectorIN6thrust23THRUST_200600_302600_NS5tupleIblNS6_9null_typeES8_S8_S8_S8_S8_S8_S8_EEEEZNS1_11reduce_implILb1ES3_NS6_12zip_iteratorINS7_INS6_11hip_rocprim26transform_input_iterator_tIbNSD_35transform_pair_of_input_iterators_tIbNS6_6detail15normal_iteratorINS6_10device_ptrIKdEEEESL_NS6_8equal_toIdEEEENSG_9not_fun_tINSD_8identityEEEEENSD_19counting_iterator_tIlEES8_S8_S8_S8_S8_S8_S8_S8_EEEEPS9_S9_NSD_9__find_if7functorIS9_EEEE10hipError_tPvRmT1_T2_T3_mT4_P12ihipStream_tbEUlT_E1_NS1_11comp_targetILNS1_3genE2ELNS1_11target_archE906ELNS1_3gpuE6ELNS1_3repE0EEENS1_30default_config_static_selectorELNS0_4arch9wavefront6targetE0EEEvS14_.has_dyn_sized_stack, 0
	.set _ZN7rocprim17ROCPRIM_400000_NS6detail17trampoline_kernelINS0_14default_configENS1_22reduce_config_selectorIN6thrust23THRUST_200600_302600_NS5tupleIblNS6_9null_typeES8_S8_S8_S8_S8_S8_S8_EEEEZNS1_11reduce_implILb1ES3_NS6_12zip_iteratorINS7_INS6_11hip_rocprim26transform_input_iterator_tIbNSD_35transform_pair_of_input_iterators_tIbNS6_6detail15normal_iteratorINS6_10device_ptrIKdEEEESL_NS6_8equal_toIdEEEENSG_9not_fun_tINSD_8identityEEEEENSD_19counting_iterator_tIlEES8_S8_S8_S8_S8_S8_S8_S8_EEEEPS9_S9_NSD_9__find_if7functorIS9_EEEE10hipError_tPvRmT1_T2_T3_mT4_P12ihipStream_tbEUlT_E1_NS1_11comp_targetILNS1_3genE2ELNS1_11target_archE906ELNS1_3gpuE6ELNS1_3repE0EEENS1_30default_config_static_selectorELNS0_4arch9wavefront6targetE0EEEvS14_.has_recursion, 0
	.set _ZN7rocprim17ROCPRIM_400000_NS6detail17trampoline_kernelINS0_14default_configENS1_22reduce_config_selectorIN6thrust23THRUST_200600_302600_NS5tupleIblNS6_9null_typeES8_S8_S8_S8_S8_S8_S8_EEEEZNS1_11reduce_implILb1ES3_NS6_12zip_iteratorINS7_INS6_11hip_rocprim26transform_input_iterator_tIbNSD_35transform_pair_of_input_iterators_tIbNS6_6detail15normal_iteratorINS6_10device_ptrIKdEEEESL_NS6_8equal_toIdEEEENSG_9not_fun_tINSD_8identityEEEEENSD_19counting_iterator_tIlEES8_S8_S8_S8_S8_S8_S8_S8_EEEEPS9_S9_NSD_9__find_if7functorIS9_EEEE10hipError_tPvRmT1_T2_T3_mT4_P12ihipStream_tbEUlT_E1_NS1_11comp_targetILNS1_3genE2ELNS1_11target_archE906ELNS1_3gpuE6ELNS1_3repE0EEENS1_30default_config_static_selectorELNS0_4arch9wavefront6targetE0EEEvS14_.has_indirect_call, 0
	.section	.AMDGPU.csdata,"",@progbits
; Kernel info:
; codeLenInByte = 0
; TotalNumSgprs: 0
; NumVgprs: 0
; ScratchSize: 0
; MemoryBound: 0
; FloatMode: 240
; IeeeMode: 1
; LDSByteSize: 0 bytes/workgroup (compile time only)
; SGPRBlocks: 0
; VGPRBlocks: 0
; NumSGPRsForWavesPerEU: 1
; NumVGPRsForWavesPerEU: 1
; NamedBarCnt: 0
; Occupancy: 16
; WaveLimiterHint : 0
; COMPUTE_PGM_RSRC2:SCRATCH_EN: 0
; COMPUTE_PGM_RSRC2:USER_SGPR: 2
; COMPUTE_PGM_RSRC2:TRAP_HANDLER: 0
; COMPUTE_PGM_RSRC2:TGID_X_EN: 1
; COMPUTE_PGM_RSRC2:TGID_Y_EN: 0
; COMPUTE_PGM_RSRC2:TGID_Z_EN: 0
; COMPUTE_PGM_RSRC2:TIDIG_COMP_CNT: 0
	.section	.text._ZN7rocprim17ROCPRIM_400000_NS6detail17trampoline_kernelINS0_14default_configENS1_22reduce_config_selectorIN6thrust23THRUST_200600_302600_NS5tupleIblNS6_9null_typeES8_S8_S8_S8_S8_S8_S8_EEEEZNS1_11reduce_implILb1ES3_NS6_12zip_iteratorINS7_INS6_11hip_rocprim26transform_input_iterator_tIbNSD_35transform_pair_of_input_iterators_tIbNS6_6detail15normal_iteratorINS6_10device_ptrIKdEEEESL_NS6_8equal_toIdEEEENSG_9not_fun_tINSD_8identityEEEEENSD_19counting_iterator_tIlEES8_S8_S8_S8_S8_S8_S8_S8_EEEEPS9_S9_NSD_9__find_if7functorIS9_EEEE10hipError_tPvRmT1_T2_T3_mT4_P12ihipStream_tbEUlT_E1_NS1_11comp_targetILNS1_3genE10ELNS1_11target_archE1201ELNS1_3gpuE5ELNS1_3repE0EEENS1_30default_config_static_selectorELNS0_4arch9wavefront6targetE0EEEvS14_,"axG",@progbits,_ZN7rocprim17ROCPRIM_400000_NS6detail17trampoline_kernelINS0_14default_configENS1_22reduce_config_selectorIN6thrust23THRUST_200600_302600_NS5tupleIblNS6_9null_typeES8_S8_S8_S8_S8_S8_S8_EEEEZNS1_11reduce_implILb1ES3_NS6_12zip_iteratorINS7_INS6_11hip_rocprim26transform_input_iterator_tIbNSD_35transform_pair_of_input_iterators_tIbNS6_6detail15normal_iteratorINS6_10device_ptrIKdEEEESL_NS6_8equal_toIdEEEENSG_9not_fun_tINSD_8identityEEEEENSD_19counting_iterator_tIlEES8_S8_S8_S8_S8_S8_S8_S8_EEEEPS9_S9_NSD_9__find_if7functorIS9_EEEE10hipError_tPvRmT1_T2_T3_mT4_P12ihipStream_tbEUlT_E1_NS1_11comp_targetILNS1_3genE10ELNS1_11target_archE1201ELNS1_3gpuE5ELNS1_3repE0EEENS1_30default_config_static_selectorELNS0_4arch9wavefront6targetE0EEEvS14_,comdat
	.protected	_ZN7rocprim17ROCPRIM_400000_NS6detail17trampoline_kernelINS0_14default_configENS1_22reduce_config_selectorIN6thrust23THRUST_200600_302600_NS5tupleIblNS6_9null_typeES8_S8_S8_S8_S8_S8_S8_EEEEZNS1_11reduce_implILb1ES3_NS6_12zip_iteratorINS7_INS6_11hip_rocprim26transform_input_iterator_tIbNSD_35transform_pair_of_input_iterators_tIbNS6_6detail15normal_iteratorINS6_10device_ptrIKdEEEESL_NS6_8equal_toIdEEEENSG_9not_fun_tINSD_8identityEEEEENSD_19counting_iterator_tIlEES8_S8_S8_S8_S8_S8_S8_S8_EEEEPS9_S9_NSD_9__find_if7functorIS9_EEEE10hipError_tPvRmT1_T2_T3_mT4_P12ihipStream_tbEUlT_E1_NS1_11comp_targetILNS1_3genE10ELNS1_11target_archE1201ELNS1_3gpuE5ELNS1_3repE0EEENS1_30default_config_static_selectorELNS0_4arch9wavefront6targetE0EEEvS14_ ; -- Begin function _ZN7rocprim17ROCPRIM_400000_NS6detail17trampoline_kernelINS0_14default_configENS1_22reduce_config_selectorIN6thrust23THRUST_200600_302600_NS5tupleIblNS6_9null_typeES8_S8_S8_S8_S8_S8_S8_EEEEZNS1_11reduce_implILb1ES3_NS6_12zip_iteratorINS7_INS6_11hip_rocprim26transform_input_iterator_tIbNSD_35transform_pair_of_input_iterators_tIbNS6_6detail15normal_iteratorINS6_10device_ptrIKdEEEESL_NS6_8equal_toIdEEEENSG_9not_fun_tINSD_8identityEEEEENSD_19counting_iterator_tIlEES8_S8_S8_S8_S8_S8_S8_S8_EEEEPS9_S9_NSD_9__find_if7functorIS9_EEEE10hipError_tPvRmT1_T2_T3_mT4_P12ihipStream_tbEUlT_E1_NS1_11comp_targetILNS1_3genE10ELNS1_11target_archE1201ELNS1_3gpuE5ELNS1_3repE0EEENS1_30default_config_static_selectorELNS0_4arch9wavefront6targetE0EEEvS14_
	.globl	_ZN7rocprim17ROCPRIM_400000_NS6detail17trampoline_kernelINS0_14default_configENS1_22reduce_config_selectorIN6thrust23THRUST_200600_302600_NS5tupleIblNS6_9null_typeES8_S8_S8_S8_S8_S8_S8_EEEEZNS1_11reduce_implILb1ES3_NS6_12zip_iteratorINS7_INS6_11hip_rocprim26transform_input_iterator_tIbNSD_35transform_pair_of_input_iterators_tIbNS6_6detail15normal_iteratorINS6_10device_ptrIKdEEEESL_NS6_8equal_toIdEEEENSG_9not_fun_tINSD_8identityEEEEENSD_19counting_iterator_tIlEES8_S8_S8_S8_S8_S8_S8_S8_EEEEPS9_S9_NSD_9__find_if7functorIS9_EEEE10hipError_tPvRmT1_T2_T3_mT4_P12ihipStream_tbEUlT_E1_NS1_11comp_targetILNS1_3genE10ELNS1_11target_archE1201ELNS1_3gpuE5ELNS1_3repE0EEENS1_30default_config_static_selectorELNS0_4arch9wavefront6targetE0EEEvS14_
	.p2align	8
	.type	_ZN7rocprim17ROCPRIM_400000_NS6detail17trampoline_kernelINS0_14default_configENS1_22reduce_config_selectorIN6thrust23THRUST_200600_302600_NS5tupleIblNS6_9null_typeES8_S8_S8_S8_S8_S8_S8_EEEEZNS1_11reduce_implILb1ES3_NS6_12zip_iteratorINS7_INS6_11hip_rocprim26transform_input_iterator_tIbNSD_35transform_pair_of_input_iterators_tIbNS6_6detail15normal_iteratorINS6_10device_ptrIKdEEEESL_NS6_8equal_toIdEEEENSG_9not_fun_tINSD_8identityEEEEENSD_19counting_iterator_tIlEES8_S8_S8_S8_S8_S8_S8_S8_EEEEPS9_S9_NSD_9__find_if7functorIS9_EEEE10hipError_tPvRmT1_T2_T3_mT4_P12ihipStream_tbEUlT_E1_NS1_11comp_targetILNS1_3genE10ELNS1_11target_archE1201ELNS1_3gpuE5ELNS1_3repE0EEENS1_30default_config_static_selectorELNS0_4arch9wavefront6targetE0EEEvS14_,@function
_ZN7rocprim17ROCPRIM_400000_NS6detail17trampoline_kernelINS0_14default_configENS1_22reduce_config_selectorIN6thrust23THRUST_200600_302600_NS5tupleIblNS6_9null_typeES8_S8_S8_S8_S8_S8_S8_EEEEZNS1_11reduce_implILb1ES3_NS6_12zip_iteratorINS7_INS6_11hip_rocprim26transform_input_iterator_tIbNSD_35transform_pair_of_input_iterators_tIbNS6_6detail15normal_iteratorINS6_10device_ptrIKdEEEESL_NS6_8equal_toIdEEEENSG_9not_fun_tINSD_8identityEEEEENSD_19counting_iterator_tIlEES8_S8_S8_S8_S8_S8_S8_S8_EEEEPS9_S9_NSD_9__find_if7functorIS9_EEEE10hipError_tPvRmT1_T2_T3_mT4_P12ihipStream_tbEUlT_E1_NS1_11comp_targetILNS1_3genE10ELNS1_11target_archE1201ELNS1_3gpuE5ELNS1_3repE0EEENS1_30default_config_static_selectorELNS0_4arch9wavefront6targetE0EEEvS14_: ; @_ZN7rocprim17ROCPRIM_400000_NS6detail17trampoline_kernelINS0_14default_configENS1_22reduce_config_selectorIN6thrust23THRUST_200600_302600_NS5tupleIblNS6_9null_typeES8_S8_S8_S8_S8_S8_S8_EEEEZNS1_11reduce_implILb1ES3_NS6_12zip_iteratorINS7_INS6_11hip_rocprim26transform_input_iterator_tIbNSD_35transform_pair_of_input_iterators_tIbNS6_6detail15normal_iteratorINS6_10device_ptrIKdEEEESL_NS6_8equal_toIdEEEENSG_9not_fun_tINSD_8identityEEEEENSD_19counting_iterator_tIlEES8_S8_S8_S8_S8_S8_S8_S8_EEEEPS9_S9_NSD_9__find_if7functorIS9_EEEE10hipError_tPvRmT1_T2_T3_mT4_P12ihipStream_tbEUlT_E1_NS1_11comp_targetILNS1_3genE10ELNS1_11target_archE1201ELNS1_3gpuE5ELNS1_3repE0EEENS1_30default_config_static_selectorELNS0_4arch9wavefront6targetE0EEEvS14_
; %bb.0:
	.section	.rodata,"a",@progbits
	.p2align	6, 0x0
	.amdhsa_kernel _ZN7rocprim17ROCPRIM_400000_NS6detail17trampoline_kernelINS0_14default_configENS1_22reduce_config_selectorIN6thrust23THRUST_200600_302600_NS5tupleIblNS6_9null_typeES8_S8_S8_S8_S8_S8_S8_EEEEZNS1_11reduce_implILb1ES3_NS6_12zip_iteratorINS7_INS6_11hip_rocprim26transform_input_iterator_tIbNSD_35transform_pair_of_input_iterators_tIbNS6_6detail15normal_iteratorINS6_10device_ptrIKdEEEESL_NS6_8equal_toIdEEEENSG_9not_fun_tINSD_8identityEEEEENSD_19counting_iterator_tIlEES8_S8_S8_S8_S8_S8_S8_S8_EEEEPS9_S9_NSD_9__find_if7functorIS9_EEEE10hipError_tPvRmT1_T2_T3_mT4_P12ihipStream_tbEUlT_E1_NS1_11comp_targetILNS1_3genE10ELNS1_11target_archE1201ELNS1_3gpuE5ELNS1_3repE0EEENS1_30default_config_static_selectorELNS0_4arch9wavefront6targetE0EEEvS14_
		.amdhsa_group_segment_fixed_size 0
		.amdhsa_private_segment_fixed_size 0
		.amdhsa_kernarg_size 88
		.amdhsa_user_sgpr_count 2
		.amdhsa_user_sgpr_dispatch_ptr 0
		.amdhsa_user_sgpr_queue_ptr 0
		.amdhsa_user_sgpr_kernarg_segment_ptr 1
		.amdhsa_user_sgpr_dispatch_id 0
		.amdhsa_user_sgpr_kernarg_preload_length 0
		.amdhsa_user_sgpr_kernarg_preload_offset 0
		.amdhsa_user_sgpr_private_segment_size 0
		.amdhsa_wavefront_size32 1
		.amdhsa_uses_dynamic_stack 0
		.amdhsa_enable_private_segment 0
		.amdhsa_system_sgpr_workgroup_id_x 1
		.amdhsa_system_sgpr_workgroup_id_y 0
		.amdhsa_system_sgpr_workgroup_id_z 0
		.amdhsa_system_sgpr_workgroup_info 0
		.amdhsa_system_vgpr_workitem_id 0
		.amdhsa_next_free_vgpr 1
		.amdhsa_next_free_sgpr 1
		.amdhsa_named_barrier_count 0
		.amdhsa_reserve_vcc 0
		.amdhsa_float_round_mode_32 0
		.amdhsa_float_round_mode_16_64 0
		.amdhsa_float_denorm_mode_32 3
		.amdhsa_float_denorm_mode_16_64 3
		.amdhsa_fp16_overflow 0
		.amdhsa_memory_ordered 1
		.amdhsa_forward_progress 1
		.amdhsa_inst_pref_size 0
		.amdhsa_round_robin_scheduling 0
		.amdhsa_exception_fp_ieee_invalid_op 0
		.amdhsa_exception_fp_denorm_src 0
		.amdhsa_exception_fp_ieee_div_zero 0
		.amdhsa_exception_fp_ieee_overflow 0
		.amdhsa_exception_fp_ieee_underflow 0
		.amdhsa_exception_fp_ieee_inexact 0
		.amdhsa_exception_int_div_zero 0
	.end_amdhsa_kernel
	.section	.text._ZN7rocprim17ROCPRIM_400000_NS6detail17trampoline_kernelINS0_14default_configENS1_22reduce_config_selectorIN6thrust23THRUST_200600_302600_NS5tupleIblNS6_9null_typeES8_S8_S8_S8_S8_S8_S8_EEEEZNS1_11reduce_implILb1ES3_NS6_12zip_iteratorINS7_INS6_11hip_rocprim26transform_input_iterator_tIbNSD_35transform_pair_of_input_iterators_tIbNS6_6detail15normal_iteratorINS6_10device_ptrIKdEEEESL_NS6_8equal_toIdEEEENSG_9not_fun_tINSD_8identityEEEEENSD_19counting_iterator_tIlEES8_S8_S8_S8_S8_S8_S8_S8_EEEEPS9_S9_NSD_9__find_if7functorIS9_EEEE10hipError_tPvRmT1_T2_T3_mT4_P12ihipStream_tbEUlT_E1_NS1_11comp_targetILNS1_3genE10ELNS1_11target_archE1201ELNS1_3gpuE5ELNS1_3repE0EEENS1_30default_config_static_selectorELNS0_4arch9wavefront6targetE0EEEvS14_,"axG",@progbits,_ZN7rocprim17ROCPRIM_400000_NS6detail17trampoline_kernelINS0_14default_configENS1_22reduce_config_selectorIN6thrust23THRUST_200600_302600_NS5tupleIblNS6_9null_typeES8_S8_S8_S8_S8_S8_S8_EEEEZNS1_11reduce_implILb1ES3_NS6_12zip_iteratorINS7_INS6_11hip_rocprim26transform_input_iterator_tIbNSD_35transform_pair_of_input_iterators_tIbNS6_6detail15normal_iteratorINS6_10device_ptrIKdEEEESL_NS6_8equal_toIdEEEENSG_9not_fun_tINSD_8identityEEEEENSD_19counting_iterator_tIlEES8_S8_S8_S8_S8_S8_S8_S8_EEEEPS9_S9_NSD_9__find_if7functorIS9_EEEE10hipError_tPvRmT1_T2_T3_mT4_P12ihipStream_tbEUlT_E1_NS1_11comp_targetILNS1_3genE10ELNS1_11target_archE1201ELNS1_3gpuE5ELNS1_3repE0EEENS1_30default_config_static_selectorELNS0_4arch9wavefront6targetE0EEEvS14_,comdat
.Lfunc_end51:
	.size	_ZN7rocprim17ROCPRIM_400000_NS6detail17trampoline_kernelINS0_14default_configENS1_22reduce_config_selectorIN6thrust23THRUST_200600_302600_NS5tupleIblNS6_9null_typeES8_S8_S8_S8_S8_S8_S8_EEEEZNS1_11reduce_implILb1ES3_NS6_12zip_iteratorINS7_INS6_11hip_rocprim26transform_input_iterator_tIbNSD_35transform_pair_of_input_iterators_tIbNS6_6detail15normal_iteratorINS6_10device_ptrIKdEEEESL_NS6_8equal_toIdEEEENSG_9not_fun_tINSD_8identityEEEEENSD_19counting_iterator_tIlEES8_S8_S8_S8_S8_S8_S8_S8_EEEEPS9_S9_NSD_9__find_if7functorIS9_EEEE10hipError_tPvRmT1_T2_T3_mT4_P12ihipStream_tbEUlT_E1_NS1_11comp_targetILNS1_3genE10ELNS1_11target_archE1201ELNS1_3gpuE5ELNS1_3repE0EEENS1_30default_config_static_selectorELNS0_4arch9wavefront6targetE0EEEvS14_, .Lfunc_end51-_ZN7rocprim17ROCPRIM_400000_NS6detail17trampoline_kernelINS0_14default_configENS1_22reduce_config_selectorIN6thrust23THRUST_200600_302600_NS5tupleIblNS6_9null_typeES8_S8_S8_S8_S8_S8_S8_EEEEZNS1_11reduce_implILb1ES3_NS6_12zip_iteratorINS7_INS6_11hip_rocprim26transform_input_iterator_tIbNSD_35transform_pair_of_input_iterators_tIbNS6_6detail15normal_iteratorINS6_10device_ptrIKdEEEESL_NS6_8equal_toIdEEEENSG_9not_fun_tINSD_8identityEEEEENSD_19counting_iterator_tIlEES8_S8_S8_S8_S8_S8_S8_S8_EEEEPS9_S9_NSD_9__find_if7functorIS9_EEEE10hipError_tPvRmT1_T2_T3_mT4_P12ihipStream_tbEUlT_E1_NS1_11comp_targetILNS1_3genE10ELNS1_11target_archE1201ELNS1_3gpuE5ELNS1_3repE0EEENS1_30default_config_static_selectorELNS0_4arch9wavefront6targetE0EEEvS14_
                                        ; -- End function
	.set _ZN7rocprim17ROCPRIM_400000_NS6detail17trampoline_kernelINS0_14default_configENS1_22reduce_config_selectorIN6thrust23THRUST_200600_302600_NS5tupleIblNS6_9null_typeES8_S8_S8_S8_S8_S8_S8_EEEEZNS1_11reduce_implILb1ES3_NS6_12zip_iteratorINS7_INS6_11hip_rocprim26transform_input_iterator_tIbNSD_35transform_pair_of_input_iterators_tIbNS6_6detail15normal_iteratorINS6_10device_ptrIKdEEEESL_NS6_8equal_toIdEEEENSG_9not_fun_tINSD_8identityEEEEENSD_19counting_iterator_tIlEES8_S8_S8_S8_S8_S8_S8_S8_EEEEPS9_S9_NSD_9__find_if7functorIS9_EEEE10hipError_tPvRmT1_T2_T3_mT4_P12ihipStream_tbEUlT_E1_NS1_11comp_targetILNS1_3genE10ELNS1_11target_archE1201ELNS1_3gpuE5ELNS1_3repE0EEENS1_30default_config_static_selectorELNS0_4arch9wavefront6targetE0EEEvS14_.num_vgpr, 0
	.set _ZN7rocprim17ROCPRIM_400000_NS6detail17trampoline_kernelINS0_14default_configENS1_22reduce_config_selectorIN6thrust23THRUST_200600_302600_NS5tupleIblNS6_9null_typeES8_S8_S8_S8_S8_S8_S8_EEEEZNS1_11reduce_implILb1ES3_NS6_12zip_iteratorINS7_INS6_11hip_rocprim26transform_input_iterator_tIbNSD_35transform_pair_of_input_iterators_tIbNS6_6detail15normal_iteratorINS6_10device_ptrIKdEEEESL_NS6_8equal_toIdEEEENSG_9not_fun_tINSD_8identityEEEEENSD_19counting_iterator_tIlEES8_S8_S8_S8_S8_S8_S8_S8_EEEEPS9_S9_NSD_9__find_if7functorIS9_EEEE10hipError_tPvRmT1_T2_T3_mT4_P12ihipStream_tbEUlT_E1_NS1_11comp_targetILNS1_3genE10ELNS1_11target_archE1201ELNS1_3gpuE5ELNS1_3repE0EEENS1_30default_config_static_selectorELNS0_4arch9wavefront6targetE0EEEvS14_.num_agpr, 0
	.set _ZN7rocprim17ROCPRIM_400000_NS6detail17trampoline_kernelINS0_14default_configENS1_22reduce_config_selectorIN6thrust23THRUST_200600_302600_NS5tupleIblNS6_9null_typeES8_S8_S8_S8_S8_S8_S8_EEEEZNS1_11reduce_implILb1ES3_NS6_12zip_iteratorINS7_INS6_11hip_rocprim26transform_input_iterator_tIbNSD_35transform_pair_of_input_iterators_tIbNS6_6detail15normal_iteratorINS6_10device_ptrIKdEEEESL_NS6_8equal_toIdEEEENSG_9not_fun_tINSD_8identityEEEEENSD_19counting_iterator_tIlEES8_S8_S8_S8_S8_S8_S8_S8_EEEEPS9_S9_NSD_9__find_if7functorIS9_EEEE10hipError_tPvRmT1_T2_T3_mT4_P12ihipStream_tbEUlT_E1_NS1_11comp_targetILNS1_3genE10ELNS1_11target_archE1201ELNS1_3gpuE5ELNS1_3repE0EEENS1_30default_config_static_selectorELNS0_4arch9wavefront6targetE0EEEvS14_.numbered_sgpr, 0
	.set _ZN7rocprim17ROCPRIM_400000_NS6detail17trampoline_kernelINS0_14default_configENS1_22reduce_config_selectorIN6thrust23THRUST_200600_302600_NS5tupleIblNS6_9null_typeES8_S8_S8_S8_S8_S8_S8_EEEEZNS1_11reduce_implILb1ES3_NS6_12zip_iteratorINS7_INS6_11hip_rocprim26transform_input_iterator_tIbNSD_35transform_pair_of_input_iterators_tIbNS6_6detail15normal_iteratorINS6_10device_ptrIKdEEEESL_NS6_8equal_toIdEEEENSG_9not_fun_tINSD_8identityEEEEENSD_19counting_iterator_tIlEES8_S8_S8_S8_S8_S8_S8_S8_EEEEPS9_S9_NSD_9__find_if7functorIS9_EEEE10hipError_tPvRmT1_T2_T3_mT4_P12ihipStream_tbEUlT_E1_NS1_11comp_targetILNS1_3genE10ELNS1_11target_archE1201ELNS1_3gpuE5ELNS1_3repE0EEENS1_30default_config_static_selectorELNS0_4arch9wavefront6targetE0EEEvS14_.num_named_barrier, 0
	.set _ZN7rocprim17ROCPRIM_400000_NS6detail17trampoline_kernelINS0_14default_configENS1_22reduce_config_selectorIN6thrust23THRUST_200600_302600_NS5tupleIblNS6_9null_typeES8_S8_S8_S8_S8_S8_S8_EEEEZNS1_11reduce_implILb1ES3_NS6_12zip_iteratorINS7_INS6_11hip_rocprim26transform_input_iterator_tIbNSD_35transform_pair_of_input_iterators_tIbNS6_6detail15normal_iteratorINS6_10device_ptrIKdEEEESL_NS6_8equal_toIdEEEENSG_9not_fun_tINSD_8identityEEEEENSD_19counting_iterator_tIlEES8_S8_S8_S8_S8_S8_S8_S8_EEEEPS9_S9_NSD_9__find_if7functorIS9_EEEE10hipError_tPvRmT1_T2_T3_mT4_P12ihipStream_tbEUlT_E1_NS1_11comp_targetILNS1_3genE10ELNS1_11target_archE1201ELNS1_3gpuE5ELNS1_3repE0EEENS1_30default_config_static_selectorELNS0_4arch9wavefront6targetE0EEEvS14_.private_seg_size, 0
	.set _ZN7rocprim17ROCPRIM_400000_NS6detail17trampoline_kernelINS0_14default_configENS1_22reduce_config_selectorIN6thrust23THRUST_200600_302600_NS5tupleIblNS6_9null_typeES8_S8_S8_S8_S8_S8_S8_EEEEZNS1_11reduce_implILb1ES3_NS6_12zip_iteratorINS7_INS6_11hip_rocprim26transform_input_iterator_tIbNSD_35transform_pair_of_input_iterators_tIbNS6_6detail15normal_iteratorINS6_10device_ptrIKdEEEESL_NS6_8equal_toIdEEEENSG_9not_fun_tINSD_8identityEEEEENSD_19counting_iterator_tIlEES8_S8_S8_S8_S8_S8_S8_S8_EEEEPS9_S9_NSD_9__find_if7functorIS9_EEEE10hipError_tPvRmT1_T2_T3_mT4_P12ihipStream_tbEUlT_E1_NS1_11comp_targetILNS1_3genE10ELNS1_11target_archE1201ELNS1_3gpuE5ELNS1_3repE0EEENS1_30default_config_static_selectorELNS0_4arch9wavefront6targetE0EEEvS14_.uses_vcc, 0
	.set _ZN7rocprim17ROCPRIM_400000_NS6detail17trampoline_kernelINS0_14default_configENS1_22reduce_config_selectorIN6thrust23THRUST_200600_302600_NS5tupleIblNS6_9null_typeES8_S8_S8_S8_S8_S8_S8_EEEEZNS1_11reduce_implILb1ES3_NS6_12zip_iteratorINS7_INS6_11hip_rocprim26transform_input_iterator_tIbNSD_35transform_pair_of_input_iterators_tIbNS6_6detail15normal_iteratorINS6_10device_ptrIKdEEEESL_NS6_8equal_toIdEEEENSG_9not_fun_tINSD_8identityEEEEENSD_19counting_iterator_tIlEES8_S8_S8_S8_S8_S8_S8_S8_EEEEPS9_S9_NSD_9__find_if7functorIS9_EEEE10hipError_tPvRmT1_T2_T3_mT4_P12ihipStream_tbEUlT_E1_NS1_11comp_targetILNS1_3genE10ELNS1_11target_archE1201ELNS1_3gpuE5ELNS1_3repE0EEENS1_30default_config_static_selectorELNS0_4arch9wavefront6targetE0EEEvS14_.uses_flat_scratch, 0
	.set _ZN7rocprim17ROCPRIM_400000_NS6detail17trampoline_kernelINS0_14default_configENS1_22reduce_config_selectorIN6thrust23THRUST_200600_302600_NS5tupleIblNS6_9null_typeES8_S8_S8_S8_S8_S8_S8_EEEEZNS1_11reduce_implILb1ES3_NS6_12zip_iteratorINS7_INS6_11hip_rocprim26transform_input_iterator_tIbNSD_35transform_pair_of_input_iterators_tIbNS6_6detail15normal_iteratorINS6_10device_ptrIKdEEEESL_NS6_8equal_toIdEEEENSG_9not_fun_tINSD_8identityEEEEENSD_19counting_iterator_tIlEES8_S8_S8_S8_S8_S8_S8_S8_EEEEPS9_S9_NSD_9__find_if7functorIS9_EEEE10hipError_tPvRmT1_T2_T3_mT4_P12ihipStream_tbEUlT_E1_NS1_11comp_targetILNS1_3genE10ELNS1_11target_archE1201ELNS1_3gpuE5ELNS1_3repE0EEENS1_30default_config_static_selectorELNS0_4arch9wavefront6targetE0EEEvS14_.has_dyn_sized_stack, 0
	.set _ZN7rocprim17ROCPRIM_400000_NS6detail17trampoline_kernelINS0_14default_configENS1_22reduce_config_selectorIN6thrust23THRUST_200600_302600_NS5tupleIblNS6_9null_typeES8_S8_S8_S8_S8_S8_S8_EEEEZNS1_11reduce_implILb1ES3_NS6_12zip_iteratorINS7_INS6_11hip_rocprim26transform_input_iterator_tIbNSD_35transform_pair_of_input_iterators_tIbNS6_6detail15normal_iteratorINS6_10device_ptrIKdEEEESL_NS6_8equal_toIdEEEENSG_9not_fun_tINSD_8identityEEEEENSD_19counting_iterator_tIlEES8_S8_S8_S8_S8_S8_S8_S8_EEEEPS9_S9_NSD_9__find_if7functorIS9_EEEE10hipError_tPvRmT1_T2_T3_mT4_P12ihipStream_tbEUlT_E1_NS1_11comp_targetILNS1_3genE10ELNS1_11target_archE1201ELNS1_3gpuE5ELNS1_3repE0EEENS1_30default_config_static_selectorELNS0_4arch9wavefront6targetE0EEEvS14_.has_recursion, 0
	.set _ZN7rocprim17ROCPRIM_400000_NS6detail17trampoline_kernelINS0_14default_configENS1_22reduce_config_selectorIN6thrust23THRUST_200600_302600_NS5tupleIblNS6_9null_typeES8_S8_S8_S8_S8_S8_S8_EEEEZNS1_11reduce_implILb1ES3_NS6_12zip_iteratorINS7_INS6_11hip_rocprim26transform_input_iterator_tIbNSD_35transform_pair_of_input_iterators_tIbNS6_6detail15normal_iteratorINS6_10device_ptrIKdEEEESL_NS6_8equal_toIdEEEENSG_9not_fun_tINSD_8identityEEEEENSD_19counting_iterator_tIlEES8_S8_S8_S8_S8_S8_S8_S8_EEEEPS9_S9_NSD_9__find_if7functorIS9_EEEE10hipError_tPvRmT1_T2_T3_mT4_P12ihipStream_tbEUlT_E1_NS1_11comp_targetILNS1_3genE10ELNS1_11target_archE1201ELNS1_3gpuE5ELNS1_3repE0EEENS1_30default_config_static_selectorELNS0_4arch9wavefront6targetE0EEEvS14_.has_indirect_call, 0
	.section	.AMDGPU.csdata,"",@progbits
; Kernel info:
; codeLenInByte = 0
; TotalNumSgprs: 0
; NumVgprs: 0
; ScratchSize: 0
; MemoryBound: 0
; FloatMode: 240
; IeeeMode: 1
; LDSByteSize: 0 bytes/workgroup (compile time only)
; SGPRBlocks: 0
; VGPRBlocks: 0
; NumSGPRsForWavesPerEU: 1
; NumVGPRsForWavesPerEU: 1
; NamedBarCnt: 0
; Occupancy: 16
; WaveLimiterHint : 0
; COMPUTE_PGM_RSRC2:SCRATCH_EN: 0
; COMPUTE_PGM_RSRC2:USER_SGPR: 2
; COMPUTE_PGM_RSRC2:TRAP_HANDLER: 0
; COMPUTE_PGM_RSRC2:TGID_X_EN: 1
; COMPUTE_PGM_RSRC2:TGID_Y_EN: 0
; COMPUTE_PGM_RSRC2:TGID_Z_EN: 0
; COMPUTE_PGM_RSRC2:TIDIG_COMP_CNT: 0
	.section	.text._ZN7rocprim17ROCPRIM_400000_NS6detail17trampoline_kernelINS0_14default_configENS1_22reduce_config_selectorIN6thrust23THRUST_200600_302600_NS5tupleIblNS6_9null_typeES8_S8_S8_S8_S8_S8_S8_EEEEZNS1_11reduce_implILb1ES3_NS6_12zip_iteratorINS7_INS6_11hip_rocprim26transform_input_iterator_tIbNSD_35transform_pair_of_input_iterators_tIbNS6_6detail15normal_iteratorINS6_10device_ptrIKdEEEESL_NS6_8equal_toIdEEEENSG_9not_fun_tINSD_8identityEEEEENSD_19counting_iterator_tIlEES8_S8_S8_S8_S8_S8_S8_S8_EEEEPS9_S9_NSD_9__find_if7functorIS9_EEEE10hipError_tPvRmT1_T2_T3_mT4_P12ihipStream_tbEUlT_E1_NS1_11comp_targetILNS1_3genE10ELNS1_11target_archE1200ELNS1_3gpuE4ELNS1_3repE0EEENS1_30default_config_static_selectorELNS0_4arch9wavefront6targetE0EEEvS14_,"axG",@progbits,_ZN7rocprim17ROCPRIM_400000_NS6detail17trampoline_kernelINS0_14default_configENS1_22reduce_config_selectorIN6thrust23THRUST_200600_302600_NS5tupleIblNS6_9null_typeES8_S8_S8_S8_S8_S8_S8_EEEEZNS1_11reduce_implILb1ES3_NS6_12zip_iteratorINS7_INS6_11hip_rocprim26transform_input_iterator_tIbNSD_35transform_pair_of_input_iterators_tIbNS6_6detail15normal_iteratorINS6_10device_ptrIKdEEEESL_NS6_8equal_toIdEEEENSG_9not_fun_tINSD_8identityEEEEENSD_19counting_iterator_tIlEES8_S8_S8_S8_S8_S8_S8_S8_EEEEPS9_S9_NSD_9__find_if7functorIS9_EEEE10hipError_tPvRmT1_T2_T3_mT4_P12ihipStream_tbEUlT_E1_NS1_11comp_targetILNS1_3genE10ELNS1_11target_archE1200ELNS1_3gpuE4ELNS1_3repE0EEENS1_30default_config_static_selectorELNS0_4arch9wavefront6targetE0EEEvS14_,comdat
	.protected	_ZN7rocprim17ROCPRIM_400000_NS6detail17trampoline_kernelINS0_14default_configENS1_22reduce_config_selectorIN6thrust23THRUST_200600_302600_NS5tupleIblNS6_9null_typeES8_S8_S8_S8_S8_S8_S8_EEEEZNS1_11reduce_implILb1ES3_NS6_12zip_iteratorINS7_INS6_11hip_rocprim26transform_input_iterator_tIbNSD_35transform_pair_of_input_iterators_tIbNS6_6detail15normal_iteratorINS6_10device_ptrIKdEEEESL_NS6_8equal_toIdEEEENSG_9not_fun_tINSD_8identityEEEEENSD_19counting_iterator_tIlEES8_S8_S8_S8_S8_S8_S8_S8_EEEEPS9_S9_NSD_9__find_if7functorIS9_EEEE10hipError_tPvRmT1_T2_T3_mT4_P12ihipStream_tbEUlT_E1_NS1_11comp_targetILNS1_3genE10ELNS1_11target_archE1200ELNS1_3gpuE4ELNS1_3repE0EEENS1_30default_config_static_selectorELNS0_4arch9wavefront6targetE0EEEvS14_ ; -- Begin function _ZN7rocprim17ROCPRIM_400000_NS6detail17trampoline_kernelINS0_14default_configENS1_22reduce_config_selectorIN6thrust23THRUST_200600_302600_NS5tupleIblNS6_9null_typeES8_S8_S8_S8_S8_S8_S8_EEEEZNS1_11reduce_implILb1ES3_NS6_12zip_iteratorINS7_INS6_11hip_rocprim26transform_input_iterator_tIbNSD_35transform_pair_of_input_iterators_tIbNS6_6detail15normal_iteratorINS6_10device_ptrIKdEEEESL_NS6_8equal_toIdEEEENSG_9not_fun_tINSD_8identityEEEEENSD_19counting_iterator_tIlEES8_S8_S8_S8_S8_S8_S8_S8_EEEEPS9_S9_NSD_9__find_if7functorIS9_EEEE10hipError_tPvRmT1_T2_T3_mT4_P12ihipStream_tbEUlT_E1_NS1_11comp_targetILNS1_3genE10ELNS1_11target_archE1200ELNS1_3gpuE4ELNS1_3repE0EEENS1_30default_config_static_selectorELNS0_4arch9wavefront6targetE0EEEvS14_
	.globl	_ZN7rocprim17ROCPRIM_400000_NS6detail17trampoline_kernelINS0_14default_configENS1_22reduce_config_selectorIN6thrust23THRUST_200600_302600_NS5tupleIblNS6_9null_typeES8_S8_S8_S8_S8_S8_S8_EEEEZNS1_11reduce_implILb1ES3_NS6_12zip_iteratorINS7_INS6_11hip_rocprim26transform_input_iterator_tIbNSD_35transform_pair_of_input_iterators_tIbNS6_6detail15normal_iteratorINS6_10device_ptrIKdEEEESL_NS6_8equal_toIdEEEENSG_9not_fun_tINSD_8identityEEEEENSD_19counting_iterator_tIlEES8_S8_S8_S8_S8_S8_S8_S8_EEEEPS9_S9_NSD_9__find_if7functorIS9_EEEE10hipError_tPvRmT1_T2_T3_mT4_P12ihipStream_tbEUlT_E1_NS1_11comp_targetILNS1_3genE10ELNS1_11target_archE1200ELNS1_3gpuE4ELNS1_3repE0EEENS1_30default_config_static_selectorELNS0_4arch9wavefront6targetE0EEEvS14_
	.p2align	8
	.type	_ZN7rocprim17ROCPRIM_400000_NS6detail17trampoline_kernelINS0_14default_configENS1_22reduce_config_selectorIN6thrust23THRUST_200600_302600_NS5tupleIblNS6_9null_typeES8_S8_S8_S8_S8_S8_S8_EEEEZNS1_11reduce_implILb1ES3_NS6_12zip_iteratorINS7_INS6_11hip_rocprim26transform_input_iterator_tIbNSD_35transform_pair_of_input_iterators_tIbNS6_6detail15normal_iteratorINS6_10device_ptrIKdEEEESL_NS6_8equal_toIdEEEENSG_9not_fun_tINSD_8identityEEEEENSD_19counting_iterator_tIlEES8_S8_S8_S8_S8_S8_S8_S8_EEEEPS9_S9_NSD_9__find_if7functorIS9_EEEE10hipError_tPvRmT1_T2_T3_mT4_P12ihipStream_tbEUlT_E1_NS1_11comp_targetILNS1_3genE10ELNS1_11target_archE1200ELNS1_3gpuE4ELNS1_3repE0EEENS1_30default_config_static_selectorELNS0_4arch9wavefront6targetE0EEEvS14_,@function
_ZN7rocprim17ROCPRIM_400000_NS6detail17trampoline_kernelINS0_14default_configENS1_22reduce_config_selectorIN6thrust23THRUST_200600_302600_NS5tupleIblNS6_9null_typeES8_S8_S8_S8_S8_S8_S8_EEEEZNS1_11reduce_implILb1ES3_NS6_12zip_iteratorINS7_INS6_11hip_rocprim26transform_input_iterator_tIbNSD_35transform_pair_of_input_iterators_tIbNS6_6detail15normal_iteratorINS6_10device_ptrIKdEEEESL_NS6_8equal_toIdEEEENSG_9not_fun_tINSD_8identityEEEEENSD_19counting_iterator_tIlEES8_S8_S8_S8_S8_S8_S8_S8_EEEEPS9_S9_NSD_9__find_if7functorIS9_EEEE10hipError_tPvRmT1_T2_T3_mT4_P12ihipStream_tbEUlT_E1_NS1_11comp_targetILNS1_3genE10ELNS1_11target_archE1200ELNS1_3gpuE4ELNS1_3repE0EEENS1_30default_config_static_selectorELNS0_4arch9wavefront6targetE0EEEvS14_: ; @_ZN7rocprim17ROCPRIM_400000_NS6detail17trampoline_kernelINS0_14default_configENS1_22reduce_config_selectorIN6thrust23THRUST_200600_302600_NS5tupleIblNS6_9null_typeES8_S8_S8_S8_S8_S8_S8_EEEEZNS1_11reduce_implILb1ES3_NS6_12zip_iteratorINS7_INS6_11hip_rocprim26transform_input_iterator_tIbNSD_35transform_pair_of_input_iterators_tIbNS6_6detail15normal_iteratorINS6_10device_ptrIKdEEEESL_NS6_8equal_toIdEEEENSG_9not_fun_tINSD_8identityEEEEENSD_19counting_iterator_tIlEES8_S8_S8_S8_S8_S8_S8_S8_EEEEPS9_S9_NSD_9__find_if7functorIS9_EEEE10hipError_tPvRmT1_T2_T3_mT4_P12ihipStream_tbEUlT_E1_NS1_11comp_targetILNS1_3genE10ELNS1_11target_archE1200ELNS1_3gpuE4ELNS1_3repE0EEENS1_30default_config_static_selectorELNS0_4arch9wavefront6targetE0EEEvS14_
; %bb.0:
	.section	.rodata,"a",@progbits
	.p2align	6, 0x0
	.amdhsa_kernel _ZN7rocprim17ROCPRIM_400000_NS6detail17trampoline_kernelINS0_14default_configENS1_22reduce_config_selectorIN6thrust23THRUST_200600_302600_NS5tupleIblNS6_9null_typeES8_S8_S8_S8_S8_S8_S8_EEEEZNS1_11reduce_implILb1ES3_NS6_12zip_iteratorINS7_INS6_11hip_rocprim26transform_input_iterator_tIbNSD_35transform_pair_of_input_iterators_tIbNS6_6detail15normal_iteratorINS6_10device_ptrIKdEEEESL_NS6_8equal_toIdEEEENSG_9not_fun_tINSD_8identityEEEEENSD_19counting_iterator_tIlEES8_S8_S8_S8_S8_S8_S8_S8_EEEEPS9_S9_NSD_9__find_if7functorIS9_EEEE10hipError_tPvRmT1_T2_T3_mT4_P12ihipStream_tbEUlT_E1_NS1_11comp_targetILNS1_3genE10ELNS1_11target_archE1200ELNS1_3gpuE4ELNS1_3repE0EEENS1_30default_config_static_selectorELNS0_4arch9wavefront6targetE0EEEvS14_
		.amdhsa_group_segment_fixed_size 0
		.amdhsa_private_segment_fixed_size 0
		.amdhsa_kernarg_size 88
		.amdhsa_user_sgpr_count 2
		.amdhsa_user_sgpr_dispatch_ptr 0
		.amdhsa_user_sgpr_queue_ptr 0
		.amdhsa_user_sgpr_kernarg_segment_ptr 1
		.amdhsa_user_sgpr_dispatch_id 0
		.amdhsa_user_sgpr_kernarg_preload_length 0
		.amdhsa_user_sgpr_kernarg_preload_offset 0
		.amdhsa_user_sgpr_private_segment_size 0
		.amdhsa_wavefront_size32 1
		.amdhsa_uses_dynamic_stack 0
		.amdhsa_enable_private_segment 0
		.amdhsa_system_sgpr_workgroup_id_x 1
		.amdhsa_system_sgpr_workgroup_id_y 0
		.amdhsa_system_sgpr_workgroup_id_z 0
		.amdhsa_system_sgpr_workgroup_info 0
		.amdhsa_system_vgpr_workitem_id 0
		.amdhsa_next_free_vgpr 1
		.amdhsa_next_free_sgpr 1
		.amdhsa_named_barrier_count 0
		.amdhsa_reserve_vcc 0
		.amdhsa_float_round_mode_32 0
		.amdhsa_float_round_mode_16_64 0
		.amdhsa_float_denorm_mode_32 3
		.amdhsa_float_denorm_mode_16_64 3
		.amdhsa_fp16_overflow 0
		.amdhsa_memory_ordered 1
		.amdhsa_forward_progress 1
		.amdhsa_inst_pref_size 0
		.amdhsa_round_robin_scheduling 0
		.amdhsa_exception_fp_ieee_invalid_op 0
		.amdhsa_exception_fp_denorm_src 0
		.amdhsa_exception_fp_ieee_div_zero 0
		.amdhsa_exception_fp_ieee_overflow 0
		.amdhsa_exception_fp_ieee_underflow 0
		.amdhsa_exception_fp_ieee_inexact 0
		.amdhsa_exception_int_div_zero 0
	.end_amdhsa_kernel
	.section	.text._ZN7rocprim17ROCPRIM_400000_NS6detail17trampoline_kernelINS0_14default_configENS1_22reduce_config_selectorIN6thrust23THRUST_200600_302600_NS5tupleIblNS6_9null_typeES8_S8_S8_S8_S8_S8_S8_EEEEZNS1_11reduce_implILb1ES3_NS6_12zip_iteratorINS7_INS6_11hip_rocprim26transform_input_iterator_tIbNSD_35transform_pair_of_input_iterators_tIbNS6_6detail15normal_iteratorINS6_10device_ptrIKdEEEESL_NS6_8equal_toIdEEEENSG_9not_fun_tINSD_8identityEEEEENSD_19counting_iterator_tIlEES8_S8_S8_S8_S8_S8_S8_S8_EEEEPS9_S9_NSD_9__find_if7functorIS9_EEEE10hipError_tPvRmT1_T2_T3_mT4_P12ihipStream_tbEUlT_E1_NS1_11comp_targetILNS1_3genE10ELNS1_11target_archE1200ELNS1_3gpuE4ELNS1_3repE0EEENS1_30default_config_static_selectorELNS0_4arch9wavefront6targetE0EEEvS14_,"axG",@progbits,_ZN7rocprim17ROCPRIM_400000_NS6detail17trampoline_kernelINS0_14default_configENS1_22reduce_config_selectorIN6thrust23THRUST_200600_302600_NS5tupleIblNS6_9null_typeES8_S8_S8_S8_S8_S8_S8_EEEEZNS1_11reduce_implILb1ES3_NS6_12zip_iteratorINS7_INS6_11hip_rocprim26transform_input_iterator_tIbNSD_35transform_pair_of_input_iterators_tIbNS6_6detail15normal_iteratorINS6_10device_ptrIKdEEEESL_NS6_8equal_toIdEEEENSG_9not_fun_tINSD_8identityEEEEENSD_19counting_iterator_tIlEES8_S8_S8_S8_S8_S8_S8_S8_EEEEPS9_S9_NSD_9__find_if7functorIS9_EEEE10hipError_tPvRmT1_T2_T3_mT4_P12ihipStream_tbEUlT_E1_NS1_11comp_targetILNS1_3genE10ELNS1_11target_archE1200ELNS1_3gpuE4ELNS1_3repE0EEENS1_30default_config_static_selectorELNS0_4arch9wavefront6targetE0EEEvS14_,comdat
.Lfunc_end52:
	.size	_ZN7rocprim17ROCPRIM_400000_NS6detail17trampoline_kernelINS0_14default_configENS1_22reduce_config_selectorIN6thrust23THRUST_200600_302600_NS5tupleIblNS6_9null_typeES8_S8_S8_S8_S8_S8_S8_EEEEZNS1_11reduce_implILb1ES3_NS6_12zip_iteratorINS7_INS6_11hip_rocprim26transform_input_iterator_tIbNSD_35transform_pair_of_input_iterators_tIbNS6_6detail15normal_iteratorINS6_10device_ptrIKdEEEESL_NS6_8equal_toIdEEEENSG_9not_fun_tINSD_8identityEEEEENSD_19counting_iterator_tIlEES8_S8_S8_S8_S8_S8_S8_S8_EEEEPS9_S9_NSD_9__find_if7functorIS9_EEEE10hipError_tPvRmT1_T2_T3_mT4_P12ihipStream_tbEUlT_E1_NS1_11comp_targetILNS1_3genE10ELNS1_11target_archE1200ELNS1_3gpuE4ELNS1_3repE0EEENS1_30default_config_static_selectorELNS0_4arch9wavefront6targetE0EEEvS14_, .Lfunc_end52-_ZN7rocprim17ROCPRIM_400000_NS6detail17trampoline_kernelINS0_14default_configENS1_22reduce_config_selectorIN6thrust23THRUST_200600_302600_NS5tupleIblNS6_9null_typeES8_S8_S8_S8_S8_S8_S8_EEEEZNS1_11reduce_implILb1ES3_NS6_12zip_iteratorINS7_INS6_11hip_rocprim26transform_input_iterator_tIbNSD_35transform_pair_of_input_iterators_tIbNS6_6detail15normal_iteratorINS6_10device_ptrIKdEEEESL_NS6_8equal_toIdEEEENSG_9not_fun_tINSD_8identityEEEEENSD_19counting_iterator_tIlEES8_S8_S8_S8_S8_S8_S8_S8_EEEEPS9_S9_NSD_9__find_if7functorIS9_EEEE10hipError_tPvRmT1_T2_T3_mT4_P12ihipStream_tbEUlT_E1_NS1_11comp_targetILNS1_3genE10ELNS1_11target_archE1200ELNS1_3gpuE4ELNS1_3repE0EEENS1_30default_config_static_selectorELNS0_4arch9wavefront6targetE0EEEvS14_
                                        ; -- End function
	.set _ZN7rocprim17ROCPRIM_400000_NS6detail17trampoline_kernelINS0_14default_configENS1_22reduce_config_selectorIN6thrust23THRUST_200600_302600_NS5tupleIblNS6_9null_typeES8_S8_S8_S8_S8_S8_S8_EEEEZNS1_11reduce_implILb1ES3_NS6_12zip_iteratorINS7_INS6_11hip_rocprim26transform_input_iterator_tIbNSD_35transform_pair_of_input_iterators_tIbNS6_6detail15normal_iteratorINS6_10device_ptrIKdEEEESL_NS6_8equal_toIdEEEENSG_9not_fun_tINSD_8identityEEEEENSD_19counting_iterator_tIlEES8_S8_S8_S8_S8_S8_S8_S8_EEEEPS9_S9_NSD_9__find_if7functorIS9_EEEE10hipError_tPvRmT1_T2_T3_mT4_P12ihipStream_tbEUlT_E1_NS1_11comp_targetILNS1_3genE10ELNS1_11target_archE1200ELNS1_3gpuE4ELNS1_3repE0EEENS1_30default_config_static_selectorELNS0_4arch9wavefront6targetE0EEEvS14_.num_vgpr, 0
	.set _ZN7rocprim17ROCPRIM_400000_NS6detail17trampoline_kernelINS0_14default_configENS1_22reduce_config_selectorIN6thrust23THRUST_200600_302600_NS5tupleIblNS6_9null_typeES8_S8_S8_S8_S8_S8_S8_EEEEZNS1_11reduce_implILb1ES3_NS6_12zip_iteratorINS7_INS6_11hip_rocprim26transform_input_iterator_tIbNSD_35transform_pair_of_input_iterators_tIbNS6_6detail15normal_iteratorINS6_10device_ptrIKdEEEESL_NS6_8equal_toIdEEEENSG_9not_fun_tINSD_8identityEEEEENSD_19counting_iterator_tIlEES8_S8_S8_S8_S8_S8_S8_S8_EEEEPS9_S9_NSD_9__find_if7functorIS9_EEEE10hipError_tPvRmT1_T2_T3_mT4_P12ihipStream_tbEUlT_E1_NS1_11comp_targetILNS1_3genE10ELNS1_11target_archE1200ELNS1_3gpuE4ELNS1_3repE0EEENS1_30default_config_static_selectorELNS0_4arch9wavefront6targetE0EEEvS14_.num_agpr, 0
	.set _ZN7rocprim17ROCPRIM_400000_NS6detail17trampoline_kernelINS0_14default_configENS1_22reduce_config_selectorIN6thrust23THRUST_200600_302600_NS5tupleIblNS6_9null_typeES8_S8_S8_S8_S8_S8_S8_EEEEZNS1_11reduce_implILb1ES3_NS6_12zip_iteratorINS7_INS6_11hip_rocprim26transform_input_iterator_tIbNSD_35transform_pair_of_input_iterators_tIbNS6_6detail15normal_iteratorINS6_10device_ptrIKdEEEESL_NS6_8equal_toIdEEEENSG_9not_fun_tINSD_8identityEEEEENSD_19counting_iterator_tIlEES8_S8_S8_S8_S8_S8_S8_S8_EEEEPS9_S9_NSD_9__find_if7functorIS9_EEEE10hipError_tPvRmT1_T2_T3_mT4_P12ihipStream_tbEUlT_E1_NS1_11comp_targetILNS1_3genE10ELNS1_11target_archE1200ELNS1_3gpuE4ELNS1_3repE0EEENS1_30default_config_static_selectorELNS0_4arch9wavefront6targetE0EEEvS14_.numbered_sgpr, 0
	.set _ZN7rocprim17ROCPRIM_400000_NS6detail17trampoline_kernelINS0_14default_configENS1_22reduce_config_selectorIN6thrust23THRUST_200600_302600_NS5tupleIblNS6_9null_typeES8_S8_S8_S8_S8_S8_S8_EEEEZNS1_11reduce_implILb1ES3_NS6_12zip_iteratorINS7_INS6_11hip_rocprim26transform_input_iterator_tIbNSD_35transform_pair_of_input_iterators_tIbNS6_6detail15normal_iteratorINS6_10device_ptrIKdEEEESL_NS6_8equal_toIdEEEENSG_9not_fun_tINSD_8identityEEEEENSD_19counting_iterator_tIlEES8_S8_S8_S8_S8_S8_S8_S8_EEEEPS9_S9_NSD_9__find_if7functorIS9_EEEE10hipError_tPvRmT1_T2_T3_mT4_P12ihipStream_tbEUlT_E1_NS1_11comp_targetILNS1_3genE10ELNS1_11target_archE1200ELNS1_3gpuE4ELNS1_3repE0EEENS1_30default_config_static_selectorELNS0_4arch9wavefront6targetE0EEEvS14_.num_named_barrier, 0
	.set _ZN7rocprim17ROCPRIM_400000_NS6detail17trampoline_kernelINS0_14default_configENS1_22reduce_config_selectorIN6thrust23THRUST_200600_302600_NS5tupleIblNS6_9null_typeES8_S8_S8_S8_S8_S8_S8_EEEEZNS1_11reduce_implILb1ES3_NS6_12zip_iteratorINS7_INS6_11hip_rocprim26transform_input_iterator_tIbNSD_35transform_pair_of_input_iterators_tIbNS6_6detail15normal_iteratorINS6_10device_ptrIKdEEEESL_NS6_8equal_toIdEEEENSG_9not_fun_tINSD_8identityEEEEENSD_19counting_iterator_tIlEES8_S8_S8_S8_S8_S8_S8_S8_EEEEPS9_S9_NSD_9__find_if7functorIS9_EEEE10hipError_tPvRmT1_T2_T3_mT4_P12ihipStream_tbEUlT_E1_NS1_11comp_targetILNS1_3genE10ELNS1_11target_archE1200ELNS1_3gpuE4ELNS1_3repE0EEENS1_30default_config_static_selectorELNS0_4arch9wavefront6targetE0EEEvS14_.private_seg_size, 0
	.set _ZN7rocprim17ROCPRIM_400000_NS6detail17trampoline_kernelINS0_14default_configENS1_22reduce_config_selectorIN6thrust23THRUST_200600_302600_NS5tupleIblNS6_9null_typeES8_S8_S8_S8_S8_S8_S8_EEEEZNS1_11reduce_implILb1ES3_NS6_12zip_iteratorINS7_INS6_11hip_rocprim26transform_input_iterator_tIbNSD_35transform_pair_of_input_iterators_tIbNS6_6detail15normal_iteratorINS6_10device_ptrIKdEEEESL_NS6_8equal_toIdEEEENSG_9not_fun_tINSD_8identityEEEEENSD_19counting_iterator_tIlEES8_S8_S8_S8_S8_S8_S8_S8_EEEEPS9_S9_NSD_9__find_if7functorIS9_EEEE10hipError_tPvRmT1_T2_T3_mT4_P12ihipStream_tbEUlT_E1_NS1_11comp_targetILNS1_3genE10ELNS1_11target_archE1200ELNS1_3gpuE4ELNS1_3repE0EEENS1_30default_config_static_selectorELNS0_4arch9wavefront6targetE0EEEvS14_.uses_vcc, 0
	.set _ZN7rocprim17ROCPRIM_400000_NS6detail17trampoline_kernelINS0_14default_configENS1_22reduce_config_selectorIN6thrust23THRUST_200600_302600_NS5tupleIblNS6_9null_typeES8_S8_S8_S8_S8_S8_S8_EEEEZNS1_11reduce_implILb1ES3_NS6_12zip_iteratorINS7_INS6_11hip_rocprim26transform_input_iterator_tIbNSD_35transform_pair_of_input_iterators_tIbNS6_6detail15normal_iteratorINS6_10device_ptrIKdEEEESL_NS6_8equal_toIdEEEENSG_9not_fun_tINSD_8identityEEEEENSD_19counting_iterator_tIlEES8_S8_S8_S8_S8_S8_S8_S8_EEEEPS9_S9_NSD_9__find_if7functorIS9_EEEE10hipError_tPvRmT1_T2_T3_mT4_P12ihipStream_tbEUlT_E1_NS1_11comp_targetILNS1_3genE10ELNS1_11target_archE1200ELNS1_3gpuE4ELNS1_3repE0EEENS1_30default_config_static_selectorELNS0_4arch9wavefront6targetE0EEEvS14_.uses_flat_scratch, 0
	.set _ZN7rocprim17ROCPRIM_400000_NS6detail17trampoline_kernelINS0_14default_configENS1_22reduce_config_selectorIN6thrust23THRUST_200600_302600_NS5tupleIblNS6_9null_typeES8_S8_S8_S8_S8_S8_S8_EEEEZNS1_11reduce_implILb1ES3_NS6_12zip_iteratorINS7_INS6_11hip_rocprim26transform_input_iterator_tIbNSD_35transform_pair_of_input_iterators_tIbNS6_6detail15normal_iteratorINS6_10device_ptrIKdEEEESL_NS6_8equal_toIdEEEENSG_9not_fun_tINSD_8identityEEEEENSD_19counting_iterator_tIlEES8_S8_S8_S8_S8_S8_S8_S8_EEEEPS9_S9_NSD_9__find_if7functorIS9_EEEE10hipError_tPvRmT1_T2_T3_mT4_P12ihipStream_tbEUlT_E1_NS1_11comp_targetILNS1_3genE10ELNS1_11target_archE1200ELNS1_3gpuE4ELNS1_3repE0EEENS1_30default_config_static_selectorELNS0_4arch9wavefront6targetE0EEEvS14_.has_dyn_sized_stack, 0
	.set _ZN7rocprim17ROCPRIM_400000_NS6detail17trampoline_kernelINS0_14default_configENS1_22reduce_config_selectorIN6thrust23THRUST_200600_302600_NS5tupleIblNS6_9null_typeES8_S8_S8_S8_S8_S8_S8_EEEEZNS1_11reduce_implILb1ES3_NS6_12zip_iteratorINS7_INS6_11hip_rocprim26transform_input_iterator_tIbNSD_35transform_pair_of_input_iterators_tIbNS6_6detail15normal_iteratorINS6_10device_ptrIKdEEEESL_NS6_8equal_toIdEEEENSG_9not_fun_tINSD_8identityEEEEENSD_19counting_iterator_tIlEES8_S8_S8_S8_S8_S8_S8_S8_EEEEPS9_S9_NSD_9__find_if7functorIS9_EEEE10hipError_tPvRmT1_T2_T3_mT4_P12ihipStream_tbEUlT_E1_NS1_11comp_targetILNS1_3genE10ELNS1_11target_archE1200ELNS1_3gpuE4ELNS1_3repE0EEENS1_30default_config_static_selectorELNS0_4arch9wavefront6targetE0EEEvS14_.has_recursion, 0
	.set _ZN7rocprim17ROCPRIM_400000_NS6detail17trampoline_kernelINS0_14default_configENS1_22reduce_config_selectorIN6thrust23THRUST_200600_302600_NS5tupleIblNS6_9null_typeES8_S8_S8_S8_S8_S8_S8_EEEEZNS1_11reduce_implILb1ES3_NS6_12zip_iteratorINS7_INS6_11hip_rocprim26transform_input_iterator_tIbNSD_35transform_pair_of_input_iterators_tIbNS6_6detail15normal_iteratorINS6_10device_ptrIKdEEEESL_NS6_8equal_toIdEEEENSG_9not_fun_tINSD_8identityEEEEENSD_19counting_iterator_tIlEES8_S8_S8_S8_S8_S8_S8_S8_EEEEPS9_S9_NSD_9__find_if7functorIS9_EEEE10hipError_tPvRmT1_T2_T3_mT4_P12ihipStream_tbEUlT_E1_NS1_11comp_targetILNS1_3genE10ELNS1_11target_archE1200ELNS1_3gpuE4ELNS1_3repE0EEENS1_30default_config_static_selectorELNS0_4arch9wavefront6targetE0EEEvS14_.has_indirect_call, 0
	.section	.AMDGPU.csdata,"",@progbits
; Kernel info:
; codeLenInByte = 0
; TotalNumSgprs: 0
; NumVgprs: 0
; ScratchSize: 0
; MemoryBound: 0
; FloatMode: 240
; IeeeMode: 1
; LDSByteSize: 0 bytes/workgroup (compile time only)
; SGPRBlocks: 0
; VGPRBlocks: 0
; NumSGPRsForWavesPerEU: 1
; NumVGPRsForWavesPerEU: 1
; NamedBarCnt: 0
; Occupancy: 16
; WaveLimiterHint : 0
; COMPUTE_PGM_RSRC2:SCRATCH_EN: 0
; COMPUTE_PGM_RSRC2:USER_SGPR: 2
; COMPUTE_PGM_RSRC2:TRAP_HANDLER: 0
; COMPUTE_PGM_RSRC2:TGID_X_EN: 1
; COMPUTE_PGM_RSRC2:TGID_Y_EN: 0
; COMPUTE_PGM_RSRC2:TGID_Z_EN: 0
; COMPUTE_PGM_RSRC2:TIDIG_COMP_CNT: 0
	.section	.text._ZN7rocprim17ROCPRIM_400000_NS6detail17trampoline_kernelINS0_14default_configENS1_22reduce_config_selectorIN6thrust23THRUST_200600_302600_NS5tupleIblNS6_9null_typeES8_S8_S8_S8_S8_S8_S8_EEEEZNS1_11reduce_implILb1ES3_NS6_12zip_iteratorINS7_INS6_11hip_rocprim26transform_input_iterator_tIbNSD_35transform_pair_of_input_iterators_tIbNS6_6detail15normal_iteratorINS6_10device_ptrIKdEEEESL_NS6_8equal_toIdEEEENSG_9not_fun_tINSD_8identityEEEEENSD_19counting_iterator_tIlEES8_S8_S8_S8_S8_S8_S8_S8_EEEEPS9_S9_NSD_9__find_if7functorIS9_EEEE10hipError_tPvRmT1_T2_T3_mT4_P12ihipStream_tbEUlT_E1_NS1_11comp_targetILNS1_3genE9ELNS1_11target_archE1100ELNS1_3gpuE3ELNS1_3repE0EEENS1_30default_config_static_selectorELNS0_4arch9wavefront6targetE0EEEvS14_,"axG",@progbits,_ZN7rocprim17ROCPRIM_400000_NS6detail17trampoline_kernelINS0_14default_configENS1_22reduce_config_selectorIN6thrust23THRUST_200600_302600_NS5tupleIblNS6_9null_typeES8_S8_S8_S8_S8_S8_S8_EEEEZNS1_11reduce_implILb1ES3_NS6_12zip_iteratorINS7_INS6_11hip_rocprim26transform_input_iterator_tIbNSD_35transform_pair_of_input_iterators_tIbNS6_6detail15normal_iteratorINS6_10device_ptrIKdEEEESL_NS6_8equal_toIdEEEENSG_9not_fun_tINSD_8identityEEEEENSD_19counting_iterator_tIlEES8_S8_S8_S8_S8_S8_S8_S8_EEEEPS9_S9_NSD_9__find_if7functorIS9_EEEE10hipError_tPvRmT1_T2_T3_mT4_P12ihipStream_tbEUlT_E1_NS1_11comp_targetILNS1_3genE9ELNS1_11target_archE1100ELNS1_3gpuE3ELNS1_3repE0EEENS1_30default_config_static_selectorELNS0_4arch9wavefront6targetE0EEEvS14_,comdat
	.protected	_ZN7rocprim17ROCPRIM_400000_NS6detail17trampoline_kernelINS0_14default_configENS1_22reduce_config_selectorIN6thrust23THRUST_200600_302600_NS5tupleIblNS6_9null_typeES8_S8_S8_S8_S8_S8_S8_EEEEZNS1_11reduce_implILb1ES3_NS6_12zip_iteratorINS7_INS6_11hip_rocprim26transform_input_iterator_tIbNSD_35transform_pair_of_input_iterators_tIbNS6_6detail15normal_iteratorINS6_10device_ptrIKdEEEESL_NS6_8equal_toIdEEEENSG_9not_fun_tINSD_8identityEEEEENSD_19counting_iterator_tIlEES8_S8_S8_S8_S8_S8_S8_S8_EEEEPS9_S9_NSD_9__find_if7functorIS9_EEEE10hipError_tPvRmT1_T2_T3_mT4_P12ihipStream_tbEUlT_E1_NS1_11comp_targetILNS1_3genE9ELNS1_11target_archE1100ELNS1_3gpuE3ELNS1_3repE0EEENS1_30default_config_static_selectorELNS0_4arch9wavefront6targetE0EEEvS14_ ; -- Begin function _ZN7rocprim17ROCPRIM_400000_NS6detail17trampoline_kernelINS0_14default_configENS1_22reduce_config_selectorIN6thrust23THRUST_200600_302600_NS5tupleIblNS6_9null_typeES8_S8_S8_S8_S8_S8_S8_EEEEZNS1_11reduce_implILb1ES3_NS6_12zip_iteratorINS7_INS6_11hip_rocprim26transform_input_iterator_tIbNSD_35transform_pair_of_input_iterators_tIbNS6_6detail15normal_iteratorINS6_10device_ptrIKdEEEESL_NS6_8equal_toIdEEEENSG_9not_fun_tINSD_8identityEEEEENSD_19counting_iterator_tIlEES8_S8_S8_S8_S8_S8_S8_S8_EEEEPS9_S9_NSD_9__find_if7functorIS9_EEEE10hipError_tPvRmT1_T2_T3_mT4_P12ihipStream_tbEUlT_E1_NS1_11comp_targetILNS1_3genE9ELNS1_11target_archE1100ELNS1_3gpuE3ELNS1_3repE0EEENS1_30default_config_static_selectorELNS0_4arch9wavefront6targetE0EEEvS14_
	.globl	_ZN7rocprim17ROCPRIM_400000_NS6detail17trampoline_kernelINS0_14default_configENS1_22reduce_config_selectorIN6thrust23THRUST_200600_302600_NS5tupleIblNS6_9null_typeES8_S8_S8_S8_S8_S8_S8_EEEEZNS1_11reduce_implILb1ES3_NS6_12zip_iteratorINS7_INS6_11hip_rocprim26transform_input_iterator_tIbNSD_35transform_pair_of_input_iterators_tIbNS6_6detail15normal_iteratorINS6_10device_ptrIKdEEEESL_NS6_8equal_toIdEEEENSG_9not_fun_tINSD_8identityEEEEENSD_19counting_iterator_tIlEES8_S8_S8_S8_S8_S8_S8_S8_EEEEPS9_S9_NSD_9__find_if7functorIS9_EEEE10hipError_tPvRmT1_T2_T3_mT4_P12ihipStream_tbEUlT_E1_NS1_11comp_targetILNS1_3genE9ELNS1_11target_archE1100ELNS1_3gpuE3ELNS1_3repE0EEENS1_30default_config_static_selectorELNS0_4arch9wavefront6targetE0EEEvS14_
	.p2align	8
	.type	_ZN7rocprim17ROCPRIM_400000_NS6detail17trampoline_kernelINS0_14default_configENS1_22reduce_config_selectorIN6thrust23THRUST_200600_302600_NS5tupleIblNS6_9null_typeES8_S8_S8_S8_S8_S8_S8_EEEEZNS1_11reduce_implILb1ES3_NS6_12zip_iteratorINS7_INS6_11hip_rocprim26transform_input_iterator_tIbNSD_35transform_pair_of_input_iterators_tIbNS6_6detail15normal_iteratorINS6_10device_ptrIKdEEEESL_NS6_8equal_toIdEEEENSG_9not_fun_tINSD_8identityEEEEENSD_19counting_iterator_tIlEES8_S8_S8_S8_S8_S8_S8_S8_EEEEPS9_S9_NSD_9__find_if7functorIS9_EEEE10hipError_tPvRmT1_T2_T3_mT4_P12ihipStream_tbEUlT_E1_NS1_11comp_targetILNS1_3genE9ELNS1_11target_archE1100ELNS1_3gpuE3ELNS1_3repE0EEENS1_30default_config_static_selectorELNS0_4arch9wavefront6targetE0EEEvS14_,@function
_ZN7rocprim17ROCPRIM_400000_NS6detail17trampoline_kernelINS0_14default_configENS1_22reduce_config_selectorIN6thrust23THRUST_200600_302600_NS5tupleIblNS6_9null_typeES8_S8_S8_S8_S8_S8_S8_EEEEZNS1_11reduce_implILb1ES3_NS6_12zip_iteratorINS7_INS6_11hip_rocprim26transform_input_iterator_tIbNSD_35transform_pair_of_input_iterators_tIbNS6_6detail15normal_iteratorINS6_10device_ptrIKdEEEESL_NS6_8equal_toIdEEEENSG_9not_fun_tINSD_8identityEEEEENSD_19counting_iterator_tIlEES8_S8_S8_S8_S8_S8_S8_S8_EEEEPS9_S9_NSD_9__find_if7functorIS9_EEEE10hipError_tPvRmT1_T2_T3_mT4_P12ihipStream_tbEUlT_E1_NS1_11comp_targetILNS1_3genE9ELNS1_11target_archE1100ELNS1_3gpuE3ELNS1_3repE0EEENS1_30default_config_static_selectorELNS0_4arch9wavefront6targetE0EEEvS14_: ; @_ZN7rocprim17ROCPRIM_400000_NS6detail17trampoline_kernelINS0_14default_configENS1_22reduce_config_selectorIN6thrust23THRUST_200600_302600_NS5tupleIblNS6_9null_typeES8_S8_S8_S8_S8_S8_S8_EEEEZNS1_11reduce_implILb1ES3_NS6_12zip_iteratorINS7_INS6_11hip_rocprim26transform_input_iterator_tIbNSD_35transform_pair_of_input_iterators_tIbNS6_6detail15normal_iteratorINS6_10device_ptrIKdEEEESL_NS6_8equal_toIdEEEENSG_9not_fun_tINSD_8identityEEEEENSD_19counting_iterator_tIlEES8_S8_S8_S8_S8_S8_S8_S8_EEEEPS9_S9_NSD_9__find_if7functorIS9_EEEE10hipError_tPvRmT1_T2_T3_mT4_P12ihipStream_tbEUlT_E1_NS1_11comp_targetILNS1_3genE9ELNS1_11target_archE1100ELNS1_3gpuE3ELNS1_3repE0EEENS1_30default_config_static_selectorELNS0_4arch9wavefront6targetE0EEEvS14_
; %bb.0:
	.section	.rodata,"a",@progbits
	.p2align	6, 0x0
	.amdhsa_kernel _ZN7rocprim17ROCPRIM_400000_NS6detail17trampoline_kernelINS0_14default_configENS1_22reduce_config_selectorIN6thrust23THRUST_200600_302600_NS5tupleIblNS6_9null_typeES8_S8_S8_S8_S8_S8_S8_EEEEZNS1_11reduce_implILb1ES3_NS6_12zip_iteratorINS7_INS6_11hip_rocprim26transform_input_iterator_tIbNSD_35transform_pair_of_input_iterators_tIbNS6_6detail15normal_iteratorINS6_10device_ptrIKdEEEESL_NS6_8equal_toIdEEEENSG_9not_fun_tINSD_8identityEEEEENSD_19counting_iterator_tIlEES8_S8_S8_S8_S8_S8_S8_S8_EEEEPS9_S9_NSD_9__find_if7functorIS9_EEEE10hipError_tPvRmT1_T2_T3_mT4_P12ihipStream_tbEUlT_E1_NS1_11comp_targetILNS1_3genE9ELNS1_11target_archE1100ELNS1_3gpuE3ELNS1_3repE0EEENS1_30default_config_static_selectorELNS0_4arch9wavefront6targetE0EEEvS14_
		.amdhsa_group_segment_fixed_size 0
		.amdhsa_private_segment_fixed_size 0
		.amdhsa_kernarg_size 88
		.amdhsa_user_sgpr_count 2
		.amdhsa_user_sgpr_dispatch_ptr 0
		.amdhsa_user_sgpr_queue_ptr 0
		.amdhsa_user_sgpr_kernarg_segment_ptr 1
		.amdhsa_user_sgpr_dispatch_id 0
		.amdhsa_user_sgpr_kernarg_preload_length 0
		.amdhsa_user_sgpr_kernarg_preload_offset 0
		.amdhsa_user_sgpr_private_segment_size 0
		.amdhsa_wavefront_size32 1
		.amdhsa_uses_dynamic_stack 0
		.amdhsa_enable_private_segment 0
		.amdhsa_system_sgpr_workgroup_id_x 1
		.amdhsa_system_sgpr_workgroup_id_y 0
		.amdhsa_system_sgpr_workgroup_id_z 0
		.amdhsa_system_sgpr_workgroup_info 0
		.amdhsa_system_vgpr_workitem_id 0
		.amdhsa_next_free_vgpr 1
		.amdhsa_next_free_sgpr 1
		.amdhsa_named_barrier_count 0
		.amdhsa_reserve_vcc 0
		.amdhsa_float_round_mode_32 0
		.amdhsa_float_round_mode_16_64 0
		.amdhsa_float_denorm_mode_32 3
		.amdhsa_float_denorm_mode_16_64 3
		.amdhsa_fp16_overflow 0
		.amdhsa_memory_ordered 1
		.amdhsa_forward_progress 1
		.amdhsa_inst_pref_size 0
		.amdhsa_round_robin_scheduling 0
		.amdhsa_exception_fp_ieee_invalid_op 0
		.amdhsa_exception_fp_denorm_src 0
		.amdhsa_exception_fp_ieee_div_zero 0
		.amdhsa_exception_fp_ieee_overflow 0
		.amdhsa_exception_fp_ieee_underflow 0
		.amdhsa_exception_fp_ieee_inexact 0
		.amdhsa_exception_int_div_zero 0
	.end_amdhsa_kernel
	.section	.text._ZN7rocprim17ROCPRIM_400000_NS6detail17trampoline_kernelINS0_14default_configENS1_22reduce_config_selectorIN6thrust23THRUST_200600_302600_NS5tupleIblNS6_9null_typeES8_S8_S8_S8_S8_S8_S8_EEEEZNS1_11reduce_implILb1ES3_NS6_12zip_iteratorINS7_INS6_11hip_rocprim26transform_input_iterator_tIbNSD_35transform_pair_of_input_iterators_tIbNS6_6detail15normal_iteratorINS6_10device_ptrIKdEEEESL_NS6_8equal_toIdEEEENSG_9not_fun_tINSD_8identityEEEEENSD_19counting_iterator_tIlEES8_S8_S8_S8_S8_S8_S8_S8_EEEEPS9_S9_NSD_9__find_if7functorIS9_EEEE10hipError_tPvRmT1_T2_T3_mT4_P12ihipStream_tbEUlT_E1_NS1_11comp_targetILNS1_3genE9ELNS1_11target_archE1100ELNS1_3gpuE3ELNS1_3repE0EEENS1_30default_config_static_selectorELNS0_4arch9wavefront6targetE0EEEvS14_,"axG",@progbits,_ZN7rocprim17ROCPRIM_400000_NS6detail17trampoline_kernelINS0_14default_configENS1_22reduce_config_selectorIN6thrust23THRUST_200600_302600_NS5tupleIblNS6_9null_typeES8_S8_S8_S8_S8_S8_S8_EEEEZNS1_11reduce_implILb1ES3_NS6_12zip_iteratorINS7_INS6_11hip_rocprim26transform_input_iterator_tIbNSD_35transform_pair_of_input_iterators_tIbNS6_6detail15normal_iteratorINS6_10device_ptrIKdEEEESL_NS6_8equal_toIdEEEENSG_9not_fun_tINSD_8identityEEEEENSD_19counting_iterator_tIlEES8_S8_S8_S8_S8_S8_S8_S8_EEEEPS9_S9_NSD_9__find_if7functorIS9_EEEE10hipError_tPvRmT1_T2_T3_mT4_P12ihipStream_tbEUlT_E1_NS1_11comp_targetILNS1_3genE9ELNS1_11target_archE1100ELNS1_3gpuE3ELNS1_3repE0EEENS1_30default_config_static_selectorELNS0_4arch9wavefront6targetE0EEEvS14_,comdat
.Lfunc_end53:
	.size	_ZN7rocprim17ROCPRIM_400000_NS6detail17trampoline_kernelINS0_14default_configENS1_22reduce_config_selectorIN6thrust23THRUST_200600_302600_NS5tupleIblNS6_9null_typeES8_S8_S8_S8_S8_S8_S8_EEEEZNS1_11reduce_implILb1ES3_NS6_12zip_iteratorINS7_INS6_11hip_rocprim26transform_input_iterator_tIbNSD_35transform_pair_of_input_iterators_tIbNS6_6detail15normal_iteratorINS6_10device_ptrIKdEEEESL_NS6_8equal_toIdEEEENSG_9not_fun_tINSD_8identityEEEEENSD_19counting_iterator_tIlEES8_S8_S8_S8_S8_S8_S8_S8_EEEEPS9_S9_NSD_9__find_if7functorIS9_EEEE10hipError_tPvRmT1_T2_T3_mT4_P12ihipStream_tbEUlT_E1_NS1_11comp_targetILNS1_3genE9ELNS1_11target_archE1100ELNS1_3gpuE3ELNS1_3repE0EEENS1_30default_config_static_selectorELNS0_4arch9wavefront6targetE0EEEvS14_, .Lfunc_end53-_ZN7rocprim17ROCPRIM_400000_NS6detail17trampoline_kernelINS0_14default_configENS1_22reduce_config_selectorIN6thrust23THRUST_200600_302600_NS5tupleIblNS6_9null_typeES8_S8_S8_S8_S8_S8_S8_EEEEZNS1_11reduce_implILb1ES3_NS6_12zip_iteratorINS7_INS6_11hip_rocprim26transform_input_iterator_tIbNSD_35transform_pair_of_input_iterators_tIbNS6_6detail15normal_iteratorINS6_10device_ptrIKdEEEESL_NS6_8equal_toIdEEEENSG_9not_fun_tINSD_8identityEEEEENSD_19counting_iterator_tIlEES8_S8_S8_S8_S8_S8_S8_S8_EEEEPS9_S9_NSD_9__find_if7functorIS9_EEEE10hipError_tPvRmT1_T2_T3_mT4_P12ihipStream_tbEUlT_E1_NS1_11comp_targetILNS1_3genE9ELNS1_11target_archE1100ELNS1_3gpuE3ELNS1_3repE0EEENS1_30default_config_static_selectorELNS0_4arch9wavefront6targetE0EEEvS14_
                                        ; -- End function
	.set _ZN7rocprim17ROCPRIM_400000_NS6detail17trampoline_kernelINS0_14default_configENS1_22reduce_config_selectorIN6thrust23THRUST_200600_302600_NS5tupleIblNS6_9null_typeES8_S8_S8_S8_S8_S8_S8_EEEEZNS1_11reduce_implILb1ES3_NS6_12zip_iteratorINS7_INS6_11hip_rocprim26transform_input_iterator_tIbNSD_35transform_pair_of_input_iterators_tIbNS6_6detail15normal_iteratorINS6_10device_ptrIKdEEEESL_NS6_8equal_toIdEEEENSG_9not_fun_tINSD_8identityEEEEENSD_19counting_iterator_tIlEES8_S8_S8_S8_S8_S8_S8_S8_EEEEPS9_S9_NSD_9__find_if7functorIS9_EEEE10hipError_tPvRmT1_T2_T3_mT4_P12ihipStream_tbEUlT_E1_NS1_11comp_targetILNS1_3genE9ELNS1_11target_archE1100ELNS1_3gpuE3ELNS1_3repE0EEENS1_30default_config_static_selectorELNS0_4arch9wavefront6targetE0EEEvS14_.num_vgpr, 0
	.set _ZN7rocprim17ROCPRIM_400000_NS6detail17trampoline_kernelINS0_14default_configENS1_22reduce_config_selectorIN6thrust23THRUST_200600_302600_NS5tupleIblNS6_9null_typeES8_S8_S8_S8_S8_S8_S8_EEEEZNS1_11reduce_implILb1ES3_NS6_12zip_iteratorINS7_INS6_11hip_rocprim26transform_input_iterator_tIbNSD_35transform_pair_of_input_iterators_tIbNS6_6detail15normal_iteratorINS6_10device_ptrIKdEEEESL_NS6_8equal_toIdEEEENSG_9not_fun_tINSD_8identityEEEEENSD_19counting_iterator_tIlEES8_S8_S8_S8_S8_S8_S8_S8_EEEEPS9_S9_NSD_9__find_if7functorIS9_EEEE10hipError_tPvRmT1_T2_T3_mT4_P12ihipStream_tbEUlT_E1_NS1_11comp_targetILNS1_3genE9ELNS1_11target_archE1100ELNS1_3gpuE3ELNS1_3repE0EEENS1_30default_config_static_selectorELNS0_4arch9wavefront6targetE0EEEvS14_.num_agpr, 0
	.set _ZN7rocprim17ROCPRIM_400000_NS6detail17trampoline_kernelINS0_14default_configENS1_22reduce_config_selectorIN6thrust23THRUST_200600_302600_NS5tupleIblNS6_9null_typeES8_S8_S8_S8_S8_S8_S8_EEEEZNS1_11reduce_implILb1ES3_NS6_12zip_iteratorINS7_INS6_11hip_rocprim26transform_input_iterator_tIbNSD_35transform_pair_of_input_iterators_tIbNS6_6detail15normal_iteratorINS6_10device_ptrIKdEEEESL_NS6_8equal_toIdEEEENSG_9not_fun_tINSD_8identityEEEEENSD_19counting_iterator_tIlEES8_S8_S8_S8_S8_S8_S8_S8_EEEEPS9_S9_NSD_9__find_if7functorIS9_EEEE10hipError_tPvRmT1_T2_T3_mT4_P12ihipStream_tbEUlT_E1_NS1_11comp_targetILNS1_3genE9ELNS1_11target_archE1100ELNS1_3gpuE3ELNS1_3repE0EEENS1_30default_config_static_selectorELNS0_4arch9wavefront6targetE0EEEvS14_.numbered_sgpr, 0
	.set _ZN7rocprim17ROCPRIM_400000_NS6detail17trampoline_kernelINS0_14default_configENS1_22reduce_config_selectorIN6thrust23THRUST_200600_302600_NS5tupleIblNS6_9null_typeES8_S8_S8_S8_S8_S8_S8_EEEEZNS1_11reduce_implILb1ES3_NS6_12zip_iteratorINS7_INS6_11hip_rocprim26transform_input_iterator_tIbNSD_35transform_pair_of_input_iterators_tIbNS6_6detail15normal_iteratorINS6_10device_ptrIKdEEEESL_NS6_8equal_toIdEEEENSG_9not_fun_tINSD_8identityEEEEENSD_19counting_iterator_tIlEES8_S8_S8_S8_S8_S8_S8_S8_EEEEPS9_S9_NSD_9__find_if7functorIS9_EEEE10hipError_tPvRmT1_T2_T3_mT4_P12ihipStream_tbEUlT_E1_NS1_11comp_targetILNS1_3genE9ELNS1_11target_archE1100ELNS1_3gpuE3ELNS1_3repE0EEENS1_30default_config_static_selectorELNS0_4arch9wavefront6targetE0EEEvS14_.num_named_barrier, 0
	.set _ZN7rocprim17ROCPRIM_400000_NS6detail17trampoline_kernelINS0_14default_configENS1_22reduce_config_selectorIN6thrust23THRUST_200600_302600_NS5tupleIblNS6_9null_typeES8_S8_S8_S8_S8_S8_S8_EEEEZNS1_11reduce_implILb1ES3_NS6_12zip_iteratorINS7_INS6_11hip_rocprim26transform_input_iterator_tIbNSD_35transform_pair_of_input_iterators_tIbNS6_6detail15normal_iteratorINS6_10device_ptrIKdEEEESL_NS6_8equal_toIdEEEENSG_9not_fun_tINSD_8identityEEEEENSD_19counting_iterator_tIlEES8_S8_S8_S8_S8_S8_S8_S8_EEEEPS9_S9_NSD_9__find_if7functorIS9_EEEE10hipError_tPvRmT1_T2_T3_mT4_P12ihipStream_tbEUlT_E1_NS1_11comp_targetILNS1_3genE9ELNS1_11target_archE1100ELNS1_3gpuE3ELNS1_3repE0EEENS1_30default_config_static_selectorELNS0_4arch9wavefront6targetE0EEEvS14_.private_seg_size, 0
	.set _ZN7rocprim17ROCPRIM_400000_NS6detail17trampoline_kernelINS0_14default_configENS1_22reduce_config_selectorIN6thrust23THRUST_200600_302600_NS5tupleIblNS6_9null_typeES8_S8_S8_S8_S8_S8_S8_EEEEZNS1_11reduce_implILb1ES3_NS6_12zip_iteratorINS7_INS6_11hip_rocprim26transform_input_iterator_tIbNSD_35transform_pair_of_input_iterators_tIbNS6_6detail15normal_iteratorINS6_10device_ptrIKdEEEESL_NS6_8equal_toIdEEEENSG_9not_fun_tINSD_8identityEEEEENSD_19counting_iterator_tIlEES8_S8_S8_S8_S8_S8_S8_S8_EEEEPS9_S9_NSD_9__find_if7functorIS9_EEEE10hipError_tPvRmT1_T2_T3_mT4_P12ihipStream_tbEUlT_E1_NS1_11comp_targetILNS1_3genE9ELNS1_11target_archE1100ELNS1_3gpuE3ELNS1_3repE0EEENS1_30default_config_static_selectorELNS0_4arch9wavefront6targetE0EEEvS14_.uses_vcc, 0
	.set _ZN7rocprim17ROCPRIM_400000_NS6detail17trampoline_kernelINS0_14default_configENS1_22reduce_config_selectorIN6thrust23THRUST_200600_302600_NS5tupleIblNS6_9null_typeES8_S8_S8_S8_S8_S8_S8_EEEEZNS1_11reduce_implILb1ES3_NS6_12zip_iteratorINS7_INS6_11hip_rocprim26transform_input_iterator_tIbNSD_35transform_pair_of_input_iterators_tIbNS6_6detail15normal_iteratorINS6_10device_ptrIKdEEEESL_NS6_8equal_toIdEEEENSG_9not_fun_tINSD_8identityEEEEENSD_19counting_iterator_tIlEES8_S8_S8_S8_S8_S8_S8_S8_EEEEPS9_S9_NSD_9__find_if7functorIS9_EEEE10hipError_tPvRmT1_T2_T3_mT4_P12ihipStream_tbEUlT_E1_NS1_11comp_targetILNS1_3genE9ELNS1_11target_archE1100ELNS1_3gpuE3ELNS1_3repE0EEENS1_30default_config_static_selectorELNS0_4arch9wavefront6targetE0EEEvS14_.uses_flat_scratch, 0
	.set _ZN7rocprim17ROCPRIM_400000_NS6detail17trampoline_kernelINS0_14default_configENS1_22reduce_config_selectorIN6thrust23THRUST_200600_302600_NS5tupleIblNS6_9null_typeES8_S8_S8_S8_S8_S8_S8_EEEEZNS1_11reduce_implILb1ES3_NS6_12zip_iteratorINS7_INS6_11hip_rocprim26transform_input_iterator_tIbNSD_35transform_pair_of_input_iterators_tIbNS6_6detail15normal_iteratorINS6_10device_ptrIKdEEEESL_NS6_8equal_toIdEEEENSG_9not_fun_tINSD_8identityEEEEENSD_19counting_iterator_tIlEES8_S8_S8_S8_S8_S8_S8_S8_EEEEPS9_S9_NSD_9__find_if7functorIS9_EEEE10hipError_tPvRmT1_T2_T3_mT4_P12ihipStream_tbEUlT_E1_NS1_11comp_targetILNS1_3genE9ELNS1_11target_archE1100ELNS1_3gpuE3ELNS1_3repE0EEENS1_30default_config_static_selectorELNS0_4arch9wavefront6targetE0EEEvS14_.has_dyn_sized_stack, 0
	.set _ZN7rocprim17ROCPRIM_400000_NS6detail17trampoline_kernelINS0_14default_configENS1_22reduce_config_selectorIN6thrust23THRUST_200600_302600_NS5tupleIblNS6_9null_typeES8_S8_S8_S8_S8_S8_S8_EEEEZNS1_11reduce_implILb1ES3_NS6_12zip_iteratorINS7_INS6_11hip_rocprim26transform_input_iterator_tIbNSD_35transform_pair_of_input_iterators_tIbNS6_6detail15normal_iteratorINS6_10device_ptrIKdEEEESL_NS6_8equal_toIdEEEENSG_9not_fun_tINSD_8identityEEEEENSD_19counting_iterator_tIlEES8_S8_S8_S8_S8_S8_S8_S8_EEEEPS9_S9_NSD_9__find_if7functorIS9_EEEE10hipError_tPvRmT1_T2_T3_mT4_P12ihipStream_tbEUlT_E1_NS1_11comp_targetILNS1_3genE9ELNS1_11target_archE1100ELNS1_3gpuE3ELNS1_3repE0EEENS1_30default_config_static_selectorELNS0_4arch9wavefront6targetE0EEEvS14_.has_recursion, 0
	.set _ZN7rocprim17ROCPRIM_400000_NS6detail17trampoline_kernelINS0_14default_configENS1_22reduce_config_selectorIN6thrust23THRUST_200600_302600_NS5tupleIblNS6_9null_typeES8_S8_S8_S8_S8_S8_S8_EEEEZNS1_11reduce_implILb1ES3_NS6_12zip_iteratorINS7_INS6_11hip_rocprim26transform_input_iterator_tIbNSD_35transform_pair_of_input_iterators_tIbNS6_6detail15normal_iteratorINS6_10device_ptrIKdEEEESL_NS6_8equal_toIdEEEENSG_9not_fun_tINSD_8identityEEEEENSD_19counting_iterator_tIlEES8_S8_S8_S8_S8_S8_S8_S8_EEEEPS9_S9_NSD_9__find_if7functorIS9_EEEE10hipError_tPvRmT1_T2_T3_mT4_P12ihipStream_tbEUlT_E1_NS1_11comp_targetILNS1_3genE9ELNS1_11target_archE1100ELNS1_3gpuE3ELNS1_3repE0EEENS1_30default_config_static_selectorELNS0_4arch9wavefront6targetE0EEEvS14_.has_indirect_call, 0
	.section	.AMDGPU.csdata,"",@progbits
; Kernel info:
; codeLenInByte = 0
; TotalNumSgprs: 0
; NumVgprs: 0
; ScratchSize: 0
; MemoryBound: 0
; FloatMode: 240
; IeeeMode: 1
; LDSByteSize: 0 bytes/workgroup (compile time only)
; SGPRBlocks: 0
; VGPRBlocks: 0
; NumSGPRsForWavesPerEU: 1
; NumVGPRsForWavesPerEU: 1
; NamedBarCnt: 0
; Occupancy: 16
; WaveLimiterHint : 0
; COMPUTE_PGM_RSRC2:SCRATCH_EN: 0
; COMPUTE_PGM_RSRC2:USER_SGPR: 2
; COMPUTE_PGM_RSRC2:TRAP_HANDLER: 0
; COMPUTE_PGM_RSRC2:TGID_X_EN: 1
; COMPUTE_PGM_RSRC2:TGID_Y_EN: 0
; COMPUTE_PGM_RSRC2:TGID_Z_EN: 0
; COMPUTE_PGM_RSRC2:TIDIG_COMP_CNT: 0
	.section	.text._ZN7rocprim17ROCPRIM_400000_NS6detail17trampoline_kernelINS0_14default_configENS1_22reduce_config_selectorIN6thrust23THRUST_200600_302600_NS5tupleIblNS6_9null_typeES8_S8_S8_S8_S8_S8_S8_EEEEZNS1_11reduce_implILb1ES3_NS6_12zip_iteratorINS7_INS6_11hip_rocprim26transform_input_iterator_tIbNSD_35transform_pair_of_input_iterators_tIbNS6_6detail15normal_iteratorINS6_10device_ptrIKdEEEESL_NS6_8equal_toIdEEEENSG_9not_fun_tINSD_8identityEEEEENSD_19counting_iterator_tIlEES8_S8_S8_S8_S8_S8_S8_S8_EEEEPS9_S9_NSD_9__find_if7functorIS9_EEEE10hipError_tPvRmT1_T2_T3_mT4_P12ihipStream_tbEUlT_E1_NS1_11comp_targetILNS1_3genE8ELNS1_11target_archE1030ELNS1_3gpuE2ELNS1_3repE0EEENS1_30default_config_static_selectorELNS0_4arch9wavefront6targetE0EEEvS14_,"axG",@progbits,_ZN7rocprim17ROCPRIM_400000_NS6detail17trampoline_kernelINS0_14default_configENS1_22reduce_config_selectorIN6thrust23THRUST_200600_302600_NS5tupleIblNS6_9null_typeES8_S8_S8_S8_S8_S8_S8_EEEEZNS1_11reduce_implILb1ES3_NS6_12zip_iteratorINS7_INS6_11hip_rocprim26transform_input_iterator_tIbNSD_35transform_pair_of_input_iterators_tIbNS6_6detail15normal_iteratorINS6_10device_ptrIKdEEEESL_NS6_8equal_toIdEEEENSG_9not_fun_tINSD_8identityEEEEENSD_19counting_iterator_tIlEES8_S8_S8_S8_S8_S8_S8_S8_EEEEPS9_S9_NSD_9__find_if7functorIS9_EEEE10hipError_tPvRmT1_T2_T3_mT4_P12ihipStream_tbEUlT_E1_NS1_11comp_targetILNS1_3genE8ELNS1_11target_archE1030ELNS1_3gpuE2ELNS1_3repE0EEENS1_30default_config_static_selectorELNS0_4arch9wavefront6targetE0EEEvS14_,comdat
	.protected	_ZN7rocprim17ROCPRIM_400000_NS6detail17trampoline_kernelINS0_14default_configENS1_22reduce_config_selectorIN6thrust23THRUST_200600_302600_NS5tupleIblNS6_9null_typeES8_S8_S8_S8_S8_S8_S8_EEEEZNS1_11reduce_implILb1ES3_NS6_12zip_iteratorINS7_INS6_11hip_rocprim26transform_input_iterator_tIbNSD_35transform_pair_of_input_iterators_tIbNS6_6detail15normal_iteratorINS6_10device_ptrIKdEEEESL_NS6_8equal_toIdEEEENSG_9not_fun_tINSD_8identityEEEEENSD_19counting_iterator_tIlEES8_S8_S8_S8_S8_S8_S8_S8_EEEEPS9_S9_NSD_9__find_if7functorIS9_EEEE10hipError_tPvRmT1_T2_T3_mT4_P12ihipStream_tbEUlT_E1_NS1_11comp_targetILNS1_3genE8ELNS1_11target_archE1030ELNS1_3gpuE2ELNS1_3repE0EEENS1_30default_config_static_selectorELNS0_4arch9wavefront6targetE0EEEvS14_ ; -- Begin function _ZN7rocprim17ROCPRIM_400000_NS6detail17trampoline_kernelINS0_14default_configENS1_22reduce_config_selectorIN6thrust23THRUST_200600_302600_NS5tupleIblNS6_9null_typeES8_S8_S8_S8_S8_S8_S8_EEEEZNS1_11reduce_implILb1ES3_NS6_12zip_iteratorINS7_INS6_11hip_rocprim26transform_input_iterator_tIbNSD_35transform_pair_of_input_iterators_tIbNS6_6detail15normal_iteratorINS6_10device_ptrIKdEEEESL_NS6_8equal_toIdEEEENSG_9not_fun_tINSD_8identityEEEEENSD_19counting_iterator_tIlEES8_S8_S8_S8_S8_S8_S8_S8_EEEEPS9_S9_NSD_9__find_if7functorIS9_EEEE10hipError_tPvRmT1_T2_T3_mT4_P12ihipStream_tbEUlT_E1_NS1_11comp_targetILNS1_3genE8ELNS1_11target_archE1030ELNS1_3gpuE2ELNS1_3repE0EEENS1_30default_config_static_selectorELNS0_4arch9wavefront6targetE0EEEvS14_
	.globl	_ZN7rocprim17ROCPRIM_400000_NS6detail17trampoline_kernelINS0_14default_configENS1_22reduce_config_selectorIN6thrust23THRUST_200600_302600_NS5tupleIblNS6_9null_typeES8_S8_S8_S8_S8_S8_S8_EEEEZNS1_11reduce_implILb1ES3_NS6_12zip_iteratorINS7_INS6_11hip_rocprim26transform_input_iterator_tIbNSD_35transform_pair_of_input_iterators_tIbNS6_6detail15normal_iteratorINS6_10device_ptrIKdEEEESL_NS6_8equal_toIdEEEENSG_9not_fun_tINSD_8identityEEEEENSD_19counting_iterator_tIlEES8_S8_S8_S8_S8_S8_S8_S8_EEEEPS9_S9_NSD_9__find_if7functorIS9_EEEE10hipError_tPvRmT1_T2_T3_mT4_P12ihipStream_tbEUlT_E1_NS1_11comp_targetILNS1_3genE8ELNS1_11target_archE1030ELNS1_3gpuE2ELNS1_3repE0EEENS1_30default_config_static_selectorELNS0_4arch9wavefront6targetE0EEEvS14_
	.p2align	8
	.type	_ZN7rocprim17ROCPRIM_400000_NS6detail17trampoline_kernelINS0_14default_configENS1_22reduce_config_selectorIN6thrust23THRUST_200600_302600_NS5tupleIblNS6_9null_typeES8_S8_S8_S8_S8_S8_S8_EEEEZNS1_11reduce_implILb1ES3_NS6_12zip_iteratorINS7_INS6_11hip_rocprim26transform_input_iterator_tIbNSD_35transform_pair_of_input_iterators_tIbNS6_6detail15normal_iteratorINS6_10device_ptrIKdEEEESL_NS6_8equal_toIdEEEENSG_9not_fun_tINSD_8identityEEEEENSD_19counting_iterator_tIlEES8_S8_S8_S8_S8_S8_S8_S8_EEEEPS9_S9_NSD_9__find_if7functorIS9_EEEE10hipError_tPvRmT1_T2_T3_mT4_P12ihipStream_tbEUlT_E1_NS1_11comp_targetILNS1_3genE8ELNS1_11target_archE1030ELNS1_3gpuE2ELNS1_3repE0EEENS1_30default_config_static_selectorELNS0_4arch9wavefront6targetE0EEEvS14_,@function
_ZN7rocprim17ROCPRIM_400000_NS6detail17trampoline_kernelINS0_14default_configENS1_22reduce_config_selectorIN6thrust23THRUST_200600_302600_NS5tupleIblNS6_9null_typeES8_S8_S8_S8_S8_S8_S8_EEEEZNS1_11reduce_implILb1ES3_NS6_12zip_iteratorINS7_INS6_11hip_rocprim26transform_input_iterator_tIbNSD_35transform_pair_of_input_iterators_tIbNS6_6detail15normal_iteratorINS6_10device_ptrIKdEEEESL_NS6_8equal_toIdEEEENSG_9not_fun_tINSD_8identityEEEEENSD_19counting_iterator_tIlEES8_S8_S8_S8_S8_S8_S8_S8_EEEEPS9_S9_NSD_9__find_if7functorIS9_EEEE10hipError_tPvRmT1_T2_T3_mT4_P12ihipStream_tbEUlT_E1_NS1_11comp_targetILNS1_3genE8ELNS1_11target_archE1030ELNS1_3gpuE2ELNS1_3repE0EEENS1_30default_config_static_selectorELNS0_4arch9wavefront6targetE0EEEvS14_: ; @_ZN7rocprim17ROCPRIM_400000_NS6detail17trampoline_kernelINS0_14default_configENS1_22reduce_config_selectorIN6thrust23THRUST_200600_302600_NS5tupleIblNS6_9null_typeES8_S8_S8_S8_S8_S8_S8_EEEEZNS1_11reduce_implILb1ES3_NS6_12zip_iteratorINS7_INS6_11hip_rocprim26transform_input_iterator_tIbNSD_35transform_pair_of_input_iterators_tIbNS6_6detail15normal_iteratorINS6_10device_ptrIKdEEEESL_NS6_8equal_toIdEEEENSG_9not_fun_tINSD_8identityEEEEENSD_19counting_iterator_tIlEES8_S8_S8_S8_S8_S8_S8_S8_EEEEPS9_S9_NSD_9__find_if7functorIS9_EEEE10hipError_tPvRmT1_T2_T3_mT4_P12ihipStream_tbEUlT_E1_NS1_11comp_targetILNS1_3genE8ELNS1_11target_archE1030ELNS1_3gpuE2ELNS1_3repE0EEENS1_30default_config_static_selectorELNS0_4arch9wavefront6targetE0EEEvS14_
; %bb.0:
	.section	.rodata,"a",@progbits
	.p2align	6, 0x0
	.amdhsa_kernel _ZN7rocprim17ROCPRIM_400000_NS6detail17trampoline_kernelINS0_14default_configENS1_22reduce_config_selectorIN6thrust23THRUST_200600_302600_NS5tupleIblNS6_9null_typeES8_S8_S8_S8_S8_S8_S8_EEEEZNS1_11reduce_implILb1ES3_NS6_12zip_iteratorINS7_INS6_11hip_rocprim26transform_input_iterator_tIbNSD_35transform_pair_of_input_iterators_tIbNS6_6detail15normal_iteratorINS6_10device_ptrIKdEEEESL_NS6_8equal_toIdEEEENSG_9not_fun_tINSD_8identityEEEEENSD_19counting_iterator_tIlEES8_S8_S8_S8_S8_S8_S8_S8_EEEEPS9_S9_NSD_9__find_if7functorIS9_EEEE10hipError_tPvRmT1_T2_T3_mT4_P12ihipStream_tbEUlT_E1_NS1_11comp_targetILNS1_3genE8ELNS1_11target_archE1030ELNS1_3gpuE2ELNS1_3repE0EEENS1_30default_config_static_selectorELNS0_4arch9wavefront6targetE0EEEvS14_
		.amdhsa_group_segment_fixed_size 0
		.amdhsa_private_segment_fixed_size 0
		.amdhsa_kernarg_size 88
		.amdhsa_user_sgpr_count 2
		.amdhsa_user_sgpr_dispatch_ptr 0
		.amdhsa_user_sgpr_queue_ptr 0
		.amdhsa_user_sgpr_kernarg_segment_ptr 1
		.amdhsa_user_sgpr_dispatch_id 0
		.amdhsa_user_sgpr_kernarg_preload_length 0
		.amdhsa_user_sgpr_kernarg_preload_offset 0
		.amdhsa_user_sgpr_private_segment_size 0
		.amdhsa_wavefront_size32 1
		.amdhsa_uses_dynamic_stack 0
		.amdhsa_enable_private_segment 0
		.amdhsa_system_sgpr_workgroup_id_x 1
		.amdhsa_system_sgpr_workgroup_id_y 0
		.amdhsa_system_sgpr_workgroup_id_z 0
		.amdhsa_system_sgpr_workgroup_info 0
		.amdhsa_system_vgpr_workitem_id 0
		.amdhsa_next_free_vgpr 1
		.amdhsa_next_free_sgpr 1
		.amdhsa_named_barrier_count 0
		.amdhsa_reserve_vcc 0
		.amdhsa_float_round_mode_32 0
		.amdhsa_float_round_mode_16_64 0
		.amdhsa_float_denorm_mode_32 3
		.amdhsa_float_denorm_mode_16_64 3
		.amdhsa_fp16_overflow 0
		.amdhsa_memory_ordered 1
		.amdhsa_forward_progress 1
		.amdhsa_inst_pref_size 0
		.amdhsa_round_robin_scheduling 0
		.amdhsa_exception_fp_ieee_invalid_op 0
		.amdhsa_exception_fp_denorm_src 0
		.amdhsa_exception_fp_ieee_div_zero 0
		.amdhsa_exception_fp_ieee_overflow 0
		.amdhsa_exception_fp_ieee_underflow 0
		.amdhsa_exception_fp_ieee_inexact 0
		.amdhsa_exception_int_div_zero 0
	.end_amdhsa_kernel
	.section	.text._ZN7rocprim17ROCPRIM_400000_NS6detail17trampoline_kernelINS0_14default_configENS1_22reduce_config_selectorIN6thrust23THRUST_200600_302600_NS5tupleIblNS6_9null_typeES8_S8_S8_S8_S8_S8_S8_EEEEZNS1_11reduce_implILb1ES3_NS6_12zip_iteratorINS7_INS6_11hip_rocprim26transform_input_iterator_tIbNSD_35transform_pair_of_input_iterators_tIbNS6_6detail15normal_iteratorINS6_10device_ptrIKdEEEESL_NS6_8equal_toIdEEEENSG_9not_fun_tINSD_8identityEEEEENSD_19counting_iterator_tIlEES8_S8_S8_S8_S8_S8_S8_S8_EEEEPS9_S9_NSD_9__find_if7functorIS9_EEEE10hipError_tPvRmT1_T2_T3_mT4_P12ihipStream_tbEUlT_E1_NS1_11comp_targetILNS1_3genE8ELNS1_11target_archE1030ELNS1_3gpuE2ELNS1_3repE0EEENS1_30default_config_static_selectorELNS0_4arch9wavefront6targetE0EEEvS14_,"axG",@progbits,_ZN7rocprim17ROCPRIM_400000_NS6detail17trampoline_kernelINS0_14default_configENS1_22reduce_config_selectorIN6thrust23THRUST_200600_302600_NS5tupleIblNS6_9null_typeES8_S8_S8_S8_S8_S8_S8_EEEEZNS1_11reduce_implILb1ES3_NS6_12zip_iteratorINS7_INS6_11hip_rocprim26transform_input_iterator_tIbNSD_35transform_pair_of_input_iterators_tIbNS6_6detail15normal_iteratorINS6_10device_ptrIKdEEEESL_NS6_8equal_toIdEEEENSG_9not_fun_tINSD_8identityEEEEENSD_19counting_iterator_tIlEES8_S8_S8_S8_S8_S8_S8_S8_EEEEPS9_S9_NSD_9__find_if7functorIS9_EEEE10hipError_tPvRmT1_T2_T3_mT4_P12ihipStream_tbEUlT_E1_NS1_11comp_targetILNS1_3genE8ELNS1_11target_archE1030ELNS1_3gpuE2ELNS1_3repE0EEENS1_30default_config_static_selectorELNS0_4arch9wavefront6targetE0EEEvS14_,comdat
.Lfunc_end54:
	.size	_ZN7rocprim17ROCPRIM_400000_NS6detail17trampoline_kernelINS0_14default_configENS1_22reduce_config_selectorIN6thrust23THRUST_200600_302600_NS5tupleIblNS6_9null_typeES8_S8_S8_S8_S8_S8_S8_EEEEZNS1_11reduce_implILb1ES3_NS6_12zip_iteratorINS7_INS6_11hip_rocprim26transform_input_iterator_tIbNSD_35transform_pair_of_input_iterators_tIbNS6_6detail15normal_iteratorINS6_10device_ptrIKdEEEESL_NS6_8equal_toIdEEEENSG_9not_fun_tINSD_8identityEEEEENSD_19counting_iterator_tIlEES8_S8_S8_S8_S8_S8_S8_S8_EEEEPS9_S9_NSD_9__find_if7functorIS9_EEEE10hipError_tPvRmT1_T2_T3_mT4_P12ihipStream_tbEUlT_E1_NS1_11comp_targetILNS1_3genE8ELNS1_11target_archE1030ELNS1_3gpuE2ELNS1_3repE0EEENS1_30default_config_static_selectorELNS0_4arch9wavefront6targetE0EEEvS14_, .Lfunc_end54-_ZN7rocprim17ROCPRIM_400000_NS6detail17trampoline_kernelINS0_14default_configENS1_22reduce_config_selectorIN6thrust23THRUST_200600_302600_NS5tupleIblNS6_9null_typeES8_S8_S8_S8_S8_S8_S8_EEEEZNS1_11reduce_implILb1ES3_NS6_12zip_iteratorINS7_INS6_11hip_rocprim26transform_input_iterator_tIbNSD_35transform_pair_of_input_iterators_tIbNS6_6detail15normal_iteratorINS6_10device_ptrIKdEEEESL_NS6_8equal_toIdEEEENSG_9not_fun_tINSD_8identityEEEEENSD_19counting_iterator_tIlEES8_S8_S8_S8_S8_S8_S8_S8_EEEEPS9_S9_NSD_9__find_if7functorIS9_EEEE10hipError_tPvRmT1_T2_T3_mT4_P12ihipStream_tbEUlT_E1_NS1_11comp_targetILNS1_3genE8ELNS1_11target_archE1030ELNS1_3gpuE2ELNS1_3repE0EEENS1_30default_config_static_selectorELNS0_4arch9wavefront6targetE0EEEvS14_
                                        ; -- End function
	.set _ZN7rocprim17ROCPRIM_400000_NS6detail17trampoline_kernelINS0_14default_configENS1_22reduce_config_selectorIN6thrust23THRUST_200600_302600_NS5tupleIblNS6_9null_typeES8_S8_S8_S8_S8_S8_S8_EEEEZNS1_11reduce_implILb1ES3_NS6_12zip_iteratorINS7_INS6_11hip_rocprim26transform_input_iterator_tIbNSD_35transform_pair_of_input_iterators_tIbNS6_6detail15normal_iteratorINS6_10device_ptrIKdEEEESL_NS6_8equal_toIdEEEENSG_9not_fun_tINSD_8identityEEEEENSD_19counting_iterator_tIlEES8_S8_S8_S8_S8_S8_S8_S8_EEEEPS9_S9_NSD_9__find_if7functorIS9_EEEE10hipError_tPvRmT1_T2_T3_mT4_P12ihipStream_tbEUlT_E1_NS1_11comp_targetILNS1_3genE8ELNS1_11target_archE1030ELNS1_3gpuE2ELNS1_3repE0EEENS1_30default_config_static_selectorELNS0_4arch9wavefront6targetE0EEEvS14_.num_vgpr, 0
	.set _ZN7rocprim17ROCPRIM_400000_NS6detail17trampoline_kernelINS0_14default_configENS1_22reduce_config_selectorIN6thrust23THRUST_200600_302600_NS5tupleIblNS6_9null_typeES8_S8_S8_S8_S8_S8_S8_EEEEZNS1_11reduce_implILb1ES3_NS6_12zip_iteratorINS7_INS6_11hip_rocprim26transform_input_iterator_tIbNSD_35transform_pair_of_input_iterators_tIbNS6_6detail15normal_iteratorINS6_10device_ptrIKdEEEESL_NS6_8equal_toIdEEEENSG_9not_fun_tINSD_8identityEEEEENSD_19counting_iterator_tIlEES8_S8_S8_S8_S8_S8_S8_S8_EEEEPS9_S9_NSD_9__find_if7functorIS9_EEEE10hipError_tPvRmT1_T2_T3_mT4_P12ihipStream_tbEUlT_E1_NS1_11comp_targetILNS1_3genE8ELNS1_11target_archE1030ELNS1_3gpuE2ELNS1_3repE0EEENS1_30default_config_static_selectorELNS0_4arch9wavefront6targetE0EEEvS14_.num_agpr, 0
	.set _ZN7rocprim17ROCPRIM_400000_NS6detail17trampoline_kernelINS0_14default_configENS1_22reduce_config_selectorIN6thrust23THRUST_200600_302600_NS5tupleIblNS6_9null_typeES8_S8_S8_S8_S8_S8_S8_EEEEZNS1_11reduce_implILb1ES3_NS6_12zip_iteratorINS7_INS6_11hip_rocprim26transform_input_iterator_tIbNSD_35transform_pair_of_input_iterators_tIbNS6_6detail15normal_iteratorINS6_10device_ptrIKdEEEESL_NS6_8equal_toIdEEEENSG_9not_fun_tINSD_8identityEEEEENSD_19counting_iterator_tIlEES8_S8_S8_S8_S8_S8_S8_S8_EEEEPS9_S9_NSD_9__find_if7functorIS9_EEEE10hipError_tPvRmT1_T2_T3_mT4_P12ihipStream_tbEUlT_E1_NS1_11comp_targetILNS1_3genE8ELNS1_11target_archE1030ELNS1_3gpuE2ELNS1_3repE0EEENS1_30default_config_static_selectorELNS0_4arch9wavefront6targetE0EEEvS14_.numbered_sgpr, 0
	.set _ZN7rocprim17ROCPRIM_400000_NS6detail17trampoline_kernelINS0_14default_configENS1_22reduce_config_selectorIN6thrust23THRUST_200600_302600_NS5tupleIblNS6_9null_typeES8_S8_S8_S8_S8_S8_S8_EEEEZNS1_11reduce_implILb1ES3_NS6_12zip_iteratorINS7_INS6_11hip_rocprim26transform_input_iterator_tIbNSD_35transform_pair_of_input_iterators_tIbNS6_6detail15normal_iteratorINS6_10device_ptrIKdEEEESL_NS6_8equal_toIdEEEENSG_9not_fun_tINSD_8identityEEEEENSD_19counting_iterator_tIlEES8_S8_S8_S8_S8_S8_S8_S8_EEEEPS9_S9_NSD_9__find_if7functorIS9_EEEE10hipError_tPvRmT1_T2_T3_mT4_P12ihipStream_tbEUlT_E1_NS1_11comp_targetILNS1_3genE8ELNS1_11target_archE1030ELNS1_3gpuE2ELNS1_3repE0EEENS1_30default_config_static_selectorELNS0_4arch9wavefront6targetE0EEEvS14_.num_named_barrier, 0
	.set _ZN7rocprim17ROCPRIM_400000_NS6detail17trampoline_kernelINS0_14default_configENS1_22reduce_config_selectorIN6thrust23THRUST_200600_302600_NS5tupleIblNS6_9null_typeES8_S8_S8_S8_S8_S8_S8_EEEEZNS1_11reduce_implILb1ES3_NS6_12zip_iteratorINS7_INS6_11hip_rocprim26transform_input_iterator_tIbNSD_35transform_pair_of_input_iterators_tIbNS6_6detail15normal_iteratorINS6_10device_ptrIKdEEEESL_NS6_8equal_toIdEEEENSG_9not_fun_tINSD_8identityEEEEENSD_19counting_iterator_tIlEES8_S8_S8_S8_S8_S8_S8_S8_EEEEPS9_S9_NSD_9__find_if7functorIS9_EEEE10hipError_tPvRmT1_T2_T3_mT4_P12ihipStream_tbEUlT_E1_NS1_11comp_targetILNS1_3genE8ELNS1_11target_archE1030ELNS1_3gpuE2ELNS1_3repE0EEENS1_30default_config_static_selectorELNS0_4arch9wavefront6targetE0EEEvS14_.private_seg_size, 0
	.set _ZN7rocprim17ROCPRIM_400000_NS6detail17trampoline_kernelINS0_14default_configENS1_22reduce_config_selectorIN6thrust23THRUST_200600_302600_NS5tupleIblNS6_9null_typeES8_S8_S8_S8_S8_S8_S8_EEEEZNS1_11reduce_implILb1ES3_NS6_12zip_iteratorINS7_INS6_11hip_rocprim26transform_input_iterator_tIbNSD_35transform_pair_of_input_iterators_tIbNS6_6detail15normal_iteratorINS6_10device_ptrIKdEEEESL_NS6_8equal_toIdEEEENSG_9not_fun_tINSD_8identityEEEEENSD_19counting_iterator_tIlEES8_S8_S8_S8_S8_S8_S8_S8_EEEEPS9_S9_NSD_9__find_if7functorIS9_EEEE10hipError_tPvRmT1_T2_T3_mT4_P12ihipStream_tbEUlT_E1_NS1_11comp_targetILNS1_3genE8ELNS1_11target_archE1030ELNS1_3gpuE2ELNS1_3repE0EEENS1_30default_config_static_selectorELNS0_4arch9wavefront6targetE0EEEvS14_.uses_vcc, 0
	.set _ZN7rocprim17ROCPRIM_400000_NS6detail17trampoline_kernelINS0_14default_configENS1_22reduce_config_selectorIN6thrust23THRUST_200600_302600_NS5tupleIblNS6_9null_typeES8_S8_S8_S8_S8_S8_S8_EEEEZNS1_11reduce_implILb1ES3_NS6_12zip_iteratorINS7_INS6_11hip_rocprim26transform_input_iterator_tIbNSD_35transform_pair_of_input_iterators_tIbNS6_6detail15normal_iteratorINS6_10device_ptrIKdEEEESL_NS6_8equal_toIdEEEENSG_9not_fun_tINSD_8identityEEEEENSD_19counting_iterator_tIlEES8_S8_S8_S8_S8_S8_S8_S8_EEEEPS9_S9_NSD_9__find_if7functorIS9_EEEE10hipError_tPvRmT1_T2_T3_mT4_P12ihipStream_tbEUlT_E1_NS1_11comp_targetILNS1_3genE8ELNS1_11target_archE1030ELNS1_3gpuE2ELNS1_3repE0EEENS1_30default_config_static_selectorELNS0_4arch9wavefront6targetE0EEEvS14_.uses_flat_scratch, 0
	.set _ZN7rocprim17ROCPRIM_400000_NS6detail17trampoline_kernelINS0_14default_configENS1_22reduce_config_selectorIN6thrust23THRUST_200600_302600_NS5tupleIblNS6_9null_typeES8_S8_S8_S8_S8_S8_S8_EEEEZNS1_11reduce_implILb1ES3_NS6_12zip_iteratorINS7_INS6_11hip_rocprim26transform_input_iterator_tIbNSD_35transform_pair_of_input_iterators_tIbNS6_6detail15normal_iteratorINS6_10device_ptrIKdEEEESL_NS6_8equal_toIdEEEENSG_9not_fun_tINSD_8identityEEEEENSD_19counting_iterator_tIlEES8_S8_S8_S8_S8_S8_S8_S8_EEEEPS9_S9_NSD_9__find_if7functorIS9_EEEE10hipError_tPvRmT1_T2_T3_mT4_P12ihipStream_tbEUlT_E1_NS1_11comp_targetILNS1_3genE8ELNS1_11target_archE1030ELNS1_3gpuE2ELNS1_3repE0EEENS1_30default_config_static_selectorELNS0_4arch9wavefront6targetE0EEEvS14_.has_dyn_sized_stack, 0
	.set _ZN7rocprim17ROCPRIM_400000_NS6detail17trampoline_kernelINS0_14default_configENS1_22reduce_config_selectorIN6thrust23THRUST_200600_302600_NS5tupleIblNS6_9null_typeES8_S8_S8_S8_S8_S8_S8_EEEEZNS1_11reduce_implILb1ES3_NS6_12zip_iteratorINS7_INS6_11hip_rocprim26transform_input_iterator_tIbNSD_35transform_pair_of_input_iterators_tIbNS6_6detail15normal_iteratorINS6_10device_ptrIKdEEEESL_NS6_8equal_toIdEEEENSG_9not_fun_tINSD_8identityEEEEENSD_19counting_iterator_tIlEES8_S8_S8_S8_S8_S8_S8_S8_EEEEPS9_S9_NSD_9__find_if7functorIS9_EEEE10hipError_tPvRmT1_T2_T3_mT4_P12ihipStream_tbEUlT_E1_NS1_11comp_targetILNS1_3genE8ELNS1_11target_archE1030ELNS1_3gpuE2ELNS1_3repE0EEENS1_30default_config_static_selectorELNS0_4arch9wavefront6targetE0EEEvS14_.has_recursion, 0
	.set _ZN7rocprim17ROCPRIM_400000_NS6detail17trampoline_kernelINS0_14default_configENS1_22reduce_config_selectorIN6thrust23THRUST_200600_302600_NS5tupleIblNS6_9null_typeES8_S8_S8_S8_S8_S8_S8_EEEEZNS1_11reduce_implILb1ES3_NS6_12zip_iteratorINS7_INS6_11hip_rocprim26transform_input_iterator_tIbNSD_35transform_pair_of_input_iterators_tIbNS6_6detail15normal_iteratorINS6_10device_ptrIKdEEEESL_NS6_8equal_toIdEEEENSG_9not_fun_tINSD_8identityEEEEENSD_19counting_iterator_tIlEES8_S8_S8_S8_S8_S8_S8_S8_EEEEPS9_S9_NSD_9__find_if7functorIS9_EEEE10hipError_tPvRmT1_T2_T3_mT4_P12ihipStream_tbEUlT_E1_NS1_11comp_targetILNS1_3genE8ELNS1_11target_archE1030ELNS1_3gpuE2ELNS1_3repE0EEENS1_30default_config_static_selectorELNS0_4arch9wavefront6targetE0EEEvS14_.has_indirect_call, 0
	.section	.AMDGPU.csdata,"",@progbits
; Kernel info:
; codeLenInByte = 0
; TotalNumSgprs: 0
; NumVgprs: 0
; ScratchSize: 0
; MemoryBound: 0
; FloatMode: 240
; IeeeMode: 1
; LDSByteSize: 0 bytes/workgroup (compile time only)
; SGPRBlocks: 0
; VGPRBlocks: 0
; NumSGPRsForWavesPerEU: 1
; NumVGPRsForWavesPerEU: 1
; NamedBarCnt: 0
; Occupancy: 16
; WaveLimiterHint : 0
; COMPUTE_PGM_RSRC2:SCRATCH_EN: 0
; COMPUTE_PGM_RSRC2:USER_SGPR: 2
; COMPUTE_PGM_RSRC2:TRAP_HANDLER: 0
; COMPUTE_PGM_RSRC2:TGID_X_EN: 1
; COMPUTE_PGM_RSRC2:TGID_Y_EN: 0
; COMPUTE_PGM_RSRC2:TGID_Z_EN: 0
; COMPUTE_PGM_RSRC2:TIDIG_COMP_CNT: 0
	.section	.text._ZN6thrust23THRUST_200600_302600_NS11hip_rocprim14__parallel_for6kernelILj256ENS1_10for_each_fINS0_7pointerINS0_5tupleIblNS0_9null_typeES7_S7_S7_S7_S7_S7_S7_EENS1_3tagENS0_11use_defaultESA_EENS0_6detail16wrapped_functionINSC_23allocator_traits_detail24construct1_via_allocatorINSC_18no_throw_allocatorINSC_19temporary_allocatorIS8_S9_EEEEEEvEEEEmLj1EEEvT0_T1_SO_,"axG",@progbits,_ZN6thrust23THRUST_200600_302600_NS11hip_rocprim14__parallel_for6kernelILj256ENS1_10for_each_fINS0_7pointerINS0_5tupleIblNS0_9null_typeES7_S7_S7_S7_S7_S7_S7_EENS1_3tagENS0_11use_defaultESA_EENS0_6detail16wrapped_functionINSC_23allocator_traits_detail24construct1_via_allocatorINSC_18no_throw_allocatorINSC_19temporary_allocatorIS8_S9_EEEEEEvEEEEmLj1EEEvT0_T1_SO_,comdat
	.protected	_ZN6thrust23THRUST_200600_302600_NS11hip_rocprim14__parallel_for6kernelILj256ENS1_10for_each_fINS0_7pointerINS0_5tupleIblNS0_9null_typeES7_S7_S7_S7_S7_S7_S7_EENS1_3tagENS0_11use_defaultESA_EENS0_6detail16wrapped_functionINSC_23allocator_traits_detail24construct1_via_allocatorINSC_18no_throw_allocatorINSC_19temporary_allocatorIS8_S9_EEEEEEvEEEEmLj1EEEvT0_T1_SO_ ; -- Begin function _ZN6thrust23THRUST_200600_302600_NS11hip_rocprim14__parallel_for6kernelILj256ENS1_10for_each_fINS0_7pointerINS0_5tupleIblNS0_9null_typeES7_S7_S7_S7_S7_S7_S7_EENS1_3tagENS0_11use_defaultESA_EENS0_6detail16wrapped_functionINSC_23allocator_traits_detail24construct1_via_allocatorINSC_18no_throw_allocatorINSC_19temporary_allocatorIS8_S9_EEEEEEvEEEEmLj1EEEvT0_T1_SO_
	.globl	_ZN6thrust23THRUST_200600_302600_NS11hip_rocprim14__parallel_for6kernelILj256ENS1_10for_each_fINS0_7pointerINS0_5tupleIblNS0_9null_typeES7_S7_S7_S7_S7_S7_S7_EENS1_3tagENS0_11use_defaultESA_EENS0_6detail16wrapped_functionINSC_23allocator_traits_detail24construct1_via_allocatorINSC_18no_throw_allocatorINSC_19temporary_allocatorIS8_S9_EEEEEEvEEEEmLj1EEEvT0_T1_SO_
	.p2align	8
	.type	_ZN6thrust23THRUST_200600_302600_NS11hip_rocprim14__parallel_for6kernelILj256ENS1_10for_each_fINS0_7pointerINS0_5tupleIblNS0_9null_typeES7_S7_S7_S7_S7_S7_S7_EENS1_3tagENS0_11use_defaultESA_EENS0_6detail16wrapped_functionINSC_23allocator_traits_detail24construct1_via_allocatorINSC_18no_throw_allocatorINSC_19temporary_allocatorIS8_S9_EEEEEEvEEEEmLj1EEEvT0_T1_SO_,@function
_ZN6thrust23THRUST_200600_302600_NS11hip_rocprim14__parallel_for6kernelILj256ENS1_10for_each_fINS0_7pointerINS0_5tupleIblNS0_9null_typeES7_S7_S7_S7_S7_S7_S7_EENS1_3tagENS0_11use_defaultESA_EENS0_6detail16wrapped_functionINSC_23allocator_traits_detail24construct1_via_allocatorINSC_18no_throw_allocatorINSC_19temporary_allocatorIS8_S9_EEEEEEvEEEEmLj1EEEvT0_T1_SO_: ; @_ZN6thrust23THRUST_200600_302600_NS11hip_rocprim14__parallel_for6kernelILj256ENS1_10for_each_fINS0_7pointerINS0_5tupleIblNS0_9null_typeES7_S7_S7_S7_S7_S7_S7_EENS1_3tagENS0_11use_defaultESA_EENS0_6detail16wrapped_functionINSC_23allocator_traits_detail24construct1_via_allocatorINSC_18no_throw_allocatorINSC_19temporary_allocatorIS8_S9_EEEEEEvEEEEmLj1EEEvT0_T1_SO_
; %bb.0:
	s_load_b128 s[4:7], s[0:1], 0x10
	s_bfe_u32 s2, ttmp6, 0x4000c
	s_and_b32 s3, ttmp6, 15
	s_add_co_i32 s2, s2, 1
	s_getreg_b32 s8, hwreg(HW_REG_IB_STS2, 6, 4)
	s_mul_i32 s2, ttmp9, s2
	s_wait_xcnt 0x0
	s_load_b64 s[0:1], s[0:1], 0x0
	s_add_co_i32 s3, s3, s2
	s_cmp_eq_u32 s8, 0
	s_cselect_b32 s2, ttmp9, s3
	s_mov_b32 s3, 0
	s_lshl_b32 s2, s2, 8
	s_wait_kmcnt 0x0
	s_add_nc_u64 s[2:3], s[6:7], s[2:3]
	s_delay_alu instid0(SALU_CYCLE_1) | instskip(NEXT) | instid1(SALU_CYCLE_1)
	s_sub_nc_u64 s[4:5], s[4:5], s[2:3]
	v_cmp_lt_u64_e64 s5, 0xff, s[4:5]
	s_and_b32 vcc_lo, exec_lo, s5
	s_mov_b32 s5, -1
	s_cbranch_vccz .LBB55_3
; %bb.1:
	s_and_not1_b32 vcc_lo, exec_lo, s5
	s_cbranch_vccz .LBB55_6
.LBB55_2:
	s_endpgm
.LBB55_3:
	v_cmp_gt_u32_e32 vcc_lo, s4, v0
	s_and_saveexec_b32 s4, vcc_lo
	s_cbranch_execz .LBB55_5
; %bb.4:
	v_mov_b64_e32 v[2:3], 0
	v_dual_mov_b32 v4, 0 :: v_dual_lshlrev_b32 v1, 4, v0
	s_lshl_b64 s[6:7], s[2:3], 4
	s_delay_alu instid0(SALU_CYCLE_1)
	s_add_nc_u64 s[6:7], s[0:1], s[6:7]
	s_clause 0x1
	flat_store_b8 v1, v4, s[6:7]
	flat_store_b64 v1, v[2:3], s[6:7] offset:8
.LBB55_5:
	s_wait_xcnt 0x0
	s_or_b32 exec_lo, exec_lo, s4
	s_cbranch_execnz .LBB55_2
.LBB55_6:
	v_dual_mov_b32 v3, 0 :: v_dual_lshlrev_b32 v2, 4, v0
	v_mov_b64_e32 v[0:1], 0
	s_lshl_b64 s[2:3], s[2:3], 4
	s_delay_alu instid0(SALU_CYCLE_1)
	s_add_nc_u64 s[0:1], s[0:1], s[2:3]
	s_clause 0x1
	flat_store_b8 v2, v3, s[0:1]
	flat_store_b64 v2, v[0:1], s[0:1] offset:8
	s_endpgm
	.section	.rodata,"a",@progbits
	.p2align	6, 0x0
	.amdhsa_kernel _ZN6thrust23THRUST_200600_302600_NS11hip_rocprim14__parallel_for6kernelILj256ENS1_10for_each_fINS0_7pointerINS0_5tupleIblNS0_9null_typeES7_S7_S7_S7_S7_S7_S7_EENS1_3tagENS0_11use_defaultESA_EENS0_6detail16wrapped_functionINSC_23allocator_traits_detail24construct1_via_allocatorINSC_18no_throw_allocatorINSC_19temporary_allocatorIS8_S9_EEEEEEvEEEEmLj1EEEvT0_T1_SO_
		.amdhsa_group_segment_fixed_size 0
		.amdhsa_private_segment_fixed_size 0
		.amdhsa_kernarg_size 32
		.amdhsa_user_sgpr_count 2
		.amdhsa_user_sgpr_dispatch_ptr 0
		.amdhsa_user_sgpr_queue_ptr 0
		.amdhsa_user_sgpr_kernarg_segment_ptr 1
		.amdhsa_user_sgpr_dispatch_id 0
		.amdhsa_user_sgpr_kernarg_preload_length 0
		.amdhsa_user_sgpr_kernarg_preload_offset 0
		.amdhsa_user_sgpr_private_segment_size 0
		.amdhsa_wavefront_size32 1
		.amdhsa_uses_dynamic_stack 0
		.amdhsa_enable_private_segment 0
		.amdhsa_system_sgpr_workgroup_id_x 1
		.amdhsa_system_sgpr_workgroup_id_y 0
		.amdhsa_system_sgpr_workgroup_id_z 0
		.amdhsa_system_sgpr_workgroup_info 0
		.amdhsa_system_vgpr_workitem_id 0
		.amdhsa_next_free_vgpr 5
		.amdhsa_next_free_sgpr 9
		.amdhsa_named_barrier_count 0
		.amdhsa_reserve_vcc 1
		.amdhsa_float_round_mode_32 0
		.amdhsa_float_round_mode_16_64 0
		.amdhsa_float_denorm_mode_32 3
		.amdhsa_float_denorm_mode_16_64 3
		.amdhsa_fp16_overflow 0
		.amdhsa_memory_ordered 1
		.amdhsa_forward_progress 1
		.amdhsa_inst_pref_size 2
		.amdhsa_round_robin_scheduling 0
		.amdhsa_exception_fp_ieee_invalid_op 0
		.amdhsa_exception_fp_denorm_src 0
		.amdhsa_exception_fp_ieee_div_zero 0
		.amdhsa_exception_fp_ieee_overflow 0
		.amdhsa_exception_fp_ieee_underflow 0
		.amdhsa_exception_fp_ieee_inexact 0
		.amdhsa_exception_int_div_zero 0
	.end_amdhsa_kernel
	.section	.text._ZN6thrust23THRUST_200600_302600_NS11hip_rocprim14__parallel_for6kernelILj256ENS1_10for_each_fINS0_7pointerINS0_5tupleIblNS0_9null_typeES7_S7_S7_S7_S7_S7_S7_EENS1_3tagENS0_11use_defaultESA_EENS0_6detail16wrapped_functionINSC_23allocator_traits_detail24construct1_via_allocatorINSC_18no_throw_allocatorINSC_19temporary_allocatorIS8_S9_EEEEEEvEEEEmLj1EEEvT0_T1_SO_,"axG",@progbits,_ZN6thrust23THRUST_200600_302600_NS11hip_rocprim14__parallel_for6kernelILj256ENS1_10for_each_fINS0_7pointerINS0_5tupleIblNS0_9null_typeES7_S7_S7_S7_S7_S7_S7_EENS1_3tagENS0_11use_defaultESA_EENS0_6detail16wrapped_functionINSC_23allocator_traits_detail24construct1_via_allocatorINSC_18no_throw_allocatorINSC_19temporary_allocatorIS8_S9_EEEEEEvEEEEmLj1EEEvT0_T1_SO_,comdat
.Lfunc_end55:
	.size	_ZN6thrust23THRUST_200600_302600_NS11hip_rocprim14__parallel_for6kernelILj256ENS1_10for_each_fINS0_7pointerINS0_5tupleIblNS0_9null_typeES7_S7_S7_S7_S7_S7_S7_EENS1_3tagENS0_11use_defaultESA_EENS0_6detail16wrapped_functionINSC_23allocator_traits_detail24construct1_via_allocatorINSC_18no_throw_allocatorINSC_19temporary_allocatorIS8_S9_EEEEEEvEEEEmLj1EEEvT0_T1_SO_, .Lfunc_end55-_ZN6thrust23THRUST_200600_302600_NS11hip_rocprim14__parallel_for6kernelILj256ENS1_10for_each_fINS0_7pointerINS0_5tupleIblNS0_9null_typeES7_S7_S7_S7_S7_S7_S7_EENS1_3tagENS0_11use_defaultESA_EENS0_6detail16wrapped_functionINSC_23allocator_traits_detail24construct1_via_allocatorINSC_18no_throw_allocatorINSC_19temporary_allocatorIS8_S9_EEEEEEvEEEEmLj1EEEvT0_T1_SO_
                                        ; -- End function
	.set _ZN6thrust23THRUST_200600_302600_NS11hip_rocprim14__parallel_for6kernelILj256ENS1_10for_each_fINS0_7pointerINS0_5tupleIblNS0_9null_typeES7_S7_S7_S7_S7_S7_S7_EENS1_3tagENS0_11use_defaultESA_EENS0_6detail16wrapped_functionINSC_23allocator_traits_detail24construct1_via_allocatorINSC_18no_throw_allocatorINSC_19temporary_allocatorIS8_S9_EEEEEEvEEEEmLj1EEEvT0_T1_SO_.num_vgpr, 5
	.set _ZN6thrust23THRUST_200600_302600_NS11hip_rocprim14__parallel_for6kernelILj256ENS1_10for_each_fINS0_7pointerINS0_5tupleIblNS0_9null_typeES7_S7_S7_S7_S7_S7_S7_EENS1_3tagENS0_11use_defaultESA_EENS0_6detail16wrapped_functionINSC_23allocator_traits_detail24construct1_via_allocatorINSC_18no_throw_allocatorINSC_19temporary_allocatorIS8_S9_EEEEEEvEEEEmLj1EEEvT0_T1_SO_.num_agpr, 0
	.set _ZN6thrust23THRUST_200600_302600_NS11hip_rocprim14__parallel_for6kernelILj256ENS1_10for_each_fINS0_7pointerINS0_5tupleIblNS0_9null_typeES7_S7_S7_S7_S7_S7_S7_EENS1_3tagENS0_11use_defaultESA_EENS0_6detail16wrapped_functionINSC_23allocator_traits_detail24construct1_via_allocatorINSC_18no_throw_allocatorINSC_19temporary_allocatorIS8_S9_EEEEEEvEEEEmLj1EEEvT0_T1_SO_.numbered_sgpr, 9
	.set _ZN6thrust23THRUST_200600_302600_NS11hip_rocprim14__parallel_for6kernelILj256ENS1_10for_each_fINS0_7pointerINS0_5tupleIblNS0_9null_typeES7_S7_S7_S7_S7_S7_S7_EENS1_3tagENS0_11use_defaultESA_EENS0_6detail16wrapped_functionINSC_23allocator_traits_detail24construct1_via_allocatorINSC_18no_throw_allocatorINSC_19temporary_allocatorIS8_S9_EEEEEEvEEEEmLj1EEEvT0_T1_SO_.num_named_barrier, 0
	.set _ZN6thrust23THRUST_200600_302600_NS11hip_rocprim14__parallel_for6kernelILj256ENS1_10for_each_fINS0_7pointerINS0_5tupleIblNS0_9null_typeES7_S7_S7_S7_S7_S7_S7_EENS1_3tagENS0_11use_defaultESA_EENS0_6detail16wrapped_functionINSC_23allocator_traits_detail24construct1_via_allocatorINSC_18no_throw_allocatorINSC_19temporary_allocatorIS8_S9_EEEEEEvEEEEmLj1EEEvT0_T1_SO_.private_seg_size, 0
	.set _ZN6thrust23THRUST_200600_302600_NS11hip_rocprim14__parallel_for6kernelILj256ENS1_10for_each_fINS0_7pointerINS0_5tupleIblNS0_9null_typeES7_S7_S7_S7_S7_S7_S7_EENS1_3tagENS0_11use_defaultESA_EENS0_6detail16wrapped_functionINSC_23allocator_traits_detail24construct1_via_allocatorINSC_18no_throw_allocatorINSC_19temporary_allocatorIS8_S9_EEEEEEvEEEEmLj1EEEvT0_T1_SO_.uses_vcc, 1
	.set _ZN6thrust23THRUST_200600_302600_NS11hip_rocprim14__parallel_for6kernelILj256ENS1_10for_each_fINS0_7pointerINS0_5tupleIblNS0_9null_typeES7_S7_S7_S7_S7_S7_S7_EENS1_3tagENS0_11use_defaultESA_EENS0_6detail16wrapped_functionINSC_23allocator_traits_detail24construct1_via_allocatorINSC_18no_throw_allocatorINSC_19temporary_allocatorIS8_S9_EEEEEEvEEEEmLj1EEEvT0_T1_SO_.uses_flat_scratch, 1
	.set _ZN6thrust23THRUST_200600_302600_NS11hip_rocprim14__parallel_for6kernelILj256ENS1_10for_each_fINS0_7pointerINS0_5tupleIblNS0_9null_typeES7_S7_S7_S7_S7_S7_S7_EENS1_3tagENS0_11use_defaultESA_EENS0_6detail16wrapped_functionINSC_23allocator_traits_detail24construct1_via_allocatorINSC_18no_throw_allocatorINSC_19temporary_allocatorIS8_S9_EEEEEEvEEEEmLj1EEEvT0_T1_SO_.has_dyn_sized_stack, 0
	.set _ZN6thrust23THRUST_200600_302600_NS11hip_rocprim14__parallel_for6kernelILj256ENS1_10for_each_fINS0_7pointerINS0_5tupleIblNS0_9null_typeES7_S7_S7_S7_S7_S7_S7_EENS1_3tagENS0_11use_defaultESA_EENS0_6detail16wrapped_functionINSC_23allocator_traits_detail24construct1_via_allocatorINSC_18no_throw_allocatorINSC_19temporary_allocatorIS8_S9_EEEEEEvEEEEmLj1EEEvT0_T1_SO_.has_recursion, 0
	.set _ZN6thrust23THRUST_200600_302600_NS11hip_rocprim14__parallel_for6kernelILj256ENS1_10for_each_fINS0_7pointerINS0_5tupleIblNS0_9null_typeES7_S7_S7_S7_S7_S7_S7_EENS1_3tagENS0_11use_defaultESA_EENS0_6detail16wrapped_functionINSC_23allocator_traits_detail24construct1_via_allocatorINSC_18no_throw_allocatorINSC_19temporary_allocatorIS8_S9_EEEEEEvEEEEmLj1EEEvT0_T1_SO_.has_indirect_call, 0
	.section	.AMDGPU.csdata,"",@progbits
; Kernel info:
; codeLenInByte = 248
; TotalNumSgprs: 11
; NumVgprs: 5
; ScratchSize: 0
; MemoryBound: 0
; FloatMode: 240
; IeeeMode: 1
; LDSByteSize: 0 bytes/workgroup (compile time only)
; SGPRBlocks: 0
; VGPRBlocks: 0
; NumSGPRsForWavesPerEU: 11
; NumVGPRsForWavesPerEU: 5
; NamedBarCnt: 0
; Occupancy: 16
; WaveLimiterHint : 0
; COMPUTE_PGM_RSRC2:SCRATCH_EN: 0
; COMPUTE_PGM_RSRC2:USER_SGPR: 2
; COMPUTE_PGM_RSRC2:TRAP_HANDLER: 0
; COMPUTE_PGM_RSRC2:TGID_X_EN: 1
; COMPUTE_PGM_RSRC2:TGID_Y_EN: 0
; COMPUTE_PGM_RSRC2:TGID_Z_EN: 0
; COMPUTE_PGM_RSRC2:TIDIG_COMP_CNT: 0
	.section	.text._ZN6thrust23THRUST_200600_302600_NS11hip_rocprim14__parallel_for6kernelILj256ENS1_10for_each_fINS0_7pointerINS0_5tupleIblNS0_9null_typeES7_S7_S7_S7_S7_S7_S7_EENS1_3tagENS0_11use_defaultESA_EENS0_6detail16wrapped_functionINSC_23allocator_traits_detail5gozerEvEEEElLj1EEEvT0_T1_SJ_,"axG",@progbits,_ZN6thrust23THRUST_200600_302600_NS11hip_rocprim14__parallel_for6kernelILj256ENS1_10for_each_fINS0_7pointerINS0_5tupleIblNS0_9null_typeES7_S7_S7_S7_S7_S7_S7_EENS1_3tagENS0_11use_defaultESA_EENS0_6detail16wrapped_functionINSC_23allocator_traits_detail5gozerEvEEEElLj1EEEvT0_T1_SJ_,comdat
	.protected	_ZN6thrust23THRUST_200600_302600_NS11hip_rocprim14__parallel_for6kernelILj256ENS1_10for_each_fINS0_7pointerINS0_5tupleIblNS0_9null_typeES7_S7_S7_S7_S7_S7_S7_EENS1_3tagENS0_11use_defaultESA_EENS0_6detail16wrapped_functionINSC_23allocator_traits_detail5gozerEvEEEElLj1EEEvT0_T1_SJ_ ; -- Begin function _ZN6thrust23THRUST_200600_302600_NS11hip_rocprim14__parallel_for6kernelILj256ENS1_10for_each_fINS0_7pointerINS0_5tupleIblNS0_9null_typeES7_S7_S7_S7_S7_S7_S7_EENS1_3tagENS0_11use_defaultESA_EENS0_6detail16wrapped_functionINSC_23allocator_traits_detail5gozerEvEEEElLj1EEEvT0_T1_SJ_
	.globl	_ZN6thrust23THRUST_200600_302600_NS11hip_rocprim14__parallel_for6kernelILj256ENS1_10for_each_fINS0_7pointerINS0_5tupleIblNS0_9null_typeES7_S7_S7_S7_S7_S7_S7_EENS1_3tagENS0_11use_defaultESA_EENS0_6detail16wrapped_functionINSC_23allocator_traits_detail5gozerEvEEEElLj1EEEvT0_T1_SJ_
	.p2align	8
	.type	_ZN6thrust23THRUST_200600_302600_NS11hip_rocprim14__parallel_for6kernelILj256ENS1_10for_each_fINS0_7pointerINS0_5tupleIblNS0_9null_typeES7_S7_S7_S7_S7_S7_S7_EENS1_3tagENS0_11use_defaultESA_EENS0_6detail16wrapped_functionINSC_23allocator_traits_detail5gozerEvEEEElLj1EEEvT0_T1_SJ_,@function
_ZN6thrust23THRUST_200600_302600_NS11hip_rocprim14__parallel_for6kernelILj256ENS1_10for_each_fINS0_7pointerINS0_5tupleIblNS0_9null_typeES7_S7_S7_S7_S7_S7_S7_EENS1_3tagENS0_11use_defaultESA_EENS0_6detail16wrapped_functionINSC_23allocator_traits_detail5gozerEvEEEElLj1EEEvT0_T1_SJ_: ; @_ZN6thrust23THRUST_200600_302600_NS11hip_rocprim14__parallel_for6kernelILj256ENS1_10for_each_fINS0_7pointerINS0_5tupleIblNS0_9null_typeES7_S7_S7_S7_S7_S7_S7_EENS1_3tagENS0_11use_defaultESA_EENS0_6detail16wrapped_functionINSC_23allocator_traits_detail5gozerEvEEEElLj1EEEvT0_T1_SJ_
; %bb.0:
	s_endpgm
	.section	.rodata,"a",@progbits
	.p2align	6, 0x0
	.amdhsa_kernel _ZN6thrust23THRUST_200600_302600_NS11hip_rocprim14__parallel_for6kernelILj256ENS1_10for_each_fINS0_7pointerINS0_5tupleIblNS0_9null_typeES7_S7_S7_S7_S7_S7_S7_EENS1_3tagENS0_11use_defaultESA_EENS0_6detail16wrapped_functionINSC_23allocator_traits_detail5gozerEvEEEElLj1EEEvT0_T1_SJ_
		.amdhsa_group_segment_fixed_size 0
		.amdhsa_private_segment_fixed_size 0
		.amdhsa_kernarg_size 32
		.amdhsa_user_sgpr_count 2
		.amdhsa_user_sgpr_dispatch_ptr 0
		.amdhsa_user_sgpr_queue_ptr 0
		.amdhsa_user_sgpr_kernarg_segment_ptr 1
		.amdhsa_user_sgpr_dispatch_id 0
		.amdhsa_user_sgpr_kernarg_preload_length 0
		.amdhsa_user_sgpr_kernarg_preload_offset 0
		.amdhsa_user_sgpr_private_segment_size 0
		.amdhsa_wavefront_size32 1
		.amdhsa_uses_dynamic_stack 0
		.amdhsa_enable_private_segment 0
		.amdhsa_system_sgpr_workgroup_id_x 1
		.amdhsa_system_sgpr_workgroup_id_y 0
		.amdhsa_system_sgpr_workgroup_id_z 0
		.amdhsa_system_sgpr_workgroup_info 0
		.amdhsa_system_vgpr_workitem_id 0
		.amdhsa_next_free_vgpr 1
		.amdhsa_next_free_sgpr 1
		.amdhsa_named_barrier_count 0
		.amdhsa_reserve_vcc 0
		.amdhsa_float_round_mode_32 0
		.amdhsa_float_round_mode_16_64 0
		.amdhsa_float_denorm_mode_32 3
		.amdhsa_float_denorm_mode_16_64 3
		.amdhsa_fp16_overflow 0
		.amdhsa_memory_ordered 1
		.amdhsa_forward_progress 1
		.amdhsa_inst_pref_size 1
		.amdhsa_round_robin_scheduling 0
		.amdhsa_exception_fp_ieee_invalid_op 0
		.amdhsa_exception_fp_denorm_src 0
		.amdhsa_exception_fp_ieee_div_zero 0
		.amdhsa_exception_fp_ieee_overflow 0
		.amdhsa_exception_fp_ieee_underflow 0
		.amdhsa_exception_fp_ieee_inexact 0
		.amdhsa_exception_int_div_zero 0
	.end_amdhsa_kernel
	.section	.text._ZN6thrust23THRUST_200600_302600_NS11hip_rocprim14__parallel_for6kernelILj256ENS1_10for_each_fINS0_7pointerINS0_5tupleIblNS0_9null_typeES7_S7_S7_S7_S7_S7_S7_EENS1_3tagENS0_11use_defaultESA_EENS0_6detail16wrapped_functionINSC_23allocator_traits_detail5gozerEvEEEElLj1EEEvT0_T1_SJ_,"axG",@progbits,_ZN6thrust23THRUST_200600_302600_NS11hip_rocprim14__parallel_for6kernelILj256ENS1_10for_each_fINS0_7pointerINS0_5tupleIblNS0_9null_typeES7_S7_S7_S7_S7_S7_S7_EENS1_3tagENS0_11use_defaultESA_EENS0_6detail16wrapped_functionINSC_23allocator_traits_detail5gozerEvEEEElLj1EEEvT0_T1_SJ_,comdat
.Lfunc_end56:
	.size	_ZN6thrust23THRUST_200600_302600_NS11hip_rocprim14__parallel_for6kernelILj256ENS1_10for_each_fINS0_7pointerINS0_5tupleIblNS0_9null_typeES7_S7_S7_S7_S7_S7_S7_EENS1_3tagENS0_11use_defaultESA_EENS0_6detail16wrapped_functionINSC_23allocator_traits_detail5gozerEvEEEElLj1EEEvT0_T1_SJ_, .Lfunc_end56-_ZN6thrust23THRUST_200600_302600_NS11hip_rocprim14__parallel_for6kernelILj256ENS1_10for_each_fINS0_7pointerINS0_5tupleIblNS0_9null_typeES7_S7_S7_S7_S7_S7_S7_EENS1_3tagENS0_11use_defaultESA_EENS0_6detail16wrapped_functionINSC_23allocator_traits_detail5gozerEvEEEElLj1EEEvT0_T1_SJ_
                                        ; -- End function
	.set _ZN6thrust23THRUST_200600_302600_NS11hip_rocprim14__parallel_for6kernelILj256ENS1_10for_each_fINS0_7pointerINS0_5tupleIblNS0_9null_typeES7_S7_S7_S7_S7_S7_S7_EENS1_3tagENS0_11use_defaultESA_EENS0_6detail16wrapped_functionINSC_23allocator_traits_detail5gozerEvEEEElLj1EEEvT0_T1_SJ_.num_vgpr, 0
	.set _ZN6thrust23THRUST_200600_302600_NS11hip_rocprim14__parallel_for6kernelILj256ENS1_10for_each_fINS0_7pointerINS0_5tupleIblNS0_9null_typeES7_S7_S7_S7_S7_S7_S7_EENS1_3tagENS0_11use_defaultESA_EENS0_6detail16wrapped_functionINSC_23allocator_traits_detail5gozerEvEEEElLj1EEEvT0_T1_SJ_.num_agpr, 0
	.set _ZN6thrust23THRUST_200600_302600_NS11hip_rocprim14__parallel_for6kernelILj256ENS1_10for_each_fINS0_7pointerINS0_5tupleIblNS0_9null_typeES7_S7_S7_S7_S7_S7_S7_EENS1_3tagENS0_11use_defaultESA_EENS0_6detail16wrapped_functionINSC_23allocator_traits_detail5gozerEvEEEElLj1EEEvT0_T1_SJ_.numbered_sgpr, 0
	.set _ZN6thrust23THRUST_200600_302600_NS11hip_rocprim14__parallel_for6kernelILj256ENS1_10for_each_fINS0_7pointerINS0_5tupleIblNS0_9null_typeES7_S7_S7_S7_S7_S7_S7_EENS1_3tagENS0_11use_defaultESA_EENS0_6detail16wrapped_functionINSC_23allocator_traits_detail5gozerEvEEEElLj1EEEvT0_T1_SJ_.num_named_barrier, 0
	.set _ZN6thrust23THRUST_200600_302600_NS11hip_rocprim14__parallel_for6kernelILj256ENS1_10for_each_fINS0_7pointerINS0_5tupleIblNS0_9null_typeES7_S7_S7_S7_S7_S7_S7_EENS1_3tagENS0_11use_defaultESA_EENS0_6detail16wrapped_functionINSC_23allocator_traits_detail5gozerEvEEEElLj1EEEvT0_T1_SJ_.private_seg_size, 0
	.set _ZN6thrust23THRUST_200600_302600_NS11hip_rocprim14__parallel_for6kernelILj256ENS1_10for_each_fINS0_7pointerINS0_5tupleIblNS0_9null_typeES7_S7_S7_S7_S7_S7_S7_EENS1_3tagENS0_11use_defaultESA_EENS0_6detail16wrapped_functionINSC_23allocator_traits_detail5gozerEvEEEElLj1EEEvT0_T1_SJ_.uses_vcc, 0
	.set _ZN6thrust23THRUST_200600_302600_NS11hip_rocprim14__parallel_for6kernelILj256ENS1_10for_each_fINS0_7pointerINS0_5tupleIblNS0_9null_typeES7_S7_S7_S7_S7_S7_S7_EENS1_3tagENS0_11use_defaultESA_EENS0_6detail16wrapped_functionINSC_23allocator_traits_detail5gozerEvEEEElLj1EEEvT0_T1_SJ_.uses_flat_scratch, 0
	.set _ZN6thrust23THRUST_200600_302600_NS11hip_rocprim14__parallel_for6kernelILj256ENS1_10for_each_fINS0_7pointerINS0_5tupleIblNS0_9null_typeES7_S7_S7_S7_S7_S7_S7_EENS1_3tagENS0_11use_defaultESA_EENS0_6detail16wrapped_functionINSC_23allocator_traits_detail5gozerEvEEEElLj1EEEvT0_T1_SJ_.has_dyn_sized_stack, 0
	.set _ZN6thrust23THRUST_200600_302600_NS11hip_rocprim14__parallel_for6kernelILj256ENS1_10for_each_fINS0_7pointerINS0_5tupleIblNS0_9null_typeES7_S7_S7_S7_S7_S7_S7_EENS1_3tagENS0_11use_defaultESA_EENS0_6detail16wrapped_functionINSC_23allocator_traits_detail5gozerEvEEEElLj1EEEvT0_T1_SJ_.has_recursion, 0
	.set _ZN6thrust23THRUST_200600_302600_NS11hip_rocprim14__parallel_for6kernelILj256ENS1_10for_each_fINS0_7pointerINS0_5tupleIblNS0_9null_typeES7_S7_S7_S7_S7_S7_S7_EENS1_3tagENS0_11use_defaultESA_EENS0_6detail16wrapped_functionINSC_23allocator_traits_detail5gozerEvEEEElLj1EEEvT0_T1_SJ_.has_indirect_call, 0
	.section	.AMDGPU.csdata,"",@progbits
; Kernel info:
; codeLenInByte = 4
; TotalNumSgprs: 0
; NumVgprs: 0
; ScratchSize: 0
; MemoryBound: 0
; FloatMode: 240
; IeeeMode: 1
; LDSByteSize: 0 bytes/workgroup (compile time only)
; SGPRBlocks: 0
; VGPRBlocks: 0
; NumSGPRsForWavesPerEU: 1
; NumVGPRsForWavesPerEU: 1
; NamedBarCnt: 0
; Occupancy: 16
; WaveLimiterHint : 0
; COMPUTE_PGM_RSRC2:SCRATCH_EN: 0
; COMPUTE_PGM_RSRC2:USER_SGPR: 2
; COMPUTE_PGM_RSRC2:TRAP_HANDLER: 0
; COMPUTE_PGM_RSRC2:TGID_X_EN: 1
; COMPUTE_PGM_RSRC2:TGID_Y_EN: 0
; COMPUTE_PGM_RSRC2:TGID_Z_EN: 0
; COMPUTE_PGM_RSRC2:TIDIG_COMP_CNT: 0
	.section	.text._ZN6thrust23THRUST_200600_302600_NS11hip_rocprim14__parallel_for6kernelILj256ENS1_20__uninitialized_copy7functorIPNS0_5tupleIblNS0_9null_typeES7_S7_S7_S7_S7_S7_S7_EENS0_7pointerIS8_NS1_3tagENS0_11use_defaultESC_EEEEmLj1EEEvT0_T1_SG_,"axG",@progbits,_ZN6thrust23THRUST_200600_302600_NS11hip_rocprim14__parallel_for6kernelILj256ENS1_20__uninitialized_copy7functorIPNS0_5tupleIblNS0_9null_typeES7_S7_S7_S7_S7_S7_S7_EENS0_7pointerIS8_NS1_3tagENS0_11use_defaultESC_EEEEmLj1EEEvT0_T1_SG_,comdat
	.protected	_ZN6thrust23THRUST_200600_302600_NS11hip_rocprim14__parallel_for6kernelILj256ENS1_20__uninitialized_copy7functorIPNS0_5tupleIblNS0_9null_typeES7_S7_S7_S7_S7_S7_S7_EENS0_7pointerIS8_NS1_3tagENS0_11use_defaultESC_EEEEmLj1EEEvT0_T1_SG_ ; -- Begin function _ZN6thrust23THRUST_200600_302600_NS11hip_rocprim14__parallel_for6kernelILj256ENS1_20__uninitialized_copy7functorIPNS0_5tupleIblNS0_9null_typeES7_S7_S7_S7_S7_S7_S7_EENS0_7pointerIS8_NS1_3tagENS0_11use_defaultESC_EEEEmLj1EEEvT0_T1_SG_
	.globl	_ZN6thrust23THRUST_200600_302600_NS11hip_rocprim14__parallel_for6kernelILj256ENS1_20__uninitialized_copy7functorIPNS0_5tupleIblNS0_9null_typeES7_S7_S7_S7_S7_S7_S7_EENS0_7pointerIS8_NS1_3tagENS0_11use_defaultESC_EEEEmLj1EEEvT0_T1_SG_
	.p2align	8
	.type	_ZN6thrust23THRUST_200600_302600_NS11hip_rocprim14__parallel_for6kernelILj256ENS1_20__uninitialized_copy7functorIPNS0_5tupleIblNS0_9null_typeES7_S7_S7_S7_S7_S7_S7_EENS0_7pointerIS8_NS1_3tagENS0_11use_defaultESC_EEEEmLj1EEEvT0_T1_SG_,@function
_ZN6thrust23THRUST_200600_302600_NS11hip_rocprim14__parallel_for6kernelILj256ENS1_20__uninitialized_copy7functorIPNS0_5tupleIblNS0_9null_typeES7_S7_S7_S7_S7_S7_S7_EENS0_7pointerIS8_NS1_3tagENS0_11use_defaultESC_EEEEmLj1EEEvT0_T1_SG_: ; @_ZN6thrust23THRUST_200600_302600_NS11hip_rocprim14__parallel_for6kernelILj256ENS1_20__uninitialized_copy7functorIPNS0_5tupleIblNS0_9null_typeES7_S7_S7_S7_S7_S7_S7_EENS0_7pointerIS8_NS1_3tagENS0_11use_defaultESC_EEEEmLj1EEEvT0_T1_SG_
; %bb.0:
	s_load_b256 s[4:11], s[0:1], 0x0
	s_wait_xcnt 0x0
	s_bfe_u32 s0, ttmp6, 0x4000c
	s_and_b32 s1, ttmp6, 15
	s_add_co_i32 s0, s0, 1
	s_getreg_b32 s2, hwreg(HW_REG_IB_STS2, 6, 4)
	s_mul_i32 s0, ttmp9, s0
	s_mov_b32 s3, 0
	s_add_co_i32 s1, s1, s0
	s_cmp_eq_u32 s2, 0
	s_cselect_b32 s0, ttmp9, s1
	s_delay_alu instid0(SALU_CYCLE_1) | instskip(SKIP_2) | instid1(SALU_CYCLE_1)
	s_lshl_b32 s2, s0, 8
	s_wait_kmcnt 0x0
	s_add_nc_u64 s[0:1], s[10:11], s[2:3]
	s_sub_nc_u64 s[8:9], s[8:9], s[0:1]
	s_delay_alu instid0(SALU_CYCLE_1)
	v_cmp_lt_u64_e64 s2, 0xff, s[8:9]
	s_and_b32 vcc_lo, exec_lo, s2
	s_mov_b32 s2, -1
	s_cbranch_vccz .LBB57_4
; %bb.1:
	s_and_not1_b32 vcc_lo, exec_lo, s2
	s_cbranch_vccz .LBB57_5
.LBB57_2:
	s_and_saveexec_b32 s2, s3
	s_cbranch_execnz .LBB57_6
.LBB57_3:
	s_endpgm
.LBB57_4:
	v_cmp_gt_u32_e32 vcc_lo, s8, v0
	s_and_b32 s3, vcc_lo, exec_lo
	s_cbranch_execnz .LBB57_2
.LBB57_5:
	s_or_b32 s3, s3, exec_lo
	s_delay_alu instid0(SALU_CYCLE_1)
	s_and_saveexec_b32 s2, s3
	s_cbranch_execz .LBB57_3
.LBB57_6:
	v_mov_b32_e32 v1, 0
	s_delay_alu instid0(VALU_DEP_1) | instskip(NEXT) | instid1(VALU_DEP_1)
	v_add_nc_u64_e32 v[0:1], s[0:1], v[0:1]
	v_lshlrev_b64_e32 v[4:5], 4, v[0:1]
	s_delay_alu instid0(VALU_DEP_1)
	v_add_nc_u64_e32 v[0:1], s[4:5], v[4:5]
	v_add_nc_u64_e32 v[4:5], s[6:7], v[4:5]
	global_load_b128 v[0:3], v[0:1], off
	s_wait_loadcnt 0x0
	flat_store_b128 v[4:5], v[0:3]
	s_endpgm
	.section	.rodata,"a",@progbits
	.p2align	6, 0x0
	.amdhsa_kernel _ZN6thrust23THRUST_200600_302600_NS11hip_rocprim14__parallel_for6kernelILj256ENS1_20__uninitialized_copy7functorIPNS0_5tupleIblNS0_9null_typeES7_S7_S7_S7_S7_S7_S7_EENS0_7pointerIS8_NS1_3tagENS0_11use_defaultESC_EEEEmLj1EEEvT0_T1_SG_
		.amdhsa_group_segment_fixed_size 0
		.amdhsa_private_segment_fixed_size 0
		.amdhsa_kernarg_size 32
		.amdhsa_user_sgpr_count 2
		.amdhsa_user_sgpr_dispatch_ptr 0
		.amdhsa_user_sgpr_queue_ptr 0
		.amdhsa_user_sgpr_kernarg_segment_ptr 1
		.amdhsa_user_sgpr_dispatch_id 0
		.amdhsa_user_sgpr_kernarg_preload_length 0
		.amdhsa_user_sgpr_kernarg_preload_offset 0
		.amdhsa_user_sgpr_private_segment_size 0
		.amdhsa_wavefront_size32 1
		.amdhsa_uses_dynamic_stack 0
		.amdhsa_enable_private_segment 0
		.amdhsa_system_sgpr_workgroup_id_x 1
		.amdhsa_system_sgpr_workgroup_id_y 0
		.amdhsa_system_sgpr_workgroup_id_z 0
		.amdhsa_system_sgpr_workgroup_info 0
		.amdhsa_system_vgpr_workitem_id 0
		.amdhsa_next_free_vgpr 6
		.amdhsa_next_free_sgpr 12
		.amdhsa_named_barrier_count 0
		.amdhsa_reserve_vcc 1
		.amdhsa_float_round_mode_32 0
		.amdhsa_float_round_mode_16_64 0
		.amdhsa_float_denorm_mode_32 3
		.amdhsa_float_denorm_mode_16_64 3
		.amdhsa_fp16_overflow 0
		.amdhsa_memory_ordered 1
		.amdhsa_forward_progress 1
		.amdhsa_inst_pref_size 2
		.amdhsa_round_robin_scheduling 0
		.amdhsa_exception_fp_ieee_invalid_op 0
		.amdhsa_exception_fp_denorm_src 0
		.amdhsa_exception_fp_ieee_div_zero 0
		.amdhsa_exception_fp_ieee_overflow 0
		.amdhsa_exception_fp_ieee_underflow 0
		.amdhsa_exception_fp_ieee_inexact 0
		.amdhsa_exception_int_div_zero 0
	.end_amdhsa_kernel
	.section	.text._ZN6thrust23THRUST_200600_302600_NS11hip_rocprim14__parallel_for6kernelILj256ENS1_20__uninitialized_copy7functorIPNS0_5tupleIblNS0_9null_typeES7_S7_S7_S7_S7_S7_S7_EENS0_7pointerIS8_NS1_3tagENS0_11use_defaultESC_EEEEmLj1EEEvT0_T1_SG_,"axG",@progbits,_ZN6thrust23THRUST_200600_302600_NS11hip_rocprim14__parallel_for6kernelILj256ENS1_20__uninitialized_copy7functorIPNS0_5tupleIblNS0_9null_typeES7_S7_S7_S7_S7_S7_S7_EENS0_7pointerIS8_NS1_3tagENS0_11use_defaultESC_EEEEmLj1EEEvT0_T1_SG_,comdat
.Lfunc_end57:
	.size	_ZN6thrust23THRUST_200600_302600_NS11hip_rocprim14__parallel_for6kernelILj256ENS1_20__uninitialized_copy7functorIPNS0_5tupleIblNS0_9null_typeES7_S7_S7_S7_S7_S7_S7_EENS0_7pointerIS8_NS1_3tagENS0_11use_defaultESC_EEEEmLj1EEEvT0_T1_SG_, .Lfunc_end57-_ZN6thrust23THRUST_200600_302600_NS11hip_rocprim14__parallel_for6kernelILj256ENS1_20__uninitialized_copy7functorIPNS0_5tupleIblNS0_9null_typeES7_S7_S7_S7_S7_S7_S7_EENS0_7pointerIS8_NS1_3tagENS0_11use_defaultESC_EEEEmLj1EEEvT0_T1_SG_
                                        ; -- End function
	.set _ZN6thrust23THRUST_200600_302600_NS11hip_rocprim14__parallel_for6kernelILj256ENS1_20__uninitialized_copy7functorIPNS0_5tupleIblNS0_9null_typeES7_S7_S7_S7_S7_S7_S7_EENS0_7pointerIS8_NS1_3tagENS0_11use_defaultESC_EEEEmLj1EEEvT0_T1_SG_.num_vgpr, 6
	.set _ZN6thrust23THRUST_200600_302600_NS11hip_rocprim14__parallel_for6kernelILj256ENS1_20__uninitialized_copy7functorIPNS0_5tupleIblNS0_9null_typeES7_S7_S7_S7_S7_S7_S7_EENS0_7pointerIS8_NS1_3tagENS0_11use_defaultESC_EEEEmLj1EEEvT0_T1_SG_.num_agpr, 0
	.set _ZN6thrust23THRUST_200600_302600_NS11hip_rocprim14__parallel_for6kernelILj256ENS1_20__uninitialized_copy7functorIPNS0_5tupleIblNS0_9null_typeES7_S7_S7_S7_S7_S7_S7_EENS0_7pointerIS8_NS1_3tagENS0_11use_defaultESC_EEEEmLj1EEEvT0_T1_SG_.numbered_sgpr, 12
	.set _ZN6thrust23THRUST_200600_302600_NS11hip_rocprim14__parallel_for6kernelILj256ENS1_20__uninitialized_copy7functorIPNS0_5tupleIblNS0_9null_typeES7_S7_S7_S7_S7_S7_S7_EENS0_7pointerIS8_NS1_3tagENS0_11use_defaultESC_EEEEmLj1EEEvT0_T1_SG_.num_named_barrier, 0
	.set _ZN6thrust23THRUST_200600_302600_NS11hip_rocprim14__parallel_for6kernelILj256ENS1_20__uninitialized_copy7functorIPNS0_5tupleIblNS0_9null_typeES7_S7_S7_S7_S7_S7_S7_EENS0_7pointerIS8_NS1_3tagENS0_11use_defaultESC_EEEEmLj1EEEvT0_T1_SG_.private_seg_size, 0
	.set _ZN6thrust23THRUST_200600_302600_NS11hip_rocprim14__parallel_for6kernelILj256ENS1_20__uninitialized_copy7functorIPNS0_5tupleIblNS0_9null_typeES7_S7_S7_S7_S7_S7_S7_EENS0_7pointerIS8_NS1_3tagENS0_11use_defaultESC_EEEEmLj1EEEvT0_T1_SG_.uses_vcc, 1
	.set _ZN6thrust23THRUST_200600_302600_NS11hip_rocprim14__parallel_for6kernelILj256ENS1_20__uninitialized_copy7functorIPNS0_5tupleIblNS0_9null_typeES7_S7_S7_S7_S7_S7_S7_EENS0_7pointerIS8_NS1_3tagENS0_11use_defaultESC_EEEEmLj1EEEvT0_T1_SG_.uses_flat_scratch, 0
	.set _ZN6thrust23THRUST_200600_302600_NS11hip_rocprim14__parallel_for6kernelILj256ENS1_20__uninitialized_copy7functorIPNS0_5tupleIblNS0_9null_typeES7_S7_S7_S7_S7_S7_S7_EENS0_7pointerIS8_NS1_3tagENS0_11use_defaultESC_EEEEmLj1EEEvT0_T1_SG_.has_dyn_sized_stack, 0
	.set _ZN6thrust23THRUST_200600_302600_NS11hip_rocprim14__parallel_for6kernelILj256ENS1_20__uninitialized_copy7functorIPNS0_5tupleIblNS0_9null_typeES7_S7_S7_S7_S7_S7_S7_EENS0_7pointerIS8_NS1_3tagENS0_11use_defaultESC_EEEEmLj1EEEvT0_T1_SG_.has_recursion, 0
	.set _ZN6thrust23THRUST_200600_302600_NS11hip_rocprim14__parallel_for6kernelILj256ENS1_20__uninitialized_copy7functorIPNS0_5tupleIblNS0_9null_typeES7_S7_S7_S7_S7_S7_S7_EENS0_7pointerIS8_NS1_3tagENS0_11use_defaultESC_EEEEmLj1EEEvT0_T1_SG_.has_indirect_call, 0
	.section	.AMDGPU.csdata,"",@progbits
; Kernel info:
; codeLenInByte = 208
; TotalNumSgprs: 14
; NumVgprs: 6
; ScratchSize: 0
; MemoryBound: 0
; FloatMode: 240
; IeeeMode: 1
; LDSByteSize: 0 bytes/workgroup (compile time only)
; SGPRBlocks: 0
; VGPRBlocks: 0
; NumSGPRsForWavesPerEU: 14
; NumVGPRsForWavesPerEU: 6
; NamedBarCnt: 0
; Occupancy: 16
; WaveLimiterHint : 0
; COMPUTE_PGM_RSRC2:SCRATCH_EN: 0
; COMPUTE_PGM_RSRC2:USER_SGPR: 2
; COMPUTE_PGM_RSRC2:TRAP_HANDLER: 0
; COMPUTE_PGM_RSRC2:TGID_X_EN: 1
; COMPUTE_PGM_RSRC2:TGID_Y_EN: 0
; COMPUTE_PGM_RSRC2:TGID_Z_EN: 0
; COMPUTE_PGM_RSRC2:TIDIG_COMP_CNT: 0
	.section	.text._ZN6thrust23THRUST_200600_302600_NS11hip_rocprim14__parallel_for6kernelILj256ENS1_20__uninitialized_fill7functorINS0_10device_ptrIfEEfEEmLj1EEEvT0_T1_SA_,"axG",@progbits,_ZN6thrust23THRUST_200600_302600_NS11hip_rocprim14__parallel_for6kernelILj256ENS1_20__uninitialized_fill7functorINS0_10device_ptrIfEEfEEmLj1EEEvT0_T1_SA_,comdat
	.protected	_ZN6thrust23THRUST_200600_302600_NS11hip_rocprim14__parallel_for6kernelILj256ENS1_20__uninitialized_fill7functorINS0_10device_ptrIfEEfEEmLj1EEEvT0_T1_SA_ ; -- Begin function _ZN6thrust23THRUST_200600_302600_NS11hip_rocprim14__parallel_for6kernelILj256ENS1_20__uninitialized_fill7functorINS0_10device_ptrIfEEfEEmLj1EEEvT0_T1_SA_
	.globl	_ZN6thrust23THRUST_200600_302600_NS11hip_rocprim14__parallel_for6kernelILj256ENS1_20__uninitialized_fill7functorINS0_10device_ptrIfEEfEEmLj1EEEvT0_T1_SA_
	.p2align	8
	.type	_ZN6thrust23THRUST_200600_302600_NS11hip_rocprim14__parallel_for6kernelILj256ENS1_20__uninitialized_fill7functorINS0_10device_ptrIfEEfEEmLj1EEEvT0_T1_SA_,@function
_ZN6thrust23THRUST_200600_302600_NS11hip_rocprim14__parallel_for6kernelILj256ENS1_20__uninitialized_fill7functorINS0_10device_ptrIfEEfEEmLj1EEEvT0_T1_SA_: ; @_ZN6thrust23THRUST_200600_302600_NS11hip_rocprim14__parallel_for6kernelILj256ENS1_20__uninitialized_fill7functorINS0_10device_ptrIfEEfEEmLj1EEEvT0_T1_SA_
; %bb.0:
	s_load_b128 s[8:11], s[0:1], 0x10
	s_bfe_u32 s2, ttmp6, 0x4000c
	s_and_b32 s3, ttmp6, 15
	s_add_co_i32 s2, s2, 1
	s_getreg_b32 s4, hwreg(HW_REG_IB_STS2, 6, 4)
	s_mul_i32 s2, ttmp9, s2
	s_delay_alu instid0(SALU_CYCLE_1)
	s_add_co_i32 s3, s3, s2
	s_cmp_eq_u32 s4, 0
	s_load_b96 s[4:6], s[0:1], 0x0
	s_wait_xcnt 0x0
	s_cselect_b32 s0, ttmp9, s3
	s_mov_b32 s1, 0
	s_lshl_b32 s0, s0, 8
	s_wait_kmcnt 0x0
	s_add_nc_u64 s[0:1], s[10:11], s[0:1]
	s_delay_alu instid0(SALU_CYCLE_1) | instskip(NEXT) | instid1(SALU_CYCLE_1)
	s_sub_nc_u64 s[2:3], s[8:9], s[0:1]
	v_cmp_lt_u64_e64 s3, 0xff, s[2:3]
	s_and_b32 vcc_lo, exec_lo, s3
	s_mov_b32 s3, -1
	s_cbranch_vccz .LBB58_3
; %bb.1:
	s_and_not1_b32 vcc_lo, exec_lo, s3
	s_cbranch_vccz .LBB58_6
.LBB58_2:
	s_endpgm
.LBB58_3:
	v_cmp_gt_u32_e32 vcc_lo, s2, v0
	s_and_saveexec_b32 s2, vcc_lo
	s_cbranch_execz .LBB58_5
; %bb.4:
	v_mov_b32_e32 v1, s6
	s_lshl_b64 s[8:9], s[0:1], 2
	s_delay_alu instid0(SALU_CYCLE_1)
	s_add_nc_u64 s[8:9], s[4:5], s[8:9]
	flat_store_b32 v0, v1, s[8:9] scale_offset
.LBB58_5:
	s_wait_xcnt 0x0
	s_or_b32 exec_lo, exec_lo, s2
	s_cbranch_execnz .LBB58_2
.LBB58_6:
	v_mov_b32_e32 v1, s6
	s_lshl_b64 s[0:1], s[0:1], 2
	s_delay_alu instid0(SALU_CYCLE_1)
	s_add_nc_u64 s[0:1], s[4:5], s[0:1]
	flat_store_b32 v0, v1, s[0:1] scale_offset
	s_endpgm
	.section	.rodata,"a",@progbits
	.p2align	6, 0x0
	.amdhsa_kernel _ZN6thrust23THRUST_200600_302600_NS11hip_rocprim14__parallel_for6kernelILj256ENS1_20__uninitialized_fill7functorINS0_10device_ptrIfEEfEEmLj1EEEvT0_T1_SA_
		.amdhsa_group_segment_fixed_size 0
		.amdhsa_private_segment_fixed_size 0
		.amdhsa_kernarg_size 32
		.amdhsa_user_sgpr_count 2
		.amdhsa_user_sgpr_dispatch_ptr 0
		.amdhsa_user_sgpr_queue_ptr 0
		.amdhsa_user_sgpr_kernarg_segment_ptr 1
		.amdhsa_user_sgpr_dispatch_id 0
		.amdhsa_user_sgpr_kernarg_preload_length 0
		.amdhsa_user_sgpr_kernarg_preload_offset 0
		.amdhsa_user_sgpr_private_segment_size 0
		.amdhsa_wavefront_size32 1
		.amdhsa_uses_dynamic_stack 0
		.amdhsa_enable_private_segment 0
		.amdhsa_system_sgpr_workgroup_id_x 1
		.amdhsa_system_sgpr_workgroup_id_y 0
		.amdhsa_system_sgpr_workgroup_id_z 0
		.amdhsa_system_sgpr_workgroup_info 0
		.amdhsa_system_vgpr_workitem_id 0
		.amdhsa_next_free_vgpr 2
		.amdhsa_next_free_sgpr 12
		.amdhsa_named_barrier_count 0
		.amdhsa_reserve_vcc 1
		.amdhsa_float_round_mode_32 0
		.amdhsa_float_round_mode_16_64 0
		.amdhsa_float_denorm_mode_32 3
		.amdhsa_float_denorm_mode_16_64 3
		.amdhsa_fp16_overflow 0
		.amdhsa_memory_ordered 1
		.amdhsa_forward_progress 1
		.amdhsa_inst_pref_size 2
		.amdhsa_round_robin_scheduling 0
		.amdhsa_exception_fp_ieee_invalid_op 0
		.amdhsa_exception_fp_denorm_src 0
		.amdhsa_exception_fp_ieee_div_zero 0
		.amdhsa_exception_fp_ieee_overflow 0
		.amdhsa_exception_fp_ieee_underflow 0
		.amdhsa_exception_fp_ieee_inexact 0
		.amdhsa_exception_int_div_zero 0
	.end_amdhsa_kernel
	.section	.text._ZN6thrust23THRUST_200600_302600_NS11hip_rocprim14__parallel_for6kernelILj256ENS1_20__uninitialized_fill7functorINS0_10device_ptrIfEEfEEmLj1EEEvT0_T1_SA_,"axG",@progbits,_ZN6thrust23THRUST_200600_302600_NS11hip_rocprim14__parallel_for6kernelILj256ENS1_20__uninitialized_fill7functorINS0_10device_ptrIfEEfEEmLj1EEEvT0_T1_SA_,comdat
.Lfunc_end58:
	.size	_ZN6thrust23THRUST_200600_302600_NS11hip_rocprim14__parallel_for6kernelILj256ENS1_20__uninitialized_fill7functorINS0_10device_ptrIfEEfEEmLj1EEEvT0_T1_SA_, .Lfunc_end58-_ZN6thrust23THRUST_200600_302600_NS11hip_rocprim14__parallel_for6kernelILj256ENS1_20__uninitialized_fill7functorINS0_10device_ptrIfEEfEEmLj1EEEvT0_T1_SA_
                                        ; -- End function
	.set _ZN6thrust23THRUST_200600_302600_NS11hip_rocprim14__parallel_for6kernelILj256ENS1_20__uninitialized_fill7functorINS0_10device_ptrIfEEfEEmLj1EEEvT0_T1_SA_.num_vgpr, 2
	.set _ZN6thrust23THRUST_200600_302600_NS11hip_rocprim14__parallel_for6kernelILj256ENS1_20__uninitialized_fill7functorINS0_10device_ptrIfEEfEEmLj1EEEvT0_T1_SA_.num_agpr, 0
	.set _ZN6thrust23THRUST_200600_302600_NS11hip_rocprim14__parallel_for6kernelILj256ENS1_20__uninitialized_fill7functorINS0_10device_ptrIfEEfEEmLj1EEEvT0_T1_SA_.numbered_sgpr, 12
	.set _ZN6thrust23THRUST_200600_302600_NS11hip_rocprim14__parallel_for6kernelILj256ENS1_20__uninitialized_fill7functorINS0_10device_ptrIfEEfEEmLj1EEEvT0_T1_SA_.num_named_barrier, 0
	.set _ZN6thrust23THRUST_200600_302600_NS11hip_rocprim14__parallel_for6kernelILj256ENS1_20__uninitialized_fill7functorINS0_10device_ptrIfEEfEEmLj1EEEvT0_T1_SA_.private_seg_size, 0
	.set _ZN6thrust23THRUST_200600_302600_NS11hip_rocprim14__parallel_for6kernelILj256ENS1_20__uninitialized_fill7functorINS0_10device_ptrIfEEfEEmLj1EEEvT0_T1_SA_.uses_vcc, 1
	.set _ZN6thrust23THRUST_200600_302600_NS11hip_rocprim14__parallel_for6kernelILj256ENS1_20__uninitialized_fill7functorINS0_10device_ptrIfEEfEEmLj1EEEvT0_T1_SA_.uses_flat_scratch, 0
	.set _ZN6thrust23THRUST_200600_302600_NS11hip_rocprim14__parallel_for6kernelILj256ENS1_20__uninitialized_fill7functorINS0_10device_ptrIfEEfEEmLj1EEEvT0_T1_SA_.has_dyn_sized_stack, 0
	.set _ZN6thrust23THRUST_200600_302600_NS11hip_rocprim14__parallel_for6kernelILj256ENS1_20__uninitialized_fill7functorINS0_10device_ptrIfEEfEEmLj1EEEvT0_T1_SA_.has_recursion, 0
	.set _ZN6thrust23THRUST_200600_302600_NS11hip_rocprim14__parallel_for6kernelILj256ENS1_20__uninitialized_fill7functorINS0_10device_ptrIfEEfEEmLj1EEEvT0_T1_SA_.has_indirect_call, 0
	.section	.AMDGPU.csdata,"",@progbits
; Kernel info:
; codeLenInByte = 204
; TotalNumSgprs: 14
; NumVgprs: 2
; ScratchSize: 0
; MemoryBound: 0
; FloatMode: 240
; IeeeMode: 1
; LDSByteSize: 0 bytes/workgroup (compile time only)
; SGPRBlocks: 0
; VGPRBlocks: 0
; NumSGPRsForWavesPerEU: 14
; NumVGPRsForWavesPerEU: 2
; NamedBarCnt: 0
; Occupancy: 16
; WaveLimiterHint : 0
; COMPUTE_PGM_RSRC2:SCRATCH_EN: 0
; COMPUTE_PGM_RSRC2:USER_SGPR: 2
; COMPUTE_PGM_RSRC2:TRAP_HANDLER: 0
; COMPUTE_PGM_RSRC2:TGID_X_EN: 1
; COMPUTE_PGM_RSRC2:TGID_Y_EN: 0
; COMPUTE_PGM_RSRC2:TGID_Z_EN: 0
; COMPUTE_PGM_RSRC2:TIDIG_COMP_CNT: 0
	.section	.text._ZN7rocprim17ROCPRIM_400000_NS6detail17trampoline_kernelINS0_14default_configENS1_21merge_config_selectorINS0_5tupleIJffEEENS0_10empty_typeEEEZNS1_10merge_implIS3_NS0_12zip_iteratorINS5_IJN6thrust23THRUST_200600_302600_NS6detail15normal_iteratorINSC_10device_ptrIKfEEEESI_EEEEESK_NSA_INS5_IJNSE_INSF_IfEEEESM_EEEEEPS7_SP_SP_NSC_11hip_rocprim7__merge17predicate_wrapperIffNSC_4lessIfEEEEEE10hipError_tPvRmT0_T1_T2_T3_T4_T5_mmT6_P12ihipStream_tbEUlT_E_NS1_11comp_targetILNS1_3genE0ELNS1_11target_archE4294967295ELNS1_3gpuE0ELNS1_3repE0EEENS1_30default_config_static_selectorELNS0_4arch9wavefront6targetE0EEEvS10_,"axG",@progbits,_ZN7rocprim17ROCPRIM_400000_NS6detail17trampoline_kernelINS0_14default_configENS1_21merge_config_selectorINS0_5tupleIJffEEENS0_10empty_typeEEEZNS1_10merge_implIS3_NS0_12zip_iteratorINS5_IJN6thrust23THRUST_200600_302600_NS6detail15normal_iteratorINSC_10device_ptrIKfEEEESI_EEEEESK_NSA_INS5_IJNSE_INSF_IfEEEESM_EEEEEPS7_SP_SP_NSC_11hip_rocprim7__merge17predicate_wrapperIffNSC_4lessIfEEEEEE10hipError_tPvRmT0_T1_T2_T3_T4_T5_mmT6_P12ihipStream_tbEUlT_E_NS1_11comp_targetILNS1_3genE0ELNS1_11target_archE4294967295ELNS1_3gpuE0ELNS1_3repE0EEENS1_30default_config_static_selectorELNS0_4arch9wavefront6targetE0EEEvS10_,comdat
	.protected	_ZN7rocprim17ROCPRIM_400000_NS6detail17trampoline_kernelINS0_14default_configENS1_21merge_config_selectorINS0_5tupleIJffEEENS0_10empty_typeEEEZNS1_10merge_implIS3_NS0_12zip_iteratorINS5_IJN6thrust23THRUST_200600_302600_NS6detail15normal_iteratorINSC_10device_ptrIKfEEEESI_EEEEESK_NSA_INS5_IJNSE_INSF_IfEEEESM_EEEEEPS7_SP_SP_NSC_11hip_rocprim7__merge17predicate_wrapperIffNSC_4lessIfEEEEEE10hipError_tPvRmT0_T1_T2_T3_T4_T5_mmT6_P12ihipStream_tbEUlT_E_NS1_11comp_targetILNS1_3genE0ELNS1_11target_archE4294967295ELNS1_3gpuE0ELNS1_3repE0EEENS1_30default_config_static_selectorELNS0_4arch9wavefront6targetE0EEEvS10_ ; -- Begin function _ZN7rocprim17ROCPRIM_400000_NS6detail17trampoline_kernelINS0_14default_configENS1_21merge_config_selectorINS0_5tupleIJffEEENS0_10empty_typeEEEZNS1_10merge_implIS3_NS0_12zip_iteratorINS5_IJN6thrust23THRUST_200600_302600_NS6detail15normal_iteratorINSC_10device_ptrIKfEEEESI_EEEEESK_NSA_INS5_IJNSE_INSF_IfEEEESM_EEEEEPS7_SP_SP_NSC_11hip_rocprim7__merge17predicate_wrapperIffNSC_4lessIfEEEEEE10hipError_tPvRmT0_T1_T2_T3_T4_T5_mmT6_P12ihipStream_tbEUlT_E_NS1_11comp_targetILNS1_3genE0ELNS1_11target_archE4294967295ELNS1_3gpuE0ELNS1_3repE0EEENS1_30default_config_static_selectorELNS0_4arch9wavefront6targetE0EEEvS10_
	.globl	_ZN7rocprim17ROCPRIM_400000_NS6detail17trampoline_kernelINS0_14default_configENS1_21merge_config_selectorINS0_5tupleIJffEEENS0_10empty_typeEEEZNS1_10merge_implIS3_NS0_12zip_iteratorINS5_IJN6thrust23THRUST_200600_302600_NS6detail15normal_iteratorINSC_10device_ptrIKfEEEESI_EEEEESK_NSA_INS5_IJNSE_INSF_IfEEEESM_EEEEEPS7_SP_SP_NSC_11hip_rocprim7__merge17predicate_wrapperIffNSC_4lessIfEEEEEE10hipError_tPvRmT0_T1_T2_T3_T4_T5_mmT6_P12ihipStream_tbEUlT_E_NS1_11comp_targetILNS1_3genE0ELNS1_11target_archE4294967295ELNS1_3gpuE0ELNS1_3repE0EEENS1_30default_config_static_selectorELNS0_4arch9wavefront6targetE0EEEvS10_
	.p2align	8
	.type	_ZN7rocprim17ROCPRIM_400000_NS6detail17trampoline_kernelINS0_14default_configENS1_21merge_config_selectorINS0_5tupleIJffEEENS0_10empty_typeEEEZNS1_10merge_implIS3_NS0_12zip_iteratorINS5_IJN6thrust23THRUST_200600_302600_NS6detail15normal_iteratorINSC_10device_ptrIKfEEEESI_EEEEESK_NSA_INS5_IJNSE_INSF_IfEEEESM_EEEEEPS7_SP_SP_NSC_11hip_rocprim7__merge17predicate_wrapperIffNSC_4lessIfEEEEEE10hipError_tPvRmT0_T1_T2_T3_T4_T5_mmT6_P12ihipStream_tbEUlT_E_NS1_11comp_targetILNS1_3genE0ELNS1_11target_archE4294967295ELNS1_3gpuE0ELNS1_3repE0EEENS1_30default_config_static_selectorELNS0_4arch9wavefront6targetE0EEEvS10_,@function
_ZN7rocprim17ROCPRIM_400000_NS6detail17trampoline_kernelINS0_14default_configENS1_21merge_config_selectorINS0_5tupleIJffEEENS0_10empty_typeEEEZNS1_10merge_implIS3_NS0_12zip_iteratorINS5_IJN6thrust23THRUST_200600_302600_NS6detail15normal_iteratorINSC_10device_ptrIKfEEEESI_EEEEESK_NSA_INS5_IJNSE_INSF_IfEEEESM_EEEEEPS7_SP_SP_NSC_11hip_rocprim7__merge17predicate_wrapperIffNSC_4lessIfEEEEEE10hipError_tPvRmT0_T1_T2_T3_T4_T5_mmT6_P12ihipStream_tbEUlT_E_NS1_11comp_targetILNS1_3genE0ELNS1_11target_archE4294967295ELNS1_3gpuE0ELNS1_3repE0EEENS1_30default_config_static_selectorELNS0_4arch9wavefront6targetE0EEEvS10_: ; @_ZN7rocprim17ROCPRIM_400000_NS6detail17trampoline_kernelINS0_14default_configENS1_21merge_config_selectorINS0_5tupleIJffEEENS0_10empty_typeEEEZNS1_10merge_implIS3_NS0_12zip_iteratorINS5_IJN6thrust23THRUST_200600_302600_NS6detail15normal_iteratorINSC_10device_ptrIKfEEEESI_EEEEESK_NSA_INS5_IJNSE_INSF_IfEEEESM_EEEEEPS7_SP_SP_NSC_11hip_rocprim7__merge17predicate_wrapperIffNSC_4lessIfEEEEEE10hipError_tPvRmT0_T1_T2_T3_T4_T5_mmT6_P12ihipStream_tbEUlT_E_NS1_11comp_targetILNS1_3genE0ELNS1_11target_archE4294967295ELNS1_3gpuE0ELNS1_3repE0EEENS1_30default_config_static_selectorELNS0_4arch9wavefront6targetE0EEEvS10_
; %bb.0:
	s_clause 0x2
	s_load_b32 s4, s[0:1], 0x38
	s_load_b32 s2, s[0:1], 0x4c
	s_load_b128 s[8:11], s[0:1], 0x28
	s_getreg_b32 s7, hwreg(HW_REG_IB_STS2, 6, 4)
	s_wait_kmcnt 0x0
	s_cvt_f32_u32 s3, s4
	s_and_b32 s6, s2, 0xffff
	s_and_b32 s2, ttmp6, 15
	s_delay_alu instid0(SALU_CYCLE_1) | instskip(SKIP_1) | instid1(SALU_CYCLE_1)
	v_rcp_iflag_f32_e32 v1, s3
	s_bfe_u32 s3, ttmp6, 0x4000c
	s_add_co_i32 s3, s3, 1
	s_delay_alu instid0(SALU_CYCLE_1) | instskip(NEXT) | instid1(SALU_CYCLE_1)
	s_mul_i32 s3, ttmp9, s3
	s_add_co_i32 s2, s2, s3
	v_nop
	s_delay_alu instid0(TRANS32_DEP_1)
	v_readfirstlane_b32 s5, v1
	s_cmp_eq_u32 s7, 0
	s_cselect_b32 s7, ttmp9, s2
	s_sub_co_i32 s12, 0, s4
	s_mul_f32 s5, s5, 0x4f7ffffe
	s_add_nc_u64 s[2:3], s[10:11], s[8:9]
	v_mad_u32 v6, s7, s6, v0
	s_add_co_i32 s13, s4, s2
	s_cvt_u32_f32 s5, s5
	s_add_co_i32 s13, s13, -1
	s_delay_alu instid0(SALU_CYCLE_2) | instskip(NEXT) | instid1(SALU_CYCLE_1)
	s_mul_i32 s12, s12, s5
	s_mul_hi_u32 s12, s5, s12
	s_delay_alu instid0(SALU_CYCLE_1) | instskip(NEXT) | instid1(SALU_CYCLE_1)
	s_add_co_i32 s5, s5, s12
	s_mul_hi_u32 s5, s13, s5
	s_delay_alu instid0(SALU_CYCLE_1) | instskip(SKIP_2) | instid1(SALU_CYCLE_1)
	s_mul_i32 s12, s5, s4
	s_add_co_i32 s7, s5, 1
	s_sub_co_i32 s6, s13, s12
	s_sub_co_i32 s12, s6, s4
	s_cmp_ge_u32 s6, s4
	s_cselect_b32 s5, s7, s5
	s_cselect_b32 s6, s12, s6
	s_add_co_i32 s7, s5, 1
	s_cmp_ge_u32 s6, s4
	s_cselect_b32 s5, s7, s5
	s_delay_alu instid0(SALU_CYCLE_1)
	v_cmp_ge_u32_e32 vcc_lo, s5, v6
	s_and_saveexec_b32 s5, vcc_lo
	s_cbranch_execz .LBB59_6
; %bb.1:
	v_mul_lo_u32 v0, v6, s4
	v_mov_b32_e32 v1, 0
	s_load_b128 s[4:7], s[0:1], 0x0
	s_delay_alu instid0(VALU_DEP_1) | instskip(SKIP_1) | instid1(VALU_DEP_1)
	v_min_u64 v[4:5], v[0:1], s[2:3]
	s_mov_b32 s2, exec_lo
	v_max_u64 v[0:1], v[4:5], s[10:11]
	v_min_u64 v[2:3], v[4:5], s[8:9]
	s_delay_alu instid0(VALU_DEP_2) | instskip(NEXT) | instid1(VALU_DEP_1)
	v_sub_nc_u64_e64 v[0:1], v[0:1], s[10:11]
	v_cmpx_lt_u64_e64 v[0:1], v[2:3]
	s_cbranch_execz .LBB59_5
; %bb.2:
	s_wait_xcnt 0x0
	s_load_b64 s[0:1], s[0:1], 0x18
	s_wait_kmcnt 0x0
	v_lshl_add_u64 v[4:5], v[4:5], 2, s[0:1]
	s_mov_b32 s0, 0
.LBB59_3:                               ; =>This Inner Loop Header: Depth=1
	v_add_nc_u64_e32 v[8:9], v[2:3], v[0:1]
	s_delay_alu instid0(VALU_DEP_1) | instskip(NEXT) | instid1(VALU_DEP_1)
	v_lshrrev_b64 v[8:9], 1, v[8:9]
	v_lshlrev_b64_e32 v[10:11], 2, v[8:9]
	s_delay_alu instid0(VALU_DEP_1) | instskip(NEXT) | instid1(VALU_DEP_2)
	v_xor_b32_e32 v13, -1, v11
	v_xor_b32_e32 v12, -4, v10
	v_add_nc_u64_e32 v[10:11], s[6:7], v[10:11]
	s_delay_alu instid0(VALU_DEP_2)
	v_add_nc_u64_e32 v[12:13], v[4:5], v[12:13]
	global_load_b32 v7, v[10:11], off
	global_load_b32 v14, v[12:13], off
	s_wait_xcnt 0x1
	v_add_nc_u64_e32 v[10:11], 1, v[8:9]
	s_wait_loadcnt 0x0
	v_cmp_lt_f32_e32 vcc_lo, v14, v7
	v_dual_cndmask_b32 v3, v3, v9 :: v_dual_cndmask_b32 v2, v2, v8
	s_delay_alu instid0(VALU_DEP_3) | instskip(NEXT) | instid1(VALU_DEP_1)
	v_dual_cndmask_b32 v1, v11, v1 :: v_dual_cndmask_b32 v0, v10, v0
	v_cmp_ge_u64_e32 vcc_lo, v[0:1], v[2:3]
	s_or_b32 s0, vcc_lo, s0
	s_delay_alu instid0(SALU_CYCLE_1)
	s_and_not1_b32 exec_lo, exec_lo, s0
	s_cbranch_execnz .LBB59_3
; %bb.4:
	s_or_b32 exec_lo, exec_lo, s0
.LBB59_5:
	s_delay_alu instid0(SALU_CYCLE_1)
	s_or_b32 exec_lo, exec_lo, s2
	s_wait_kmcnt 0x0
	global_store_b32 v6, v0, s[4:5] scale_offset
.LBB59_6:
	s_endpgm
	.section	.rodata,"a",@progbits
	.p2align	6, 0x0
	.amdhsa_kernel _ZN7rocprim17ROCPRIM_400000_NS6detail17trampoline_kernelINS0_14default_configENS1_21merge_config_selectorINS0_5tupleIJffEEENS0_10empty_typeEEEZNS1_10merge_implIS3_NS0_12zip_iteratorINS5_IJN6thrust23THRUST_200600_302600_NS6detail15normal_iteratorINSC_10device_ptrIKfEEEESI_EEEEESK_NSA_INS5_IJNSE_INSF_IfEEEESM_EEEEEPS7_SP_SP_NSC_11hip_rocprim7__merge17predicate_wrapperIffNSC_4lessIfEEEEEE10hipError_tPvRmT0_T1_T2_T3_T4_T5_mmT6_P12ihipStream_tbEUlT_E_NS1_11comp_targetILNS1_3genE0ELNS1_11target_archE4294967295ELNS1_3gpuE0ELNS1_3repE0EEENS1_30default_config_static_selectorELNS0_4arch9wavefront6targetE0EEEvS10_
		.amdhsa_group_segment_fixed_size 0
		.amdhsa_private_segment_fixed_size 0
		.amdhsa_kernarg_size 320
		.amdhsa_user_sgpr_count 2
		.amdhsa_user_sgpr_dispatch_ptr 0
		.amdhsa_user_sgpr_queue_ptr 0
		.amdhsa_user_sgpr_kernarg_segment_ptr 1
		.amdhsa_user_sgpr_dispatch_id 0
		.amdhsa_user_sgpr_kernarg_preload_length 0
		.amdhsa_user_sgpr_kernarg_preload_offset 0
		.amdhsa_user_sgpr_private_segment_size 0
		.amdhsa_wavefront_size32 1
		.amdhsa_uses_dynamic_stack 0
		.amdhsa_enable_private_segment 0
		.amdhsa_system_sgpr_workgroup_id_x 1
		.amdhsa_system_sgpr_workgroup_id_y 0
		.amdhsa_system_sgpr_workgroup_id_z 0
		.amdhsa_system_sgpr_workgroup_info 0
		.amdhsa_system_vgpr_workitem_id 0
		.amdhsa_next_free_vgpr 15
		.amdhsa_next_free_sgpr 14
		.amdhsa_named_barrier_count 0
		.amdhsa_reserve_vcc 1
		.amdhsa_float_round_mode_32 0
		.amdhsa_float_round_mode_16_64 0
		.amdhsa_float_denorm_mode_32 3
		.amdhsa_float_denorm_mode_16_64 3
		.amdhsa_fp16_overflow 0
		.amdhsa_memory_ordered 1
		.amdhsa_forward_progress 1
		.amdhsa_inst_pref_size 4
		.amdhsa_round_robin_scheduling 0
		.amdhsa_exception_fp_ieee_invalid_op 0
		.amdhsa_exception_fp_denorm_src 0
		.amdhsa_exception_fp_ieee_div_zero 0
		.amdhsa_exception_fp_ieee_overflow 0
		.amdhsa_exception_fp_ieee_underflow 0
		.amdhsa_exception_fp_ieee_inexact 0
		.amdhsa_exception_int_div_zero 0
	.end_amdhsa_kernel
	.section	.text._ZN7rocprim17ROCPRIM_400000_NS6detail17trampoline_kernelINS0_14default_configENS1_21merge_config_selectorINS0_5tupleIJffEEENS0_10empty_typeEEEZNS1_10merge_implIS3_NS0_12zip_iteratorINS5_IJN6thrust23THRUST_200600_302600_NS6detail15normal_iteratorINSC_10device_ptrIKfEEEESI_EEEEESK_NSA_INS5_IJNSE_INSF_IfEEEESM_EEEEEPS7_SP_SP_NSC_11hip_rocprim7__merge17predicate_wrapperIffNSC_4lessIfEEEEEE10hipError_tPvRmT0_T1_T2_T3_T4_T5_mmT6_P12ihipStream_tbEUlT_E_NS1_11comp_targetILNS1_3genE0ELNS1_11target_archE4294967295ELNS1_3gpuE0ELNS1_3repE0EEENS1_30default_config_static_selectorELNS0_4arch9wavefront6targetE0EEEvS10_,"axG",@progbits,_ZN7rocprim17ROCPRIM_400000_NS6detail17trampoline_kernelINS0_14default_configENS1_21merge_config_selectorINS0_5tupleIJffEEENS0_10empty_typeEEEZNS1_10merge_implIS3_NS0_12zip_iteratorINS5_IJN6thrust23THRUST_200600_302600_NS6detail15normal_iteratorINSC_10device_ptrIKfEEEESI_EEEEESK_NSA_INS5_IJNSE_INSF_IfEEEESM_EEEEEPS7_SP_SP_NSC_11hip_rocprim7__merge17predicate_wrapperIffNSC_4lessIfEEEEEE10hipError_tPvRmT0_T1_T2_T3_T4_T5_mmT6_P12ihipStream_tbEUlT_E_NS1_11comp_targetILNS1_3genE0ELNS1_11target_archE4294967295ELNS1_3gpuE0ELNS1_3repE0EEENS1_30default_config_static_selectorELNS0_4arch9wavefront6targetE0EEEvS10_,comdat
.Lfunc_end59:
	.size	_ZN7rocprim17ROCPRIM_400000_NS6detail17trampoline_kernelINS0_14default_configENS1_21merge_config_selectorINS0_5tupleIJffEEENS0_10empty_typeEEEZNS1_10merge_implIS3_NS0_12zip_iteratorINS5_IJN6thrust23THRUST_200600_302600_NS6detail15normal_iteratorINSC_10device_ptrIKfEEEESI_EEEEESK_NSA_INS5_IJNSE_INSF_IfEEEESM_EEEEEPS7_SP_SP_NSC_11hip_rocprim7__merge17predicate_wrapperIffNSC_4lessIfEEEEEE10hipError_tPvRmT0_T1_T2_T3_T4_T5_mmT6_P12ihipStream_tbEUlT_E_NS1_11comp_targetILNS1_3genE0ELNS1_11target_archE4294967295ELNS1_3gpuE0ELNS1_3repE0EEENS1_30default_config_static_selectorELNS0_4arch9wavefront6targetE0EEEvS10_, .Lfunc_end59-_ZN7rocprim17ROCPRIM_400000_NS6detail17trampoline_kernelINS0_14default_configENS1_21merge_config_selectorINS0_5tupleIJffEEENS0_10empty_typeEEEZNS1_10merge_implIS3_NS0_12zip_iteratorINS5_IJN6thrust23THRUST_200600_302600_NS6detail15normal_iteratorINSC_10device_ptrIKfEEEESI_EEEEESK_NSA_INS5_IJNSE_INSF_IfEEEESM_EEEEEPS7_SP_SP_NSC_11hip_rocprim7__merge17predicate_wrapperIffNSC_4lessIfEEEEEE10hipError_tPvRmT0_T1_T2_T3_T4_T5_mmT6_P12ihipStream_tbEUlT_E_NS1_11comp_targetILNS1_3genE0ELNS1_11target_archE4294967295ELNS1_3gpuE0ELNS1_3repE0EEENS1_30default_config_static_selectorELNS0_4arch9wavefront6targetE0EEEvS10_
                                        ; -- End function
	.set _ZN7rocprim17ROCPRIM_400000_NS6detail17trampoline_kernelINS0_14default_configENS1_21merge_config_selectorINS0_5tupleIJffEEENS0_10empty_typeEEEZNS1_10merge_implIS3_NS0_12zip_iteratorINS5_IJN6thrust23THRUST_200600_302600_NS6detail15normal_iteratorINSC_10device_ptrIKfEEEESI_EEEEESK_NSA_INS5_IJNSE_INSF_IfEEEESM_EEEEEPS7_SP_SP_NSC_11hip_rocprim7__merge17predicate_wrapperIffNSC_4lessIfEEEEEE10hipError_tPvRmT0_T1_T2_T3_T4_T5_mmT6_P12ihipStream_tbEUlT_E_NS1_11comp_targetILNS1_3genE0ELNS1_11target_archE4294967295ELNS1_3gpuE0ELNS1_3repE0EEENS1_30default_config_static_selectorELNS0_4arch9wavefront6targetE0EEEvS10_.num_vgpr, 15
	.set _ZN7rocprim17ROCPRIM_400000_NS6detail17trampoline_kernelINS0_14default_configENS1_21merge_config_selectorINS0_5tupleIJffEEENS0_10empty_typeEEEZNS1_10merge_implIS3_NS0_12zip_iteratorINS5_IJN6thrust23THRUST_200600_302600_NS6detail15normal_iteratorINSC_10device_ptrIKfEEEESI_EEEEESK_NSA_INS5_IJNSE_INSF_IfEEEESM_EEEEEPS7_SP_SP_NSC_11hip_rocprim7__merge17predicate_wrapperIffNSC_4lessIfEEEEEE10hipError_tPvRmT0_T1_T2_T3_T4_T5_mmT6_P12ihipStream_tbEUlT_E_NS1_11comp_targetILNS1_3genE0ELNS1_11target_archE4294967295ELNS1_3gpuE0ELNS1_3repE0EEENS1_30default_config_static_selectorELNS0_4arch9wavefront6targetE0EEEvS10_.num_agpr, 0
	.set _ZN7rocprim17ROCPRIM_400000_NS6detail17trampoline_kernelINS0_14default_configENS1_21merge_config_selectorINS0_5tupleIJffEEENS0_10empty_typeEEEZNS1_10merge_implIS3_NS0_12zip_iteratorINS5_IJN6thrust23THRUST_200600_302600_NS6detail15normal_iteratorINSC_10device_ptrIKfEEEESI_EEEEESK_NSA_INS5_IJNSE_INSF_IfEEEESM_EEEEEPS7_SP_SP_NSC_11hip_rocprim7__merge17predicate_wrapperIffNSC_4lessIfEEEEEE10hipError_tPvRmT0_T1_T2_T3_T4_T5_mmT6_P12ihipStream_tbEUlT_E_NS1_11comp_targetILNS1_3genE0ELNS1_11target_archE4294967295ELNS1_3gpuE0ELNS1_3repE0EEENS1_30default_config_static_selectorELNS0_4arch9wavefront6targetE0EEEvS10_.numbered_sgpr, 14
	.set _ZN7rocprim17ROCPRIM_400000_NS6detail17trampoline_kernelINS0_14default_configENS1_21merge_config_selectorINS0_5tupleIJffEEENS0_10empty_typeEEEZNS1_10merge_implIS3_NS0_12zip_iteratorINS5_IJN6thrust23THRUST_200600_302600_NS6detail15normal_iteratorINSC_10device_ptrIKfEEEESI_EEEEESK_NSA_INS5_IJNSE_INSF_IfEEEESM_EEEEEPS7_SP_SP_NSC_11hip_rocprim7__merge17predicate_wrapperIffNSC_4lessIfEEEEEE10hipError_tPvRmT0_T1_T2_T3_T4_T5_mmT6_P12ihipStream_tbEUlT_E_NS1_11comp_targetILNS1_3genE0ELNS1_11target_archE4294967295ELNS1_3gpuE0ELNS1_3repE0EEENS1_30default_config_static_selectorELNS0_4arch9wavefront6targetE0EEEvS10_.num_named_barrier, 0
	.set _ZN7rocprim17ROCPRIM_400000_NS6detail17trampoline_kernelINS0_14default_configENS1_21merge_config_selectorINS0_5tupleIJffEEENS0_10empty_typeEEEZNS1_10merge_implIS3_NS0_12zip_iteratorINS5_IJN6thrust23THRUST_200600_302600_NS6detail15normal_iteratorINSC_10device_ptrIKfEEEESI_EEEEESK_NSA_INS5_IJNSE_INSF_IfEEEESM_EEEEEPS7_SP_SP_NSC_11hip_rocprim7__merge17predicate_wrapperIffNSC_4lessIfEEEEEE10hipError_tPvRmT0_T1_T2_T3_T4_T5_mmT6_P12ihipStream_tbEUlT_E_NS1_11comp_targetILNS1_3genE0ELNS1_11target_archE4294967295ELNS1_3gpuE0ELNS1_3repE0EEENS1_30default_config_static_selectorELNS0_4arch9wavefront6targetE0EEEvS10_.private_seg_size, 0
	.set _ZN7rocprim17ROCPRIM_400000_NS6detail17trampoline_kernelINS0_14default_configENS1_21merge_config_selectorINS0_5tupleIJffEEENS0_10empty_typeEEEZNS1_10merge_implIS3_NS0_12zip_iteratorINS5_IJN6thrust23THRUST_200600_302600_NS6detail15normal_iteratorINSC_10device_ptrIKfEEEESI_EEEEESK_NSA_INS5_IJNSE_INSF_IfEEEESM_EEEEEPS7_SP_SP_NSC_11hip_rocprim7__merge17predicate_wrapperIffNSC_4lessIfEEEEEE10hipError_tPvRmT0_T1_T2_T3_T4_T5_mmT6_P12ihipStream_tbEUlT_E_NS1_11comp_targetILNS1_3genE0ELNS1_11target_archE4294967295ELNS1_3gpuE0ELNS1_3repE0EEENS1_30default_config_static_selectorELNS0_4arch9wavefront6targetE0EEEvS10_.uses_vcc, 1
	.set _ZN7rocprim17ROCPRIM_400000_NS6detail17trampoline_kernelINS0_14default_configENS1_21merge_config_selectorINS0_5tupleIJffEEENS0_10empty_typeEEEZNS1_10merge_implIS3_NS0_12zip_iteratorINS5_IJN6thrust23THRUST_200600_302600_NS6detail15normal_iteratorINSC_10device_ptrIKfEEEESI_EEEEESK_NSA_INS5_IJNSE_INSF_IfEEEESM_EEEEEPS7_SP_SP_NSC_11hip_rocprim7__merge17predicate_wrapperIffNSC_4lessIfEEEEEE10hipError_tPvRmT0_T1_T2_T3_T4_T5_mmT6_P12ihipStream_tbEUlT_E_NS1_11comp_targetILNS1_3genE0ELNS1_11target_archE4294967295ELNS1_3gpuE0ELNS1_3repE0EEENS1_30default_config_static_selectorELNS0_4arch9wavefront6targetE0EEEvS10_.uses_flat_scratch, 0
	.set _ZN7rocprim17ROCPRIM_400000_NS6detail17trampoline_kernelINS0_14default_configENS1_21merge_config_selectorINS0_5tupleIJffEEENS0_10empty_typeEEEZNS1_10merge_implIS3_NS0_12zip_iteratorINS5_IJN6thrust23THRUST_200600_302600_NS6detail15normal_iteratorINSC_10device_ptrIKfEEEESI_EEEEESK_NSA_INS5_IJNSE_INSF_IfEEEESM_EEEEEPS7_SP_SP_NSC_11hip_rocprim7__merge17predicate_wrapperIffNSC_4lessIfEEEEEE10hipError_tPvRmT0_T1_T2_T3_T4_T5_mmT6_P12ihipStream_tbEUlT_E_NS1_11comp_targetILNS1_3genE0ELNS1_11target_archE4294967295ELNS1_3gpuE0ELNS1_3repE0EEENS1_30default_config_static_selectorELNS0_4arch9wavefront6targetE0EEEvS10_.has_dyn_sized_stack, 0
	.set _ZN7rocprim17ROCPRIM_400000_NS6detail17trampoline_kernelINS0_14default_configENS1_21merge_config_selectorINS0_5tupleIJffEEENS0_10empty_typeEEEZNS1_10merge_implIS3_NS0_12zip_iteratorINS5_IJN6thrust23THRUST_200600_302600_NS6detail15normal_iteratorINSC_10device_ptrIKfEEEESI_EEEEESK_NSA_INS5_IJNSE_INSF_IfEEEESM_EEEEEPS7_SP_SP_NSC_11hip_rocprim7__merge17predicate_wrapperIffNSC_4lessIfEEEEEE10hipError_tPvRmT0_T1_T2_T3_T4_T5_mmT6_P12ihipStream_tbEUlT_E_NS1_11comp_targetILNS1_3genE0ELNS1_11target_archE4294967295ELNS1_3gpuE0ELNS1_3repE0EEENS1_30default_config_static_selectorELNS0_4arch9wavefront6targetE0EEEvS10_.has_recursion, 0
	.set _ZN7rocprim17ROCPRIM_400000_NS6detail17trampoline_kernelINS0_14default_configENS1_21merge_config_selectorINS0_5tupleIJffEEENS0_10empty_typeEEEZNS1_10merge_implIS3_NS0_12zip_iteratorINS5_IJN6thrust23THRUST_200600_302600_NS6detail15normal_iteratorINSC_10device_ptrIKfEEEESI_EEEEESK_NSA_INS5_IJNSE_INSF_IfEEEESM_EEEEEPS7_SP_SP_NSC_11hip_rocprim7__merge17predicate_wrapperIffNSC_4lessIfEEEEEE10hipError_tPvRmT0_T1_T2_T3_T4_T5_mmT6_P12ihipStream_tbEUlT_E_NS1_11comp_targetILNS1_3genE0ELNS1_11target_archE4294967295ELNS1_3gpuE0ELNS1_3repE0EEENS1_30default_config_static_selectorELNS0_4arch9wavefront6targetE0EEEvS10_.has_indirect_call, 0
	.section	.AMDGPU.csdata,"",@progbits
; Kernel info:
; codeLenInByte = 484
; TotalNumSgprs: 16
; NumVgprs: 15
; ScratchSize: 0
; MemoryBound: 0
; FloatMode: 240
; IeeeMode: 1
; LDSByteSize: 0 bytes/workgroup (compile time only)
; SGPRBlocks: 0
; VGPRBlocks: 0
; NumSGPRsForWavesPerEU: 16
; NumVGPRsForWavesPerEU: 15
; NamedBarCnt: 0
; Occupancy: 16
; WaveLimiterHint : 0
; COMPUTE_PGM_RSRC2:SCRATCH_EN: 0
; COMPUTE_PGM_RSRC2:USER_SGPR: 2
; COMPUTE_PGM_RSRC2:TRAP_HANDLER: 0
; COMPUTE_PGM_RSRC2:TGID_X_EN: 1
; COMPUTE_PGM_RSRC2:TGID_Y_EN: 0
; COMPUTE_PGM_RSRC2:TGID_Z_EN: 0
; COMPUTE_PGM_RSRC2:TIDIG_COMP_CNT: 0
	.section	.text._ZN7rocprim17ROCPRIM_400000_NS6detail17trampoline_kernelINS0_14default_configENS1_21merge_config_selectorINS0_5tupleIJffEEENS0_10empty_typeEEEZNS1_10merge_implIS3_NS0_12zip_iteratorINS5_IJN6thrust23THRUST_200600_302600_NS6detail15normal_iteratorINSC_10device_ptrIKfEEEESI_EEEEESK_NSA_INS5_IJNSE_INSF_IfEEEESM_EEEEEPS7_SP_SP_NSC_11hip_rocprim7__merge17predicate_wrapperIffNSC_4lessIfEEEEEE10hipError_tPvRmT0_T1_T2_T3_T4_T5_mmT6_P12ihipStream_tbEUlT_E_NS1_11comp_targetILNS1_3genE5ELNS1_11target_archE942ELNS1_3gpuE9ELNS1_3repE0EEENS1_30default_config_static_selectorELNS0_4arch9wavefront6targetE0EEEvS10_,"axG",@progbits,_ZN7rocprim17ROCPRIM_400000_NS6detail17trampoline_kernelINS0_14default_configENS1_21merge_config_selectorINS0_5tupleIJffEEENS0_10empty_typeEEEZNS1_10merge_implIS3_NS0_12zip_iteratorINS5_IJN6thrust23THRUST_200600_302600_NS6detail15normal_iteratorINSC_10device_ptrIKfEEEESI_EEEEESK_NSA_INS5_IJNSE_INSF_IfEEEESM_EEEEEPS7_SP_SP_NSC_11hip_rocprim7__merge17predicate_wrapperIffNSC_4lessIfEEEEEE10hipError_tPvRmT0_T1_T2_T3_T4_T5_mmT6_P12ihipStream_tbEUlT_E_NS1_11comp_targetILNS1_3genE5ELNS1_11target_archE942ELNS1_3gpuE9ELNS1_3repE0EEENS1_30default_config_static_selectorELNS0_4arch9wavefront6targetE0EEEvS10_,comdat
	.protected	_ZN7rocprim17ROCPRIM_400000_NS6detail17trampoline_kernelINS0_14default_configENS1_21merge_config_selectorINS0_5tupleIJffEEENS0_10empty_typeEEEZNS1_10merge_implIS3_NS0_12zip_iteratorINS5_IJN6thrust23THRUST_200600_302600_NS6detail15normal_iteratorINSC_10device_ptrIKfEEEESI_EEEEESK_NSA_INS5_IJNSE_INSF_IfEEEESM_EEEEEPS7_SP_SP_NSC_11hip_rocprim7__merge17predicate_wrapperIffNSC_4lessIfEEEEEE10hipError_tPvRmT0_T1_T2_T3_T4_T5_mmT6_P12ihipStream_tbEUlT_E_NS1_11comp_targetILNS1_3genE5ELNS1_11target_archE942ELNS1_3gpuE9ELNS1_3repE0EEENS1_30default_config_static_selectorELNS0_4arch9wavefront6targetE0EEEvS10_ ; -- Begin function _ZN7rocprim17ROCPRIM_400000_NS6detail17trampoline_kernelINS0_14default_configENS1_21merge_config_selectorINS0_5tupleIJffEEENS0_10empty_typeEEEZNS1_10merge_implIS3_NS0_12zip_iteratorINS5_IJN6thrust23THRUST_200600_302600_NS6detail15normal_iteratorINSC_10device_ptrIKfEEEESI_EEEEESK_NSA_INS5_IJNSE_INSF_IfEEEESM_EEEEEPS7_SP_SP_NSC_11hip_rocprim7__merge17predicate_wrapperIffNSC_4lessIfEEEEEE10hipError_tPvRmT0_T1_T2_T3_T4_T5_mmT6_P12ihipStream_tbEUlT_E_NS1_11comp_targetILNS1_3genE5ELNS1_11target_archE942ELNS1_3gpuE9ELNS1_3repE0EEENS1_30default_config_static_selectorELNS0_4arch9wavefront6targetE0EEEvS10_
	.globl	_ZN7rocprim17ROCPRIM_400000_NS6detail17trampoline_kernelINS0_14default_configENS1_21merge_config_selectorINS0_5tupleIJffEEENS0_10empty_typeEEEZNS1_10merge_implIS3_NS0_12zip_iteratorINS5_IJN6thrust23THRUST_200600_302600_NS6detail15normal_iteratorINSC_10device_ptrIKfEEEESI_EEEEESK_NSA_INS5_IJNSE_INSF_IfEEEESM_EEEEEPS7_SP_SP_NSC_11hip_rocprim7__merge17predicate_wrapperIffNSC_4lessIfEEEEEE10hipError_tPvRmT0_T1_T2_T3_T4_T5_mmT6_P12ihipStream_tbEUlT_E_NS1_11comp_targetILNS1_3genE5ELNS1_11target_archE942ELNS1_3gpuE9ELNS1_3repE0EEENS1_30default_config_static_selectorELNS0_4arch9wavefront6targetE0EEEvS10_
	.p2align	8
	.type	_ZN7rocprim17ROCPRIM_400000_NS6detail17trampoline_kernelINS0_14default_configENS1_21merge_config_selectorINS0_5tupleIJffEEENS0_10empty_typeEEEZNS1_10merge_implIS3_NS0_12zip_iteratorINS5_IJN6thrust23THRUST_200600_302600_NS6detail15normal_iteratorINSC_10device_ptrIKfEEEESI_EEEEESK_NSA_INS5_IJNSE_INSF_IfEEEESM_EEEEEPS7_SP_SP_NSC_11hip_rocprim7__merge17predicate_wrapperIffNSC_4lessIfEEEEEE10hipError_tPvRmT0_T1_T2_T3_T4_T5_mmT6_P12ihipStream_tbEUlT_E_NS1_11comp_targetILNS1_3genE5ELNS1_11target_archE942ELNS1_3gpuE9ELNS1_3repE0EEENS1_30default_config_static_selectorELNS0_4arch9wavefront6targetE0EEEvS10_,@function
_ZN7rocprim17ROCPRIM_400000_NS6detail17trampoline_kernelINS0_14default_configENS1_21merge_config_selectorINS0_5tupleIJffEEENS0_10empty_typeEEEZNS1_10merge_implIS3_NS0_12zip_iteratorINS5_IJN6thrust23THRUST_200600_302600_NS6detail15normal_iteratorINSC_10device_ptrIKfEEEESI_EEEEESK_NSA_INS5_IJNSE_INSF_IfEEEESM_EEEEEPS7_SP_SP_NSC_11hip_rocprim7__merge17predicate_wrapperIffNSC_4lessIfEEEEEE10hipError_tPvRmT0_T1_T2_T3_T4_T5_mmT6_P12ihipStream_tbEUlT_E_NS1_11comp_targetILNS1_3genE5ELNS1_11target_archE942ELNS1_3gpuE9ELNS1_3repE0EEENS1_30default_config_static_selectorELNS0_4arch9wavefront6targetE0EEEvS10_: ; @_ZN7rocprim17ROCPRIM_400000_NS6detail17trampoline_kernelINS0_14default_configENS1_21merge_config_selectorINS0_5tupleIJffEEENS0_10empty_typeEEEZNS1_10merge_implIS3_NS0_12zip_iteratorINS5_IJN6thrust23THRUST_200600_302600_NS6detail15normal_iteratorINSC_10device_ptrIKfEEEESI_EEEEESK_NSA_INS5_IJNSE_INSF_IfEEEESM_EEEEEPS7_SP_SP_NSC_11hip_rocprim7__merge17predicate_wrapperIffNSC_4lessIfEEEEEE10hipError_tPvRmT0_T1_T2_T3_T4_T5_mmT6_P12ihipStream_tbEUlT_E_NS1_11comp_targetILNS1_3genE5ELNS1_11target_archE942ELNS1_3gpuE9ELNS1_3repE0EEENS1_30default_config_static_selectorELNS0_4arch9wavefront6targetE0EEEvS10_
; %bb.0:
	.section	.rodata,"a",@progbits
	.p2align	6, 0x0
	.amdhsa_kernel _ZN7rocprim17ROCPRIM_400000_NS6detail17trampoline_kernelINS0_14default_configENS1_21merge_config_selectorINS0_5tupleIJffEEENS0_10empty_typeEEEZNS1_10merge_implIS3_NS0_12zip_iteratorINS5_IJN6thrust23THRUST_200600_302600_NS6detail15normal_iteratorINSC_10device_ptrIKfEEEESI_EEEEESK_NSA_INS5_IJNSE_INSF_IfEEEESM_EEEEEPS7_SP_SP_NSC_11hip_rocprim7__merge17predicate_wrapperIffNSC_4lessIfEEEEEE10hipError_tPvRmT0_T1_T2_T3_T4_T5_mmT6_P12ihipStream_tbEUlT_E_NS1_11comp_targetILNS1_3genE5ELNS1_11target_archE942ELNS1_3gpuE9ELNS1_3repE0EEENS1_30default_config_static_selectorELNS0_4arch9wavefront6targetE0EEEvS10_
		.amdhsa_group_segment_fixed_size 0
		.amdhsa_private_segment_fixed_size 0
		.amdhsa_kernarg_size 64
		.amdhsa_user_sgpr_count 2
		.amdhsa_user_sgpr_dispatch_ptr 0
		.amdhsa_user_sgpr_queue_ptr 0
		.amdhsa_user_sgpr_kernarg_segment_ptr 1
		.amdhsa_user_sgpr_dispatch_id 0
		.amdhsa_user_sgpr_kernarg_preload_length 0
		.amdhsa_user_sgpr_kernarg_preload_offset 0
		.amdhsa_user_sgpr_private_segment_size 0
		.amdhsa_wavefront_size32 1
		.amdhsa_uses_dynamic_stack 0
		.amdhsa_enable_private_segment 0
		.amdhsa_system_sgpr_workgroup_id_x 1
		.amdhsa_system_sgpr_workgroup_id_y 0
		.amdhsa_system_sgpr_workgroup_id_z 0
		.amdhsa_system_sgpr_workgroup_info 0
		.amdhsa_system_vgpr_workitem_id 0
		.amdhsa_next_free_vgpr 1
		.amdhsa_next_free_sgpr 1
		.amdhsa_named_barrier_count 0
		.amdhsa_reserve_vcc 0
		.amdhsa_float_round_mode_32 0
		.amdhsa_float_round_mode_16_64 0
		.amdhsa_float_denorm_mode_32 3
		.amdhsa_float_denorm_mode_16_64 3
		.amdhsa_fp16_overflow 0
		.amdhsa_memory_ordered 1
		.amdhsa_forward_progress 1
		.amdhsa_inst_pref_size 0
		.amdhsa_round_robin_scheduling 0
		.amdhsa_exception_fp_ieee_invalid_op 0
		.amdhsa_exception_fp_denorm_src 0
		.amdhsa_exception_fp_ieee_div_zero 0
		.amdhsa_exception_fp_ieee_overflow 0
		.amdhsa_exception_fp_ieee_underflow 0
		.amdhsa_exception_fp_ieee_inexact 0
		.amdhsa_exception_int_div_zero 0
	.end_amdhsa_kernel
	.section	.text._ZN7rocprim17ROCPRIM_400000_NS6detail17trampoline_kernelINS0_14default_configENS1_21merge_config_selectorINS0_5tupleIJffEEENS0_10empty_typeEEEZNS1_10merge_implIS3_NS0_12zip_iteratorINS5_IJN6thrust23THRUST_200600_302600_NS6detail15normal_iteratorINSC_10device_ptrIKfEEEESI_EEEEESK_NSA_INS5_IJNSE_INSF_IfEEEESM_EEEEEPS7_SP_SP_NSC_11hip_rocprim7__merge17predicate_wrapperIffNSC_4lessIfEEEEEE10hipError_tPvRmT0_T1_T2_T3_T4_T5_mmT6_P12ihipStream_tbEUlT_E_NS1_11comp_targetILNS1_3genE5ELNS1_11target_archE942ELNS1_3gpuE9ELNS1_3repE0EEENS1_30default_config_static_selectorELNS0_4arch9wavefront6targetE0EEEvS10_,"axG",@progbits,_ZN7rocprim17ROCPRIM_400000_NS6detail17trampoline_kernelINS0_14default_configENS1_21merge_config_selectorINS0_5tupleIJffEEENS0_10empty_typeEEEZNS1_10merge_implIS3_NS0_12zip_iteratorINS5_IJN6thrust23THRUST_200600_302600_NS6detail15normal_iteratorINSC_10device_ptrIKfEEEESI_EEEEESK_NSA_INS5_IJNSE_INSF_IfEEEESM_EEEEEPS7_SP_SP_NSC_11hip_rocprim7__merge17predicate_wrapperIffNSC_4lessIfEEEEEE10hipError_tPvRmT0_T1_T2_T3_T4_T5_mmT6_P12ihipStream_tbEUlT_E_NS1_11comp_targetILNS1_3genE5ELNS1_11target_archE942ELNS1_3gpuE9ELNS1_3repE0EEENS1_30default_config_static_selectorELNS0_4arch9wavefront6targetE0EEEvS10_,comdat
.Lfunc_end60:
	.size	_ZN7rocprim17ROCPRIM_400000_NS6detail17trampoline_kernelINS0_14default_configENS1_21merge_config_selectorINS0_5tupleIJffEEENS0_10empty_typeEEEZNS1_10merge_implIS3_NS0_12zip_iteratorINS5_IJN6thrust23THRUST_200600_302600_NS6detail15normal_iteratorINSC_10device_ptrIKfEEEESI_EEEEESK_NSA_INS5_IJNSE_INSF_IfEEEESM_EEEEEPS7_SP_SP_NSC_11hip_rocprim7__merge17predicate_wrapperIffNSC_4lessIfEEEEEE10hipError_tPvRmT0_T1_T2_T3_T4_T5_mmT6_P12ihipStream_tbEUlT_E_NS1_11comp_targetILNS1_3genE5ELNS1_11target_archE942ELNS1_3gpuE9ELNS1_3repE0EEENS1_30default_config_static_selectorELNS0_4arch9wavefront6targetE0EEEvS10_, .Lfunc_end60-_ZN7rocprim17ROCPRIM_400000_NS6detail17trampoline_kernelINS0_14default_configENS1_21merge_config_selectorINS0_5tupleIJffEEENS0_10empty_typeEEEZNS1_10merge_implIS3_NS0_12zip_iteratorINS5_IJN6thrust23THRUST_200600_302600_NS6detail15normal_iteratorINSC_10device_ptrIKfEEEESI_EEEEESK_NSA_INS5_IJNSE_INSF_IfEEEESM_EEEEEPS7_SP_SP_NSC_11hip_rocprim7__merge17predicate_wrapperIffNSC_4lessIfEEEEEE10hipError_tPvRmT0_T1_T2_T3_T4_T5_mmT6_P12ihipStream_tbEUlT_E_NS1_11comp_targetILNS1_3genE5ELNS1_11target_archE942ELNS1_3gpuE9ELNS1_3repE0EEENS1_30default_config_static_selectorELNS0_4arch9wavefront6targetE0EEEvS10_
                                        ; -- End function
	.set _ZN7rocprim17ROCPRIM_400000_NS6detail17trampoline_kernelINS0_14default_configENS1_21merge_config_selectorINS0_5tupleIJffEEENS0_10empty_typeEEEZNS1_10merge_implIS3_NS0_12zip_iteratorINS5_IJN6thrust23THRUST_200600_302600_NS6detail15normal_iteratorINSC_10device_ptrIKfEEEESI_EEEEESK_NSA_INS5_IJNSE_INSF_IfEEEESM_EEEEEPS7_SP_SP_NSC_11hip_rocprim7__merge17predicate_wrapperIffNSC_4lessIfEEEEEE10hipError_tPvRmT0_T1_T2_T3_T4_T5_mmT6_P12ihipStream_tbEUlT_E_NS1_11comp_targetILNS1_3genE5ELNS1_11target_archE942ELNS1_3gpuE9ELNS1_3repE0EEENS1_30default_config_static_selectorELNS0_4arch9wavefront6targetE0EEEvS10_.num_vgpr, 0
	.set _ZN7rocprim17ROCPRIM_400000_NS6detail17trampoline_kernelINS0_14default_configENS1_21merge_config_selectorINS0_5tupleIJffEEENS0_10empty_typeEEEZNS1_10merge_implIS3_NS0_12zip_iteratorINS5_IJN6thrust23THRUST_200600_302600_NS6detail15normal_iteratorINSC_10device_ptrIKfEEEESI_EEEEESK_NSA_INS5_IJNSE_INSF_IfEEEESM_EEEEEPS7_SP_SP_NSC_11hip_rocprim7__merge17predicate_wrapperIffNSC_4lessIfEEEEEE10hipError_tPvRmT0_T1_T2_T3_T4_T5_mmT6_P12ihipStream_tbEUlT_E_NS1_11comp_targetILNS1_3genE5ELNS1_11target_archE942ELNS1_3gpuE9ELNS1_3repE0EEENS1_30default_config_static_selectorELNS0_4arch9wavefront6targetE0EEEvS10_.num_agpr, 0
	.set _ZN7rocprim17ROCPRIM_400000_NS6detail17trampoline_kernelINS0_14default_configENS1_21merge_config_selectorINS0_5tupleIJffEEENS0_10empty_typeEEEZNS1_10merge_implIS3_NS0_12zip_iteratorINS5_IJN6thrust23THRUST_200600_302600_NS6detail15normal_iteratorINSC_10device_ptrIKfEEEESI_EEEEESK_NSA_INS5_IJNSE_INSF_IfEEEESM_EEEEEPS7_SP_SP_NSC_11hip_rocprim7__merge17predicate_wrapperIffNSC_4lessIfEEEEEE10hipError_tPvRmT0_T1_T2_T3_T4_T5_mmT6_P12ihipStream_tbEUlT_E_NS1_11comp_targetILNS1_3genE5ELNS1_11target_archE942ELNS1_3gpuE9ELNS1_3repE0EEENS1_30default_config_static_selectorELNS0_4arch9wavefront6targetE0EEEvS10_.numbered_sgpr, 0
	.set _ZN7rocprim17ROCPRIM_400000_NS6detail17trampoline_kernelINS0_14default_configENS1_21merge_config_selectorINS0_5tupleIJffEEENS0_10empty_typeEEEZNS1_10merge_implIS3_NS0_12zip_iteratorINS5_IJN6thrust23THRUST_200600_302600_NS6detail15normal_iteratorINSC_10device_ptrIKfEEEESI_EEEEESK_NSA_INS5_IJNSE_INSF_IfEEEESM_EEEEEPS7_SP_SP_NSC_11hip_rocprim7__merge17predicate_wrapperIffNSC_4lessIfEEEEEE10hipError_tPvRmT0_T1_T2_T3_T4_T5_mmT6_P12ihipStream_tbEUlT_E_NS1_11comp_targetILNS1_3genE5ELNS1_11target_archE942ELNS1_3gpuE9ELNS1_3repE0EEENS1_30default_config_static_selectorELNS0_4arch9wavefront6targetE0EEEvS10_.num_named_barrier, 0
	.set _ZN7rocprim17ROCPRIM_400000_NS6detail17trampoline_kernelINS0_14default_configENS1_21merge_config_selectorINS0_5tupleIJffEEENS0_10empty_typeEEEZNS1_10merge_implIS3_NS0_12zip_iteratorINS5_IJN6thrust23THRUST_200600_302600_NS6detail15normal_iteratorINSC_10device_ptrIKfEEEESI_EEEEESK_NSA_INS5_IJNSE_INSF_IfEEEESM_EEEEEPS7_SP_SP_NSC_11hip_rocprim7__merge17predicate_wrapperIffNSC_4lessIfEEEEEE10hipError_tPvRmT0_T1_T2_T3_T4_T5_mmT6_P12ihipStream_tbEUlT_E_NS1_11comp_targetILNS1_3genE5ELNS1_11target_archE942ELNS1_3gpuE9ELNS1_3repE0EEENS1_30default_config_static_selectorELNS0_4arch9wavefront6targetE0EEEvS10_.private_seg_size, 0
	.set _ZN7rocprim17ROCPRIM_400000_NS6detail17trampoline_kernelINS0_14default_configENS1_21merge_config_selectorINS0_5tupleIJffEEENS0_10empty_typeEEEZNS1_10merge_implIS3_NS0_12zip_iteratorINS5_IJN6thrust23THRUST_200600_302600_NS6detail15normal_iteratorINSC_10device_ptrIKfEEEESI_EEEEESK_NSA_INS5_IJNSE_INSF_IfEEEESM_EEEEEPS7_SP_SP_NSC_11hip_rocprim7__merge17predicate_wrapperIffNSC_4lessIfEEEEEE10hipError_tPvRmT0_T1_T2_T3_T4_T5_mmT6_P12ihipStream_tbEUlT_E_NS1_11comp_targetILNS1_3genE5ELNS1_11target_archE942ELNS1_3gpuE9ELNS1_3repE0EEENS1_30default_config_static_selectorELNS0_4arch9wavefront6targetE0EEEvS10_.uses_vcc, 0
	.set _ZN7rocprim17ROCPRIM_400000_NS6detail17trampoline_kernelINS0_14default_configENS1_21merge_config_selectorINS0_5tupleIJffEEENS0_10empty_typeEEEZNS1_10merge_implIS3_NS0_12zip_iteratorINS5_IJN6thrust23THRUST_200600_302600_NS6detail15normal_iteratorINSC_10device_ptrIKfEEEESI_EEEEESK_NSA_INS5_IJNSE_INSF_IfEEEESM_EEEEEPS7_SP_SP_NSC_11hip_rocprim7__merge17predicate_wrapperIffNSC_4lessIfEEEEEE10hipError_tPvRmT0_T1_T2_T3_T4_T5_mmT6_P12ihipStream_tbEUlT_E_NS1_11comp_targetILNS1_3genE5ELNS1_11target_archE942ELNS1_3gpuE9ELNS1_3repE0EEENS1_30default_config_static_selectorELNS0_4arch9wavefront6targetE0EEEvS10_.uses_flat_scratch, 0
	.set _ZN7rocprim17ROCPRIM_400000_NS6detail17trampoline_kernelINS0_14default_configENS1_21merge_config_selectorINS0_5tupleIJffEEENS0_10empty_typeEEEZNS1_10merge_implIS3_NS0_12zip_iteratorINS5_IJN6thrust23THRUST_200600_302600_NS6detail15normal_iteratorINSC_10device_ptrIKfEEEESI_EEEEESK_NSA_INS5_IJNSE_INSF_IfEEEESM_EEEEEPS7_SP_SP_NSC_11hip_rocprim7__merge17predicate_wrapperIffNSC_4lessIfEEEEEE10hipError_tPvRmT0_T1_T2_T3_T4_T5_mmT6_P12ihipStream_tbEUlT_E_NS1_11comp_targetILNS1_3genE5ELNS1_11target_archE942ELNS1_3gpuE9ELNS1_3repE0EEENS1_30default_config_static_selectorELNS0_4arch9wavefront6targetE0EEEvS10_.has_dyn_sized_stack, 0
	.set _ZN7rocprim17ROCPRIM_400000_NS6detail17trampoline_kernelINS0_14default_configENS1_21merge_config_selectorINS0_5tupleIJffEEENS0_10empty_typeEEEZNS1_10merge_implIS3_NS0_12zip_iteratorINS5_IJN6thrust23THRUST_200600_302600_NS6detail15normal_iteratorINSC_10device_ptrIKfEEEESI_EEEEESK_NSA_INS5_IJNSE_INSF_IfEEEESM_EEEEEPS7_SP_SP_NSC_11hip_rocprim7__merge17predicate_wrapperIffNSC_4lessIfEEEEEE10hipError_tPvRmT0_T1_T2_T3_T4_T5_mmT6_P12ihipStream_tbEUlT_E_NS1_11comp_targetILNS1_3genE5ELNS1_11target_archE942ELNS1_3gpuE9ELNS1_3repE0EEENS1_30default_config_static_selectorELNS0_4arch9wavefront6targetE0EEEvS10_.has_recursion, 0
	.set _ZN7rocprim17ROCPRIM_400000_NS6detail17trampoline_kernelINS0_14default_configENS1_21merge_config_selectorINS0_5tupleIJffEEENS0_10empty_typeEEEZNS1_10merge_implIS3_NS0_12zip_iteratorINS5_IJN6thrust23THRUST_200600_302600_NS6detail15normal_iteratorINSC_10device_ptrIKfEEEESI_EEEEESK_NSA_INS5_IJNSE_INSF_IfEEEESM_EEEEEPS7_SP_SP_NSC_11hip_rocprim7__merge17predicate_wrapperIffNSC_4lessIfEEEEEE10hipError_tPvRmT0_T1_T2_T3_T4_T5_mmT6_P12ihipStream_tbEUlT_E_NS1_11comp_targetILNS1_3genE5ELNS1_11target_archE942ELNS1_3gpuE9ELNS1_3repE0EEENS1_30default_config_static_selectorELNS0_4arch9wavefront6targetE0EEEvS10_.has_indirect_call, 0
	.section	.AMDGPU.csdata,"",@progbits
; Kernel info:
; codeLenInByte = 0
; TotalNumSgprs: 0
; NumVgprs: 0
; ScratchSize: 0
; MemoryBound: 0
; FloatMode: 240
; IeeeMode: 1
; LDSByteSize: 0 bytes/workgroup (compile time only)
; SGPRBlocks: 0
; VGPRBlocks: 0
; NumSGPRsForWavesPerEU: 1
; NumVGPRsForWavesPerEU: 1
; NamedBarCnt: 0
; Occupancy: 16
; WaveLimiterHint : 0
; COMPUTE_PGM_RSRC2:SCRATCH_EN: 0
; COMPUTE_PGM_RSRC2:USER_SGPR: 2
; COMPUTE_PGM_RSRC2:TRAP_HANDLER: 0
; COMPUTE_PGM_RSRC2:TGID_X_EN: 1
; COMPUTE_PGM_RSRC2:TGID_Y_EN: 0
; COMPUTE_PGM_RSRC2:TGID_Z_EN: 0
; COMPUTE_PGM_RSRC2:TIDIG_COMP_CNT: 0
	.section	.text._ZN7rocprim17ROCPRIM_400000_NS6detail17trampoline_kernelINS0_14default_configENS1_21merge_config_selectorINS0_5tupleIJffEEENS0_10empty_typeEEEZNS1_10merge_implIS3_NS0_12zip_iteratorINS5_IJN6thrust23THRUST_200600_302600_NS6detail15normal_iteratorINSC_10device_ptrIKfEEEESI_EEEEESK_NSA_INS5_IJNSE_INSF_IfEEEESM_EEEEEPS7_SP_SP_NSC_11hip_rocprim7__merge17predicate_wrapperIffNSC_4lessIfEEEEEE10hipError_tPvRmT0_T1_T2_T3_T4_T5_mmT6_P12ihipStream_tbEUlT_E_NS1_11comp_targetILNS1_3genE4ELNS1_11target_archE910ELNS1_3gpuE8ELNS1_3repE0EEENS1_30default_config_static_selectorELNS0_4arch9wavefront6targetE0EEEvS10_,"axG",@progbits,_ZN7rocprim17ROCPRIM_400000_NS6detail17trampoline_kernelINS0_14default_configENS1_21merge_config_selectorINS0_5tupleIJffEEENS0_10empty_typeEEEZNS1_10merge_implIS3_NS0_12zip_iteratorINS5_IJN6thrust23THRUST_200600_302600_NS6detail15normal_iteratorINSC_10device_ptrIKfEEEESI_EEEEESK_NSA_INS5_IJNSE_INSF_IfEEEESM_EEEEEPS7_SP_SP_NSC_11hip_rocprim7__merge17predicate_wrapperIffNSC_4lessIfEEEEEE10hipError_tPvRmT0_T1_T2_T3_T4_T5_mmT6_P12ihipStream_tbEUlT_E_NS1_11comp_targetILNS1_3genE4ELNS1_11target_archE910ELNS1_3gpuE8ELNS1_3repE0EEENS1_30default_config_static_selectorELNS0_4arch9wavefront6targetE0EEEvS10_,comdat
	.protected	_ZN7rocprim17ROCPRIM_400000_NS6detail17trampoline_kernelINS0_14default_configENS1_21merge_config_selectorINS0_5tupleIJffEEENS0_10empty_typeEEEZNS1_10merge_implIS3_NS0_12zip_iteratorINS5_IJN6thrust23THRUST_200600_302600_NS6detail15normal_iteratorINSC_10device_ptrIKfEEEESI_EEEEESK_NSA_INS5_IJNSE_INSF_IfEEEESM_EEEEEPS7_SP_SP_NSC_11hip_rocprim7__merge17predicate_wrapperIffNSC_4lessIfEEEEEE10hipError_tPvRmT0_T1_T2_T3_T4_T5_mmT6_P12ihipStream_tbEUlT_E_NS1_11comp_targetILNS1_3genE4ELNS1_11target_archE910ELNS1_3gpuE8ELNS1_3repE0EEENS1_30default_config_static_selectorELNS0_4arch9wavefront6targetE0EEEvS10_ ; -- Begin function _ZN7rocprim17ROCPRIM_400000_NS6detail17trampoline_kernelINS0_14default_configENS1_21merge_config_selectorINS0_5tupleIJffEEENS0_10empty_typeEEEZNS1_10merge_implIS3_NS0_12zip_iteratorINS5_IJN6thrust23THRUST_200600_302600_NS6detail15normal_iteratorINSC_10device_ptrIKfEEEESI_EEEEESK_NSA_INS5_IJNSE_INSF_IfEEEESM_EEEEEPS7_SP_SP_NSC_11hip_rocprim7__merge17predicate_wrapperIffNSC_4lessIfEEEEEE10hipError_tPvRmT0_T1_T2_T3_T4_T5_mmT6_P12ihipStream_tbEUlT_E_NS1_11comp_targetILNS1_3genE4ELNS1_11target_archE910ELNS1_3gpuE8ELNS1_3repE0EEENS1_30default_config_static_selectorELNS0_4arch9wavefront6targetE0EEEvS10_
	.globl	_ZN7rocprim17ROCPRIM_400000_NS6detail17trampoline_kernelINS0_14default_configENS1_21merge_config_selectorINS0_5tupleIJffEEENS0_10empty_typeEEEZNS1_10merge_implIS3_NS0_12zip_iteratorINS5_IJN6thrust23THRUST_200600_302600_NS6detail15normal_iteratorINSC_10device_ptrIKfEEEESI_EEEEESK_NSA_INS5_IJNSE_INSF_IfEEEESM_EEEEEPS7_SP_SP_NSC_11hip_rocprim7__merge17predicate_wrapperIffNSC_4lessIfEEEEEE10hipError_tPvRmT0_T1_T2_T3_T4_T5_mmT6_P12ihipStream_tbEUlT_E_NS1_11comp_targetILNS1_3genE4ELNS1_11target_archE910ELNS1_3gpuE8ELNS1_3repE0EEENS1_30default_config_static_selectorELNS0_4arch9wavefront6targetE0EEEvS10_
	.p2align	8
	.type	_ZN7rocprim17ROCPRIM_400000_NS6detail17trampoline_kernelINS0_14default_configENS1_21merge_config_selectorINS0_5tupleIJffEEENS0_10empty_typeEEEZNS1_10merge_implIS3_NS0_12zip_iteratorINS5_IJN6thrust23THRUST_200600_302600_NS6detail15normal_iteratorINSC_10device_ptrIKfEEEESI_EEEEESK_NSA_INS5_IJNSE_INSF_IfEEEESM_EEEEEPS7_SP_SP_NSC_11hip_rocprim7__merge17predicate_wrapperIffNSC_4lessIfEEEEEE10hipError_tPvRmT0_T1_T2_T3_T4_T5_mmT6_P12ihipStream_tbEUlT_E_NS1_11comp_targetILNS1_3genE4ELNS1_11target_archE910ELNS1_3gpuE8ELNS1_3repE0EEENS1_30default_config_static_selectorELNS0_4arch9wavefront6targetE0EEEvS10_,@function
_ZN7rocprim17ROCPRIM_400000_NS6detail17trampoline_kernelINS0_14default_configENS1_21merge_config_selectorINS0_5tupleIJffEEENS0_10empty_typeEEEZNS1_10merge_implIS3_NS0_12zip_iteratorINS5_IJN6thrust23THRUST_200600_302600_NS6detail15normal_iteratorINSC_10device_ptrIKfEEEESI_EEEEESK_NSA_INS5_IJNSE_INSF_IfEEEESM_EEEEEPS7_SP_SP_NSC_11hip_rocprim7__merge17predicate_wrapperIffNSC_4lessIfEEEEEE10hipError_tPvRmT0_T1_T2_T3_T4_T5_mmT6_P12ihipStream_tbEUlT_E_NS1_11comp_targetILNS1_3genE4ELNS1_11target_archE910ELNS1_3gpuE8ELNS1_3repE0EEENS1_30default_config_static_selectorELNS0_4arch9wavefront6targetE0EEEvS10_: ; @_ZN7rocprim17ROCPRIM_400000_NS6detail17trampoline_kernelINS0_14default_configENS1_21merge_config_selectorINS0_5tupleIJffEEENS0_10empty_typeEEEZNS1_10merge_implIS3_NS0_12zip_iteratorINS5_IJN6thrust23THRUST_200600_302600_NS6detail15normal_iteratorINSC_10device_ptrIKfEEEESI_EEEEESK_NSA_INS5_IJNSE_INSF_IfEEEESM_EEEEEPS7_SP_SP_NSC_11hip_rocprim7__merge17predicate_wrapperIffNSC_4lessIfEEEEEE10hipError_tPvRmT0_T1_T2_T3_T4_T5_mmT6_P12ihipStream_tbEUlT_E_NS1_11comp_targetILNS1_3genE4ELNS1_11target_archE910ELNS1_3gpuE8ELNS1_3repE0EEENS1_30default_config_static_selectorELNS0_4arch9wavefront6targetE0EEEvS10_
; %bb.0:
	.section	.rodata,"a",@progbits
	.p2align	6, 0x0
	.amdhsa_kernel _ZN7rocprim17ROCPRIM_400000_NS6detail17trampoline_kernelINS0_14default_configENS1_21merge_config_selectorINS0_5tupleIJffEEENS0_10empty_typeEEEZNS1_10merge_implIS3_NS0_12zip_iteratorINS5_IJN6thrust23THRUST_200600_302600_NS6detail15normal_iteratorINSC_10device_ptrIKfEEEESI_EEEEESK_NSA_INS5_IJNSE_INSF_IfEEEESM_EEEEEPS7_SP_SP_NSC_11hip_rocprim7__merge17predicate_wrapperIffNSC_4lessIfEEEEEE10hipError_tPvRmT0_T1_T2_T3_T4_T5_mmT6_P12ihipStream_tbEUlT_E_NS1_11comp_targetILNS1_3genE4ELNS1_11target_archE910ELNS1_3gpuE8ELNS1_3repE0EEENS1_30default_config_static_selectorELNS0_4arch9wavefront6targetE0EEEvS10_
		.amdhsa_group_segment_fixed_size 0
		.amdhsa_private_segment_fixed_size 0
		.amdhsa_kernarg_size 64
		.amdhsa_user_sgpr_count 2
		.amdhsa_user_sgpr_dispatch_ptr 0
		.amdhsa_user_sgpr_queue_ptr 0
		.amdhsa_user_sgpr_kernarg_segment_ptr 1
		.amdhsa_user_sgpr_dispatch_id 0
		.amdhsa_user_sgpr_kernarg_preload_length 0
		.amdhsa_user_sgpr_kernarg_preload_offset 0
		.amdhsa_user_sgpr_private_segment_size 0
		.amdhsa_wavefront_size32 1
		.amdhsa_uses_dynamic_stack 0
		.amdhsa_enable_private_segment 0
		.amdhsa_system_sgpr_workgroup_id_x 1
		.amdhsa_system_sgpr_workgroup_id_y 0
		.amdhsa_system_sgpr_workgroup_id_z 0
		.amdhsa_system_sgpr_workgroup_info 0
		.amdhsa_system_vgpr_workitem_id 0
		.amdhsa_next_free_vgpr 1
		.amdhsa_next_free_sgpr 1
		.amdhsa_named_barrier_count 0
		.amdhsa_reserve_vcc 0
		.amdhsa_float_round_mode_32 0
		.amdhsa_float_round_mode_16_64 0
		.amdhsa_float_denorm_mode_32 3
		.amdhsa_float_denorm_mode_16_64 3
		.amdhsa_fp16_overflow 0
		.amdhsa_memory_ordered 1
		.amdhsa_forward_progress 1
		.amdhsa_inst_pref_size 0
		.amdhsa_round_robin_scheduling 0
		.amdhsa_exception_fp_ieee_invalid_op 0
		.amdhsa_exception_fp_denorm_src 0
		.amdhsa_exception_fp_ieee_div_zero 0
		.amdhsa_exception_fp_ieee_overflow 0
		.amdhsa_exception_fp_ieee_underflow 0
		.amdhsa_exception_fp_ieee_inexact 0
		.amdhsa_exception_int_div_zero 0
	.end_amdhsa_kernel
	.section	.text._ZN7rocprim17ROCPRIM_400000_NS6detail17trampoline_kernelINS0_14default_configENS1_21merge_config_selectorINS0_5tupleIJffEEENS0_10empty_typeEEEZNS1_10merge_implIS3_NS0_12zip_iteratorINS5_IJN6thrust23THRUST_200600_302600_NS6detail15normal_iteratorINSC_10device_ptrIKfEEEESI_EEEEESK_NSA_INS5_IJNSE_INSF_IfEEEESM_EEEEEPS7_SP_SP_NSC_11hip_rocprim7__merge17predicate_wrapperIffNSC_4lessIfEEEEEE10hipError_tPvRmT0_T1_T2_T3_T4_T5_mmT6_P12ihipStream_tbEUlT_E_NS1_11comp_targetILNS1_3genE4ELNS1_11target_archE910ELNS1_3gpuE8ELNS1_3repE0EEENS1_30default_config_static_selectorELNS0_4arch9wavefront6targetE0EEEvS10_,"axG",@progbits,_ZN7rocprim17ROCPRIM_400000_NS6detail17trampoline_kernelINS0_14default_configENS1_21merge_config_selectorINS0_5tupleIJffEEENS0_10empty_typeEEEZNS1_10merge_implIS3_NS0_12zip_iteratorINS5_IJN6thrust23THRUST_200600_302600_NS6detail15normal_iteratorINSC_10device_ptrIKfEEEESI_EEEEESK_NSA_INS5_IJNSE_INSF_IfEEEESM_EEEEEPS7_SP_SP_NSC_11hip_rocprim7__merge17predicate_wrapperIffNSC_4lessIfEEEEEE10hipError_tPvRmT0_T1_T2_T3_T4_T5_mmT6_P12ihipStream_tbEUlT_E_NS1_11comp_targetILNS1_3genE4ELNS1_11target_archE910ELNS1_3gpuE8ELNS1_3repE0EEENS1_30default_config_static_selectorELNS0_4arch9wavefront6targetE0EEEvS10_,comdat
.Lfunc_end61:
	.size	_ZN7rocprim17ROCPRIM_400000_NS6detail17trampoline_kernelINS0_14default_configENS1_21merge_config_selectorINS0_5tupleIJffEEENS0_10empty_typeEEEZNS1_10merge_implIS3_NS0_12zip_iteratorINS5_IJN6thrust23THRUST_200600_302600_NS6detail15normal_iteratorINSC_10device_ptrIKfEEEESI_EEEEESK_NSA_INS5_IJNSE_INSF_IfEEEESM_EEEEEPS7_SP_SP_NSC_11hip_rocprim7__merge17predicate_wrapperIffNSC_4lessIfEEEEEE10hipError_tPvRmT0_T1_T2_T3_T4_T5_mmT6_P12ihipStream_tbEUlT_E_NS1_11comp_targetILNS1_3genE4ELNS1_11target_archE910ELNS1_3gpuE8ELNS1_3repE0EEENS1_30default_config_static_selectorELNS0_4arch9wavefront6targetE0EEEvS10_, .Lfunc_end61-_ZN7rocprim17ROCPRIM_400000_NS6detail17trampoline_kernelINS0_14default_configENS1_21merge_config_selectorINS0_5tupleIJffEEENS0_10empty_typeEEEZNS1_10merge_implIS3_NS0_12zip_iteratorINS5_IJN6thrust23THRUST_200600_302600_NS6detail15normal_iteratorINSC_10device_ptrIKfEEEESI_EEEEESK_NSA_INS5_IJNSE_INSF_IfEEEESM_EEEEEPS7_SP_SP_NSC_11hip_rocprim7__merge17predicate_wrapperIffNSC_4lessIfEEEEEE10hipError_tPvRmT0_T1_T2_T3_T4_T5_mmT6_P12ihipStream_tbEUlT_E_NS1_11comp_targetILNS1_3genE4ELNS1_11target_archE910ELNS1_3gpuE8ELNS1_3repE0EEENS1_30default_config_static_selectorELNS0_4arch9wavefront6targetE0EEEvS10_
                                        ; -- End function
	.set _ZN7rocprim17ROCPRIM_400000_NS6detail17trampoline_kernelINS0_14default_configENS1_21merge_config_selectorINS0_5tupleIJffEEENS0_10empty_typeEEEZNS1_10merge_implIS3_NS0_12zip_iteratorINS5_IJN6thrust23THRUST_200600_302600_NS6detail15normal_iteratorINSC_10device_ptrIKfEEEESI_EEEEESK_NSA_INS5_IJNSE_INSF_IfEEEESM_EEEEEPS7_SP_SP_NSC_11hip_rocprim7__merge17predicate_wrapperIffNSC_4lessIfEEEEEE10hipError_tPvRmT0_T1_T2_T3_T4_T5_mmT6_P12ihipStream_tbEUlT_E_NS1_11comp_targetILNS1_3genE4ELNS1_11target_archE910ELNS1_3gpuE8ELNS1_3repE0EEENS1_30default_config_static_selectorELNS0_4arch9wavefront6targetE0EEEvS10_.num_vgpr, 0
	.set _ZN7rocprim17ROCPRIM_400000_NS6detail17trampoline_kernelINS0_14default_configENS1_21merge_config_selectorINS0_5tupleIJffEEENS0_10empty_typeEEEZNS1_10merge_implIS3_NS0_12zip_iteratorINS5_IJN6thrust23THRUST_200600_302600_NS6detail15normal_iteratorINSC_10device_ptrIKfEEEESI_EEEEESK_NSA_INS5_IJNSE_INSF_IfEEEESM_EEEEEPS7_SP_SP_NSC_11hip_rocprim7__merge17predicate_wrapperIffNSC_4lessIfEEEEEE10hipError_tPvRmT0_T1_T2_T3_T4_T5_mmT6_P12ihipStream_tbEUlT_E_NS1_11comp_targetILNS1_3genE4ELNS1_11target_archE910ELNS1_3gpuE8ELNS1_3repE0EEENS1_30default_config_static_selectorELNS0_4arch9wavefront6targetE0EEEvS10_.num_agpr, 0
	.set _ZN7rocprim17ROCPRIM_400000_NS6detail17trampoline_kernelINS0_14default_configENS1_21merge_config_selectorINS0_5tupleIJffEEENS0_10empty_typeEEEZNS1_10merge_implIS3_NS0_12zip_iteratorINS5_IJN6thrust23THRUST_200600_302600_NS6detail15normal_iteratorINSC_10device_ptrIKfEEEESI_EEEEESK_NSA_INS5_IJNSE_INSF_IfEEEESM_EEEEEPS7_SP_SP_NSC_11hip_rocprim7__merge17predicate_wrapperIffNSC_4lessIfEEEEEE10hipError_tPvRmT0_T1_T2_T3_T4_T5_mmT6_P12ihipStream_tbEUlT_E_NS1_11comp_targetILNS1_3genE4ELNS1_11target_archE910ELNS1_3gpuE8ELNS1_3repE0EEENS1_30default_config_static_selectorELNS0_4arch9wavefront6targetE0EEEvS10_.numbered_sgpr, 0
	.set _ZN7rocprim17ROCPRIM_400000_NS6detail17trampoline_kernelINS0_14default_configENS1_21merge_config_selectorINS0_5tupleIJffEEENS0_10empty_typeEEEZNS1_10merge_implIS3_NS0_12zip_iteratorINS5_IJN6thrust23THRUST_200600_302600_NS6detail15normal_iteratorINSC_10device_ptrIKfEEEESI_EEEEESK_NSA_INS5_IJNSE_INSF_IfEEEESM_EEEEEPS7_SP_SP_NSC_11hip_rocprim7__merge17predicate_wrapperIffNSC_4lessIfEEEEEE10hipError_tPvRmT0_T1_T2_T3_T4_T5_mmT6_P12ihipStream_tbEUlT_E_NS1_11comp_targetILNS1_3genE4ELNS1_11target_archE910ELNS1_3gpuE8ELNS1_3repE0EEENS1_30default_config_static_selectorELNS0_4arch9wavefront6targetE0EEEvS10_.num_named_barrier, 0
	.set _ZN7rocprim17ROCPRIM_400000_NS6detail17trampoline_kernelINS0_14default_configENS1_21merge_config_selectorINS0_5tupleIJffEEENS0_10empty_typeEEEZNS1_10merge_implIS3_NS0_12zip_iteratorINS5_IJN6thrust23THRUST_200600_302600_NS6detail15normal_iteratorINSC_10device_ptrIKfEEEESI_EEEEESK_NSA_INS5_IJNSE_INSF_IfEEEESM_EEEEEPS7_SP_SP_NSC_11hip_rocprim7__merge17predicate_wrapperIffNSC_4lessIfEEEEEE10hipError_tPvRmT0_T1_T2_T3_T4_T5_mmT6_P12ihipStream_tbEUlT_E_NS1_11comp_targetILNS1_3genE4ELNS1_11target_archE910ELNS1_3gpuE8ELNS1_3repE0EEENS1_30default_config_static_selectorELNS0_4arch9wavefront6targetE0EEEvS10_.private_seg_size, 0
	.set _ZN7rocprim17ROCPRIM_400000_NS6detail17trampoline_kernelINS0_14default_configENS1_21merge_config_selectorINS0_5tupleIJffEEENS0_10empty_typeEEEZNS1_10merge_implIS3_NS0_12zip_iteratorINS5_IJN6thrust23THRUST_200600_302600_NS6detail15normal_iteratorINSC_10device_ptrIKfEEEESI_EEEEESK_NSA_INS5_IJNSE_INSF_IfEEEESM_EEEEEPS7_SP_SP_NSC_11hip_rocprim7__merge17predicate_wrapperIffNSC_4lessIfEEEEEE10hipError_tPvRmT0_T1_T2_T3_T4_T5_mmT6_P12ihipStream_tbEUlT_E_NS1_11comp_targetILNS1_3genE4ELNS1_11target_archE910ELNS1_3gpuE8ELNS1_3repE0EEENS1_30default_config_static_selectorELNS0_4arch9wavefront6targetE0EEEvS10_.uses_vcc, 0
	.set _ZN7rocprim17ROCPRIM_400000_NS6detail17trampoline_kernelINS0_14default_configENS1_21merge_config_selectorINS0_5tupleIJffEEENS0_10empty_typeEEEZNS1_10merge_implIS3_NS0_12zip_iteratorINS5_IJN6thrust23THRUST_200600_302600_NS6detail15normal_iteratorINSC_10device_ptrIKfEEEESI_EEEEESK_NSA_INS5_IJNSE_INSF_IfEEEESM_EEEEEPS7_SP_SP_NSC_11hip_rocprim7__merge17predicate_wrapperIffNSC_4lessIfEEEEEE10hipError_tPvRmT0_T1_T2_T3_T4_T5_mmT6_P12ihipStream_tbEUlT_E_NS1_11comp_targetILNS1_3genE4ELNS1_11target_archE910ELNS1_3gpuE8ELNS1_3repE0EEENS1_30default_config_static_selectorELNS0_4arch9wavefront6targetE0EEEvS10_.uses_flat_scratch, 0
	.set _ZN7rocprim17ROCPRIM_400000_NS6detail17trampoline_kernelINS0_14default_configENS1_21merge_config_selectorINS0_5tupleIJffEEENS0_10empty_typeEEEZNS1_10merge_implIS3_NS0_12zip_iteratorINS5_IJN6thrust23THRUST_200600_302600_NS6detail15normal_iteratorINSC_10device_ptrIKfEEEESI_EEEEESK_NSA_INS5_IJNSE_INSF_IfEEEESM_EEEEEPS7_SP_SP_NSC_11hip_rocprim7__merge17predicate_wrapperIffNSC_4lessIfEEEEEE10hipError_tPvRmT0_T1_T2_T3_T4_T5_mmT6_P12ihipStream_tbEUlT_E_NS1_11comp_targetILNS1_3genE4ELNS1_11target_archE910ELNS1_3gpuE8ELNS1_3repE0EEENS1_30default_config_static_selectorELNS0_4arch9wavefront6targetE0EEEvS10_.has_dyn_sized_stack, 0
	.set _ZN7rocprim17ROCPRIM_400000_NS6detail17trampoline_kernelINS0_14default_configENS1_21merge_config_selectorINS0_5tupleIJffEEENS0_10empty_typeEEEZNS1_10merge_implIS3_NS0_12zip_iteratorINS5_IJN6thrust23THRUST_200600_302600_NS6detail15normal_iteratorINSC_10device_ptrIKfEEEESI_EEEEESK_NSA_INS5_IJNSE_INSF_IfEEEESM_EEEEEPS7_SP_SP_NSC_11hip_rocprim7__merge17predicate_wrapperIffNSC_4lessIfEEEEEE10hipError_tPvRmT0_T1_T2_T3_T4_T5_mmT6_P12ihipStream_tbEUlT_E_NS1_11comp_targetILNS1_3genE4ELNS1_11target_archE910ELNS1_3gpuE8ELNS1_3repE0EEENS1_30default_config_static_selectorELNS0_4arch9wavefront6targetE0EEEvS10_.has_recursion, 0
	.set _ZN7rocprim17ROCPRIM_400000_NS6detail17trampoline_kernelINS0_14default_configENS1_21merge_config_selectorINS0_5tupleIJffEEENS0_10empty_typeEEEZNS1_10merge_implIS3_NS0_12zip_iteratorINS5_IJN6thrust23THRUST_200600_302600_NS6detail15normal_iteratorINSC_10device_ptrIKfEEEESI_EEEEESK_NSA_INS5_IJNSE_INSF_IfEEEESM_EEEEEPS7_SP_SP_NSC_11hip_rocprim7__merge17predicate_wrapperIffNSC_4lessIfEEEEEE10hipError_tPvRmT0_T1_T2_T3_T4_T5_mmT6_P12ihipStream_tbEUlT_E_NS1_11comp_targetILNS1_3genE4ELNS1_11target_archE910ELNS1_3gpuE8ELNS1_3repE0EEENS1_30default_config_static_selectorELNS0_4arch9wavefront6targetE0EEEvS10_.has_indirect_call, 0
	.section	.AMDGPU.csdata,"",@progbits
; Kernel info:
; codeLenInByte = 0
; TotalNumSgprs: 0
; NumVgprs: 0
; ScratchSize: 0
; MemoryBound: 0
; FloatMode: 240
; IeeeMode: 1
; LDSByteSize: 0 bytes/workgroup (compile time only)
; SGPRBlocks: 0
; VGPRBlocks: 0
; NumSGPRsForWavesPerEU: 1
; NumVGPRsForWavesPerEU: 1
; NamedBarCnt: 0
; Occupancy: 16
; WaveLimiterHint : 0
; COMPUTE_PGM_RSRC2:SCRATCH_EN: 0
; COMPUTE_PGM_RSRC2:USER_SGPR: 2
; COMPUTE_PGM_RSRC2:TRAP_HANDLER: 0
; COMPUTE_PGM_RSRC2:TGID_X_EN: 1
; COMPUTE_PGM_RSRC2:TGID_Y_EN: 0
; COMPUTE_PGM_RSRC2:TGID_Z_EN: 0
; COMPUTE_PGM_RSRC2:TIDIG_COMP_CNT: 0
	.section	.text._ZN7rocprim17ROCPRIM_400000_NS6detail17trampoline_kernelINS0_14default_configENS1_21merge_config_selectorINS0_5tupleIJffEEENS0_10empty_typeEEEZNS1_10merge_implIS3_NS0_12zip_iteratorINS5_IJN6thrust23THRUST_200600_302600_NS6detail15normal_iteratorINSC_10device_ptrIKfEEEESI_EEEEESK_NSA_INS5_IJNSE_INSF_IfEEEESM_EEEEEPS7_SP_SP_NSC_11hip_rocprim7__merge17predicate_wrapperIffNSC_4lessIfEEEEEE10hipError_tPvRmT0_T1_T2_T3_T4_T5_mmT6_P12ihipStream_tbEUlT_E_NS1_11comp_targetILNS1_3genE3ELNS1_11target_archE908ELNS1_3gpuE7ELNS1_3repE0EEENS1_30default_config_static_selectorELNS0_4arch9wavefront6targetE0EEEvS10_,"axG",@progbits,_ZN7rocprim17ROCPRIM_400000_NS6detail17trampoline_kernelINS0_14default_configENS1_21merge_config_selectorINS0_5tupleIJffEEENS0_10empty_typeEEEZNS1_10merge_implIS3_NS0_12zip_iteratorINS5_IJN6thrust23THRUST_200600_302600_NS6detail15normal_iteratorINSC_10device_ptrIKfEEEESI_EEEEESK_NSA_INS5_IJNSE_INSF_IfEEEESM_EEEEEPS7_SP_SP_NSC_11hip_rocprim7__merge17predicate_wrapperIffNSC_4lessIfEEEEEE10hipError_tPvRmT0_T1_T2_T3_T4_T5_mmT6_P12ihipStream_tbEUlT_E_NS1_11comp_targetILNS1_3genE3ELNS1_11target_archE908ELNS1_3gpuE7ELNS1_3repE0EEENS1_30default_config_static_selectorELNS0_4arch9wavefront6targetE0EEEvS10_,comdat
	.protected	_ZN7rocprim17ROCPRIM_400000_NS6detail17trampoline_kernelINS0_14default_configENS1_21merge_config_selectorINS0_5tupleIJffEEENS0_10empty_typeEEEZNS1_10merge_implIS3_NS0_12zip_iteratorINS5_IJN6thrust23THRUST_200600_302600_NS6detail15normal_iteratorINSC_10device_ptrIKfEEEESI_EEEEESK_NSA_INS5_IJNSE_INSF_IfEEEESM_EEEEEPS7_SP_SP_NSC_11hip_rocprim7__merge17predicate_wrapperIffNSC_4lessIfEEEEEE10hipError_tPvRmT0_T1_T2_T3_T4_T5_mmT6_P12ihipStream_tbEUlT_E_NS1_11comp_targetILNS1_3genE3ELNS1_11target_archE908ELNS1_3gpuE7ELNS1_3repE0EEENS1_30default_config_static_selectorELNS0_4arch9wavefront6targetE0EEEvS10_ ; -- Begin function _ZN7rocprim17ROCPRIM_400000_NS6detail17trampoline_kernelINS0_14default_configENS1_21merge_config_selectorINS0_5tupleIJffEEENS0_10empty_typeEEEZNS1_10merge_implIS3_NS0_12zip_iteratorINS5_IJN6thrust23THRUST_200600_302600_NS6detail15normal_iteratorINSC_10device_ptrIKfEEEESI_EEEEESK_NSA_INS5_IJNSE_INSF_IfEEEESM_EEEEEPS7_SP_SP_NSC_11hip_rocprim7__merge17predicate_wrapperIffNSC_4lessIfEEEEEE10hipError_tPvRmT0_T1_T2_T3_T4_T5_mmT6_P12ihipStream_tbEUlT_E_NS1_11comp_targetILNS1_3genE3ELNS1_11target_archE908ELNS1_3gpuE7ELNS1_3repE0EEENS1_30default_config_static_selectorELNS0_4arch9wavefront6targetE0EEEvS10_
	.globl	_ZN7rocprim17ROCPRIM_400000_NS6detail17trampoline_kernelINS0_14default_configENS1_21merge_config_selectorINS0_5tupleIJffEEENS0_10empty_typeEEEZNS1_10merge_implIS3_NS0_12zip_iteratorINS5_IJN6thrust23THRUST_200600_302600_NS6detail15normal_iteratorINSC_10device_ptrIKfEEEESI_EEEEESK_NSA_INS5_IJNSE_INSF_IfEEEESM_EEEEEPS7_SP_SP_NSC_11hip_rocprim7__merge17predicate_wrapperIffNSC_4lessIfEEEEEE10hipError_tPvRmT0_T1_T2_T3_T4_T5_mmT6_P12ihipStream_tbEUlT_E_NS1_11comp_targetILNS1_3genE3ELNS1_11target_archE908ELNS1_3gpuE7ELNS1_3repE0EEENS1_30default_config_static_selectorELNS0_4arch9wavefront6targetE0EEEvS10_
	.p2align	8
	.type	_ZN7rocprim17ROCPRIM_400000_NS6detail17trampoline_kernelINS0_14default_configENS1_21merge_config_selectorINS0_5tupleIJffEEENS0_10empty_typeEEEZNS1_10merge_implIS3_NS0_12zip_iteratorINS5_IJN6thrust23THRUST_200600_302600_NS6detail15normal_iteratorINSC_10device_ptrIKfEEEESI_EEEEESK_NSA_INS5_IJNSE_INSF_IfEEEESM_EEEEEPS7_SP_SP_NSC_11hip_rocprim7__merge17predicate_wrapperIffNSC_4lessIfEEEEEE10hipError_tPvRmT0_T1_T2_T3_T4_T5_mmT6_P12ihipStream_tbEUlT_E_NS1_11comp_targetILNS1_3genE3ELNS1_11target_archE908ELNS1_3gpuE7ELNS1_3repE0EEENS1_30default_config_static_selectorELNS0_4arch9wavefront6targetE0EEEvS10_,@function
_ZN7rocprim17ROCPRIM_400000_NS6detail17trampoline_kernelINS0_14default_configENS1_21merge_config_selectorINS0_5tupleIJffEEENS0_10empty_typeEEEZNS1_10merge_implIS3_NS0_12zip_iteratorINS5_IJN6thrust23THRUST_200600_302600_NS6detail15normal_iteratorINSC_10device_ptrIKfEEEESI_EEEEESK_NSA_INS5_IJNSE_INSF_IfEEEESM_EEEEEPS7_SP_SP_NSC_11hip_rocprim7__merge17predicate_wrapperIffNSC_4lessIfEEEEEE10hipError_tPvRmT0_T1_T2_T3_T4_T5_mmT6_P12ihipStream_tbEUlT_E_NS1_11comp_targetILNS1_3genE3ELNS1_11target_archE908ELNS1_3gpuE7ELNS1_3repE0EEENS1_30default_config_static_selectorELNS0_4arch9wavefront6targetE0EEEvS10_: ; @_ZN7rocprim17ROCPRIM_400000_NS6detail17trampoline_kernelINS0_14default_configENS1_21merge_config_selectorINS0_5tupleIJffEEENS0_10empty_typeEEEZNS1_10merge_implIS3_NS0_12zip_iteratorINS5_IJN6thrust23THRUST_200600_302600_NS6detail15normal_iteratorINSC_10device_ptrIKfEEEESI_EEEEESK_NSA_INS5_IJNSE_INSF_IfEEEESM_EEEEEPS7_SP_SP_NSC_11hip_rocprim7__merge17predicate_wrapperIffNSC_4lessIfEEEEEE10hipError_tPvRmT0_T1_T2_T3_T4_T5_mmT6_P12ihipStream_tbEUlT_E_NS1_11comp_targetILNS1_3genE3ELNS1_11target_archE908ELNS1_3gpuE7ELNS1_3repE0EEENS1_30default_config_static_selectorELNS0_4arch9wavefront6targetE0EEEvS10_
; %bb.0:
	.section	.rodata,"a",@progbits
	.p2align	6, 0x0
	.amdhsa_kernel _ZN7rocprim17ROCPRIM_400000_NS6detail17trampoline_kernelINS0_14default_configENS1_21merge_config_selectorINS0_5tupleIJffEEENS0_10empty_typeEEEZNS1_10merge_implIS3_NS0_12zip_iteratorINS5_IJN6thrust23THRUST_200600_302600_NS6detail15normal_iteratorINSC_10device_ptrIKfEEEESI_EEEEESK_NSA_INS5_IJNSE_INSF_IfEEEESM_EEEEEPS7_SP_SP_NSC_11hip_rocprim7__merge17predicate_wrapperIffNSC_4lessIfEEEEEE10hipError_tPvRmT0_T1_T2_T3_T4_T5_mmT6_P12ihipStream_tbEUlT_E_NS1_11comp_targetILNS1_3genE3ELNS1_11target_archE908ELNS1_3gpuE7ELNS1_3repE0EEENS1_30default_config_static_selectorELNS0_4arch9wavefront6targetE0EEEvS10_
		.amdhsa_group_segment_fixed_size 0
		.amdhsa_private_segment_fixed_size 0
		.amdhsa_kernarg_size 64
		.amdhsa_user_sgpr_count 2
		.amdhsa_user_sgpr_dispatch_ptr 0
		.amdhsa_user_sgpr_queue_ptr 0
		.amdhsa_user_sgpr_kernarg_segment_ptr 1
		.amdhsa_user_sgpr_dispatch_id 0
		.amdhsa_user_sgpr_kernarg_preload_length 0
		.amdhsa_user_sgpr_kernarg_preload_offset 0
		.amdhsa_user_sgpr_private_segment_size 0
		.amdhsa_wavefront_size32 1
		.amdhsa_uses_dynamic_stack 0
		.amdhsa_enable_private_segment 0
		.amdhsa_system_sgpr_workgroup_id_x 1
		.amdhsa_system_sgpr_workgroup_id_y 0
		.amdhsa_system_sgpr_workgroup_id_z 0
		.amdhsa_system_sgpr_workgroup_info 0
		.amdhsa_system_vgpr_workitem_id 0
		.amdhsa_next_free_vgpr 1
		.amdhsa_next_free_sgpr 1
		.amdhsa_named_barrier_count 0
		.amdhsa_reserve_vcc 0
		.amdhsa_float_round_mode_32 0
		.amdhsa_float_round_mode_16_64 0
		.amdhsa_float_denorm_mode_32 3
		.amdhsa_float_denorm_mode_16_64 3
		.amdhsa_fp16_overflow 0
		.amdhsa_memory_ordered 1
		.amdhsa_forward_progress 1
		.amdhsa_inst_pref_size 0
		.amdhsa_round_robin_scheduling 0
		.amdhsa_exception_fp_ieee_invalid_op 0
		.amdhsa_exception_fp_denorm_src 0
		.amdhsa_exception_fp_ieee_div_zero 0
		.amdhsa_exception_fp_ieee_overflow 0
		.amdhsa_exception_fp_ieee_underflow 0
		.amdhsa_exception_fp_ieee_inexact 0
		.amdhsa_exception_int_div_zero 0
	.end_amdhsa_kernel
	.section	.text._ZN7rocprim17ROCPRIM_400000_NS6detail17trampoline_kernelINS0_14default_configENS1_21merge_config_selectorINS0_5tupleIJffEEENS0_10empty_typeEEEZNS1_10merge_implIS3_NS0_12zip_iteratorINS5_IJN6thrust23THRUST_200600_302600_NS6detail15normal_iteratorINSC_10device_ptrIKfEEEESI_EEEEESK_NSA_INS5_IJNSE_INSF_IfEEEESM_EEEEEPS7_SP_SP_NSC_11hip_rocprim7__merge17predicate_wrapperIffNSC_4lessIfEEEEEE10hipError_tPvRmT0_T1_T2_T3_T4_T5_mmT6_P12ihipStream_tbEUlT_E_NS1_11comp_targetILNS1_3genE3ELNS1_11target_archE908ELNS1_3gpuE7ELNS1_3repE0EEENS1_30default_config_static_selectorELNS0_4arch9wavefront6targetE0EEEvS10_,"axG",@progbits,_ZN7rocprim17ROCPRIM_400000_NS6detail17trampoline_kernelINS0_14default_configENS1_21merge_config_selectorINS0_5tupleIJffEEENS0_10empty_typeEEEZNS1_10merge_implIS3_NS0_12zip_iteratorINS5_IJN6thrust23THRUST_200600_302600_NS6detail15normal_iteratorINSC_10device_ptrIKfEEEESI_EEEEESK_NSA_INS5_IJNSE_INSF_IfEEEESM_EEEEEPS7_SP_SP_NSC_11hip_rocprim7__merge17predicate_wrapperIffNSC_4lessIfEEEEEE10hipError_tPvRmT0_T1_T2_T3_T4_T5_mmT6_P12ihipStream_tbEUlT_E_NS1_11comp_targetILNS1_3genE3ELNS1_11target_archE908ELNS1_3gpuE7ELNS1_3repE0EEENS1_30default_config_static_selectorELNS0_4arch9wavefront6targetE0EEEvS10_,comdat
.Lfunc_end62:
	.size	_ZN7rocprim17ROCPRIM_400000_NS6detail17trampoline_kernelINS0_14default_configENS1_21merge_config_selectorINS0_5tupleIJffEEENS0_10empty_typeEEEZNS1_10merge_implIS3_NS0_12zip_iteratorINS5_IJN6thrust23THRUST_200600_302600_NS6detail15normal_iteratorINSC_10device_ptrIKfEEEESI_EEEEESK_NSA_INS5_IJNSE_INSF_IfEEEESM_EEEEEPS7_SP_SP_NSC_11hip_rocprim7__merge17predicate_wrapperIffNSC_4lessIfEEEEEE10hipError_tPvRmT0_T1_T2_T3_T4_T5_mmT6_P12ihipStream_tbEUlT_E_NS1_11comp_targetILNS1_3genE3ELNS1_11target_archE908ELNS1_3gpuE7ELNS1_3repE0EEENS1_30default_config_static_selectorELNS0_4arch9wavefront6targetE0EEEvS10_, .Lfunc_end62-_ZN7rocprim17ROCPRIM_400000_NS6detail17trampoline_kernelINS0_14default_configENS1_21merge_config_selectorINS0_5tupleIJffEEENS0_10empty_typeEEEZNS1_10merge_implIS3_NS0_12zip_iteratorINS5_IJN6thrust23THRUST_200600_302600_NS6detail15normal_iteratorINSC_10device_ptrIKfEEEESI_EEEEESK_NSA_INS5_IJNSE_INSF_IfEEEESM_EEEEEPS7_SP_SP_NSC_11hip_rocprim7__merge17predicate_wrapperIffNSC_4lessIfEEEEEE10hipError_tPvRmT0_T1_T2_T3_T4_T5_mmT6_P12ihipStream_tbEUlT_E_NS1_11comp_targetILNS1_3genE3ELNS1_11target_archE908ELNS1_3gpuE7ELNS1_3repE0EEENS1_30default_config_static_selectorELNS0_4arch9wavefront6targetE0EEEvS10_
                                        ; -- End function
	.set _ZN7rocprim17ROCPRIM_400000_NS6detail17trampoline_kernelINS0_14default_configENS1_21merge_config_selectorINS0_5tupleIJffEEENS0_10empty_typeEEEZNS1_10merge_implIS3_NS0_12zip_iteratorINS5_IJN6thrust23THRUST_200600_302600_NS6detail15normal_iteratorINSC_10device_ptrIKfEEEESI_EEEEESK_NSA_INS5_IJNSE_INSF_IfEEEESM_EEEEEPS7_SP_SP_NSC_11hip_rocprim7__merge17predicate_wrapperIffNSC_4lessIfEEEEEE10hipError_tPvRmT0_T1_T2_T3_T4_T5_mmT6_P12ihipStream_tbEUlT_E_NS1_11comp_targetILNS1_3genE3ELNS1_11target_archE908ELNS1_3gpuE7ELNS1_3repE0EEENS1_30default_config_static_selectorELNS0_4arch9wavefront6targetE0EEEvS10_.num_vgpr, 0
	.set _ZN7rocprim17ROCPRIM_400000_NS6detail17trampoline_kernelINS0_14default_configENS1_21merge_config_selectorINS0_5tupleIJffEEENS0_10empty_typeEEEZNS1_10merge_implIS3_NS0_12zip_iteratorINS5_IJN6thrust23THRUST_200600_302600_NS6detail15normal_iteratorINSC_10device_ptrIKfEEEESI_EEEEESK_NSA_INS5_IJNSE_INSF_IfEEEESM_EEEEEPS7_SP_SP_NSC_11hip_rocprim7__merge17predicate_wrapperIffNSC_4lessIfEEEEEE10hipError_tPvRmT0_T1_T2_T3_T4_T5_mmT6_P12ihipStream_tbEUlT_E_NS1_11comp_targetILNS1_3genE3ELNS1_11target_archE908ELNS1_3gpuE7ELNS1_3repE0EEENS1_30default_config_static_selectorELNS0_4arch9wavefront6targetE0EEEvS10_.num_agpr, 0
	.set _ZN7rocprim17ROCPRIM_400000_NS6detail17trampoline_kernelINS0_14default_configENS1_21merge_config_selectorINS0_5tupleIJffEEENS0_10empty_typeEEEZNS1_10merge_implIS3_NS0_12zip_iteratorINS5_IJN6thrust23THRUST_200600_302600_NS6detail15normal_iteratorINSC_10device_ptrIKfEEEESI_EEEEESK_NSA_INS5_IJNSE_INSF_IfEEEESM_EEEEEPS7_SP_SP_NSC_11hip_rocprim7__merge17predicate_wrapperIffNSC_4lessIfEEEEEE10hipError_tPvRmT0_T1_T2_T3_T4_T5_mmT6_P12ihipStream_tbEUlT_E_NS1_11comp_targetILNS1_3genE3ELNS1_11target_archE908ELNS1_3gpuE7ELNS1_3repE0EEENS1_30default_config_static_selectorELNS0_4arch9wavefront6targetE0EEEvS10_.numbered_sgpr, 0
	.set _ZN7rocprim17ROCPRIM_400000_NS6detail17trampoline_kernelINS0_14default_configENS1_21merge_config_selectorINS0_5tupleIJffEEENS0_10empty_typeEEEZNS1_10merge_implIS3_NS0_12zip_iteratorINS5_IJN6thrust23THRUST_200600_302600_NS6detail15normal_iteratorINSC_10device_ptrIKfEEEESI_EEEEESK_NSA_INS5_IJNSE_INSF_IfEEEESM_EEEEEPS7_SP_SP_NSC_11hip_rocprim7__merge17predicate_wrapperIffNSC_4lessIfEEEEEE10hipError_tPvRmT0_T1_T2_T3_T4_T5_mmT6_P12ihipStream_tbEUlT_E_NS1_11comp_targetILNS1_3genE3ELNS1_11target_archE908ELNS1_3gpuE7ELNS1_3repE0EEENS1_30default_config_static_selectorELNS0_4arch9wavefront6targetE0EEEvS10_.num_named_barrier, 0
	.set _ZN7rocprim17ROCPRIM_400000_NS6detail17trampoline_kernelINS0_14default_configENS1_21merge_config_selectorINS0_5tupleIJffEEENS0_10empty_typeEEEZNS1_10merge_implIS3_NS0_12zip_iteratorINS5_IJN6thrust23THRUST_200600_302600_NS6detail15normal_iteratorINSC_10device_ptrIKfEEEESI_EEEEESK_NSA_INS5_IJNSE_INSF_IfEEEESM_EEEEEPS7_SP_SP_NSC_11hip_rocprim7__merge17predicate_wrapperIffNSC_4lessIfEEEEEE10hipError_tPvRmT0_T1_T2_T3_T4_T5_mmT6_P12ihipStream_tbEUlT_E_NS1_11comp_targetILNS1_3genE3ELNS1_11target_archE908ELNS1_3gpuE7ELNS1_3repE0EEENS1_30default_config_static_selectorELNS0_4arch9wavefront6targetE0EEEvS10_.private_seg_size, 0
	.set _ZN7rocprim17ROCPRIM_400000_NS6detail17trampoline_kernelINS0_14default_configENS1_21merge_config_selectorINS0_5tupleIJffEEENS0_10empty_typeEEEZNS1_10merge_implIS3_NS0_12zip_iteratorINS5_IJN6thrust23THRUST_200600_302600_NS6detail15normal_iteratorINSC_10device_ptrIKfEEEESI_EEEEESK_NSA_INS5_IJNSE_INSF_IfEEEESM_EEEEEPS7_SP_SP_NSC_11hip_rocprim7__merge17predicate_wrapperIffNSC_4lessIfEEEEEE10hipError_tPvRmT0_T1_T2_T3_T4_T5_mmT6_P12ihipStream_tbEUlT_E_NS1_11comp_targetILNS1_3genE3ELNS1_11target_archE908ELNS1_3gpuE7ELNS1_3repE0EEENS1_30default_config_static_selectorELNS0_4arch9wavefront6targetE0EEEvS10_.uses_vcc, 0
	.set _ZN7rocprim17ROCPRIM_400000_NS6detail17trampoline_kernelINS0_14default_configENS1_21merge_config_selectorINS0_5tupleIJffEEENS0_10empty_typeEEEZNS1_10merge_implIS3_NS0_12zip_iteratorINS5_IJN6thrust23THRUST_200600_302600_NS6detail15normal_iteratorINSC_10device_ptrIKfEEEESI_EEEEESK_NSA_INS5_IJNSE_INSF_IfEEEESM_EEEEEPS7_SP_SP_NSC_11hip_rocprim7__merge17predicate_wrapperIffNSC_4lessIfEEEEEE10hipError_tPvRmT0_T1_T2_T3_T4_T5_mmT6_P12ihipStream_tbEUlT_E_NS1_11comp_targetILNS1_3genE3ELNS1_11target_archE908ELNS1_3gpuE7ELNS1_3repE0EEENS1_30default_config_static_selectorELNS0_4arch9wavefront6targetE0EEEvS10_.uses_flat_scratch, 0
	.set _ZN7rocprim17ROCPRIM_400000_NS6detail17trampoline_kernelINS0_14default_configENS1_21merge_config_selectorINS0_5tupleIJffEEENS0_10empty_typeEEEZNS1_10merge_implIS3_NS0_12zip_iteratorINS5_IJN6thrust23THRUST_200600_302600_NS6detail15normal_iteratorINSC_10device_ptrIKfEEEESI_EEEEESK_NSA_INS5_IJNSE_INSF_IfEEEESM_EEEEEPS7_SP_SP_NSC_11hip_rocprim7__merge17predicate_wrapperIffNSC_4lessIfEEEEEE10hipError_tPvRmT0_T1_T2_T3_T4_T5_mmT6_P12ihipStream_tbEUlT_E_NS1_11comp_targetILNS1_3genE3ELNS1_11target_archE908ELNS1_3gpuE7ELNS1_3repE0EEENS1_30default_config_static_selectorELNS0_4arch9wavefront6targetE0EEEvS10_.has_dyn_sized_stack, 0
	.set _ZN7rocprim17ROCPRIM_400000_NS6detail17trampoline_kernelINS0_14default_configENS1_21merge_config_selectorINS0_5tupleIJffEEENS0_10empty_typeEEEZNS1_10merge_implIS3_NS0_12zip_iteratorINS5_IJN6thrust23THRUST_200600_302600_NS6detail15normal_iteratorINSC_10device_ptrIKfEEEESI_EEEEESK_NSA_INS5_IJNSE_INSF_IfEEEESM_EEEEEPS7_SP_SP_NSC_11hip_rocprim7__merge17predicate_wrapperIffNSC_4lessIfEEEEEE10hipError_tPvRmT0_T1_T2_T3_T4_T5_mmT6_P12ihipStream_tbEUlT_E_NS1_11comp_targetILNS1_3genE3ELNS1_11target_archE908ELNS1_3gpuE7ELNS1_3repE0EEENS1_30default_config_static_selectorELNS0_4arch9wavefront6targetE0EEEvS10_.has_recursion, 0
	.set _ZN7rocprim17ROCPRIM_400000_NS6detail17trampoline_kernelINS0_14default_configENS1_21merge_config_selectorINS0_5tupleIJffEEENS0_10empty_typeEEEZNS1_10merge_implIS3_NS0_12zip_iteratorINS5_IJN6thrust23THRUST_200600_302600_NS6detail15normal_iteratorINSC_10device_ptrIKfEEEESI_EEEEESK_NSA_INS5_IJNSE_INSF_IfEEEESM_EEEEEPS7_SP_SP_NSC_11hip_rocprim7__merge17predicate_wrapperIffNSC_4lessIfEEEEEE10hipError_tPvRmT0_T1_T2_T3_T4_T5_mmT6_P12ihipStream_tbEUlT_E_NS1_11comp_targetILNS1_3genE3ELNS1_11target_archE908ELNS1_3gpuE7ELNS1_3repE0EEENS1_30default_config_static_selectorELNS0_4arch9wavefront6targetE0EEEvS10_.has_indirect_call, 0
	.section	.AMDGPU.csdata,"",@progbits
; Kernel info:
; codeLenInByte = 0
; TotalNumSgprs: 0
; NumVgprs: 0
; ScratchSize: 0
; MemoryBound: 0
; FloatMode: 240
; IeeeMode: 1
; LDSByteSize: 0 bytes/workgroup (compile time only)
; SGPRBlocks: 0
; VGPRBlocks: 0
; NumSGPRsForWavesPerEU: 1
; NumVGPRsForWavesPerEU: 1
; NamedBarCnt: 0
; Occupancy: 16
; WaveLimiterHint : 0
; COMPUTE_PGM_RSRC2:SCRATCH_EN: 0
; COMPUTE_PGM_RSRC2:USER_SGPR: 2
; COMPUTE_PGM_RSRC2:TRAP_HANDLER: 0
; COMPUTE_PGM_RSRC2:TGID_X_EN: 1
; COMPUTE_PGM_RSRC2:TGID_Y_EN: 0
; COMPUTE_PGM_RSRC2:TGID_Z_EN: 0
; COMPUTE_PGM_RSRC2:TIDIG_COMP_CNT: 0
	.section	.text._ZN7rocprim17ROCPRIM_400000_NS6detail17trampoline_kernelINS0_14default_configENS1_21merge_config_selectorINS0_5tupleIJffEEENS0_10empty_typeEEEZNS1_10merge_implIS3_NS0_12zip_iteratorINS5_IJN6thrust23THRUST_200600_302600_NS6detail15normal_iteratorINSC_10device_ptrIKfEEEESI_EEEEESK_NSA_INS5_IJNSE_INSF_IfEEEESM_EEEEEPS7_SP_SP_NSC_11hip_rocprim7__merge17predicate_wrapperIffNSC_4lessIfEEEEEE10hipError_tPvRmT0_T1_T2_T3_T4_T5_mmT6_P12ihipStream_tbEUlT_E_NS1_11comp_targetILNS1_3genE2ELNS1_11target_archE906ELNS1_3gpuE6ELNS1_3repE0EEENS1_30default_config_static_selectorELNS0_4arch9wavefront6targetE0EEEvS10_,"axG",@progbits,_ZN7rocprim17ROCPRIM_400000_NS6detail17trampoline_kernelINS0_14default_configENS1_21merge_config_selectorINS0_5tupleIJffEEENS0_10empty_typeEEEZNS1_10merge_implIS3_NS0_12zip_iteratorINS5_IJN6thrust23THRUST_200600_302600_NS6detail15normal_iteratorINSC_10device_ptrIKfEEEESI_EEEEESK_NSA_INS5_IJNSE_INSF_IfEEEESM_EEEEEPS7_SP_SP_NSC_11hip_rocprim7__merge17predicate_wrapperIffNSC_4lessIfEEEEEE10hipError_tPvRmT0_T1_T2_T3_T4_T5_mmT6_P12ihipStream_tbEUlT_E_NS1_11comp_targetILNS1_3genE2ELNS1_11target_archE906ELNS1_3gpuE6ELNS1_3repE0EEENS1_30default_config_static_selectorELNS0_4arch9wavefront6targetE0EEEvS10_,comdat
	.protected	_ZN7rocprim17ROCPRIM_400000_NS6detail17trampoline_kernelINS0_14default_configENS1_21merge_config_selectorINS0_5tupleIJffEEENS0_10empty_typeEEEZNS1_10merge_implIS3_NS0_12zip_iteratorINS5_IJN6thrust23THRUST_200600_302600_NS6detail15normal_iteratorINSC_10device_ptrIKfEEEESI_EEEEESK_NSA_INS5_IJNSE_INSF_IfEEEESM_EEEEEPS7_SP_SP_NSC_11hip_rocprim7__merge17predicate_wrapperIffNSC_4lessIfEEEEEE10hipError_tPvRmT0_T1_T2_T3_T4_T5_mmT6_P12ihipStream_tbEUlT_E_NS1_11comp_targetILNS1_3genE2ELNS1_11target_archE906ELNS1_3gpuE6ELNS1_3repE0EEENS1_30default_config_static_selectorELNS0_4arch9wavefront6targetE0EEEvS10_ ; -- Begin function _ZN7rocprim17ROCPRIM_400000_NS6detail17trampoline_kernelINS0_14default_configENS1_21merge_config_selectorINS0_5tupleIJffEEENS0_10empty_typeEEEZNS1_10merge_implIS3_NS0_12zip_iteratorINS5_IJN6thrust23THRUST_200600_302600_NS6detail15normal_iteratorINSC_10device_ptrIKfEEEESI_EEEEESK_NSA_INS5_IJNSE_INSF_IfEEEESM_EEEEEPS7_SP_SP_NSC_11hip_rocprim7__merge17predicate_wrapperIffNSC_4lessIfEEEEEE10hipError_tPvRmT0_T1_T2_T3_T4_T5_mmT6_P12ihipStream_tbEUlT_E_NS1_11comp_targetILNS1_3genE2ELNS1_11target_archE906ELNS1_3gpuE6ELNS1_3repE0EEENS1_30default_config_static_selectorELNS0_4arch9wavefront6targetE0EEEvS10_
	.globl	_ZN7rocprim17ROCPRIM_400000_NS6detail17trampoline_kernelINS0_14default_configENS1_21merge_config_selectorINS0_5tupleIJffEEENS0_10empty_typeEEEZNS1_10merge_implIS3_NS0_12zip_iteratorINS5_IJN6thrust23THRUST_200600_302600_NS6detail15normal_iteratorINSC_10device_ptrIKfEEEESI_EEEEESK_NSA_INS5_IJNSE_INSF_IfEEEESM_EEEEEPS7_SP_SP_NSC_11hip_rocprim7__merge17predicate_wrapperIffNSC_4lessIfEEEEEE10hipError_tPvRmT0_T1_T2_T3_T4_T5_mmT6_P12ihipStream_tbEUlT_E_NS1_11comp_targetILNS1_3genE2ELNS1_11target_archE906ELNS1_3gpuE6ELNS1_3repE0EEENS1_30default_config_static_selectorELNS0_4arch9wavefront6targetE0EEEvS10_
	.p2align	8
	.type	_ZN7rocprim17ROCPRIM_400000_NS6detail17trampoline_kernelINS0_14default_configENS1_21merge_config_selectorINS0_5tupleIJffEEENS0_10empty_typeEEEZNS1_10merge_implIS3_NS0_12zip_iteratorINS5_IJN6thrust23THRUST_200600_302600_NS6detail15normal_iteratorINSC_10device_ptrIKfEEEESI_EEEEESK_NSA_INS5_IJNSE_INSF_IfEEEESM_EEEEEPS7_SP_SP_NSC_11hip_rocprim7__merge17predicate_wrapperIffNSC_4lessIfEEEEEE10hipError_tPvRmT0_T1_T2_T3_T4_T5_mmT6_P12ihipStream_tbEUlT_E_NS1_11comp_targetILNS1_3genE2ELNS1_11target_archE906ELNS1_3gpuE6ELNS1_3repE0EEENS1_30default_config_static_selectorELNS0_4arch9wavefront6targetE0EEEvS10_,@function
_ZN7rocprim17ROCPRIM_400000_NS6detail17trampoline_kernelINS0_14default_configENS1_21merge_config_selectorINS0_5tupleIJffEEENS0_10empty_typeEEEZNS1_10merge_implIS3_NS0_12zip_iteratorINS5_IJN6thrust23THRUST_200600_302600_NS6detail15normal_iteratorINSC_10device_ptrIKfEEEESI_EEEEESK_NSA_INS5_IJNSE_INSF_IfEEEESM_EEEEEPS7_SP_SP_NSC_11hip_rocprim7__merge17predicate_wrapperIffNSC_4lessIfEEEEEE10hipError_tPvRmT0_T1_T2_T3_T4_T5_mmT6_P12ihipStream_tbEUlT_E_NS1_11comp_targetILNS1_3genE2ELNS1_11target_archE906ELNS1_3gpuE6ELNS1_3repE0EEENS1_30default_config_static_selectorELNS0_4arch9wavefront6targetE0EEEvS10_: ; @_ZN7rocprim17ROCPRIM_400000_NS6detail17trampoline_kernelINS0_14default_configENS1_21merge_config_selectorINS0_5tupleIJffEEENS0_10empty_typeEEEZNS1_10merge_implIS3_NS0_12zip_iteratorINS5_IJN6thrust23THRUST_200600_302600_NS6detail15normal_iteratorINSC_10device_ptrIKfEEEESI_EEEEESK_NSA_INS5_IJNSE_INSF_IfEEEESM_EEEEEPS7_SP_SP_NSC_11hip_rocprim7__merge17predicate_wrapperIffNSC_4lessIfEEEEEE10hipError_tPvRmT0_T1_T2_T3_T4_T5_mmT6_P12ihipStream_tbEUlT_E_NS1_11comp_targetILNS1_3genE2ELNS1_11target_archE906ELNS1_3gpuE6ELNS1_3repE0EEENS1_30default_config_static_selectorELNS0_4arch9wavefront6targetE0EEEvS10_
; %bb.0:
	.section	.rodata,"a",@progbits
	.p2align	6, 0x0
	.amdhsa_kernel _ZN7rocprim17ROCPRIM_400000_NS6detail17trampoline_kernelINS0_14default_configENS1_21merge_config_selectorINS0_5tupleIJffEEENS0_10empty_typeEEEZNS1_10merge_implIS3_NS0_12zip_iteratorINS5_IJN6thrust23THRUST_200600_302600_NS6detail15normal_iteratorINSC_10device_ptrIKfEEEESI_EEEEESK_NSA_INS5_IJNSE_INSF_IfEEEESM_EEEEEPS7_SP_SP_NSC_11hip_rocprim7__merge17predicate_wrapperIffNSC_4lessIfEEEEEE10hipError_tPvRmT0_T1_T2_T3_T4_T5_mmT6_P12ihipStream_tbEUlT_E_NS1_11comp_targetILNS1_3genE2ELNS1_11target_archE906ELNS1_3gpuE6ELNS1_3repE0EEENS1_30default_config_static_selectorELNS0_4arch9wavefront6targetE0EEEvS10_
		.amdhsa_group_segment_fixed_size 0
		.amdhsa_private_segment_fixed_size 0
		.amdhsa_kernarg_size 64
		.amdhsa_user_sgpr_count 2
		.amdhsa_user_sgpr_dispatch_ptr 0
		.amdhsa_user_sgpr_queue_ptr 0
		.amdhsa_user_sgpr_kernarg_segment_ptr 1
		.amdhsa_user_sgpr_dispatch_id 0
		.amdhsa_user_sgpr_kernarg_preload_length 0
		.amdhsa_user_sgpr_kernarg_preload_offset 0
		.amdhsa_user_sgpr_private_segment_size 0
		.amdhsa_wavefront_size32 1
		.amdhsa_uses_dynamic_stack 0
		.amdhsa_enable_private_segment 0
		.amdhsa_system_sgpr_workgroup_id_x 1
		.amdhsa_system_sgpr_workgroup_id_y 0
		.amdhsa_system_sgpr_workgroup_id_z 0
		.amdhsa_system_sgpr_workgroup_info 0
		.amdhsa_system_vgpr_workitem_id 0
		.amdhsa_next_free_vgpr 1
		.amdhsa_next_free_sgpr 1
		.amdhsa_named_barrier_count 0
		.amdhsa_reserve_vcc 0
		.amdhsa_float_round_mode_32 0
		.amdhsa_float_round_mode_16_64 0
		.amdhsa_float_denorm_mode_32 3
		.amdhsa_float_denorm_mode_16_64 3
		.amdhsa_fp16_overflow 0
		.amdhsa_memory_ordered 1
		.amdhsa_forward_progress 1
		.amdhsa_inst_pref_size 0
		.amdhsa_round_robin_scheduling 0
		.amdhsa_exception_fp_ieee_invalid_op 0
		.amdhsa_exception_fp_denorm_src 0
		.amdhsa_exception_fp_ieee_div_zero 0
		.amdhsa_exception_fp_ieee_overflow 0
		.amdhsa_exception_fp_ieee_underflow 0
		.amdhsa_exception_fp_ieee_inexact 0
		.amdhsa_exception_int_div_zero 0
	.end_amdhsa_kernel
	.section	.text._ZN7rocprim17ROCPRIM_400000_NS6detail17trampoline_kernelINS0_14default_configENS1_21merge_config_selectorINS0_5tupleIJffEEENS0_10empty_typeEEEZNS1_10merge_implIS3_NS0_12zip_iteratorINS5_IJN6thrust23THRUST_200600_302600_NS6detail15normal_iteratorINSC_10device_ptrIKfEEEESI_EEEEESK_NSA_INS5_IJNSE_INSF_IfEEEESM_EEEEEPS7_SP_SP_NSC_11hip_rocprim7__merge17predicate_wrapperIffNSC_4lessIfEEEEEE10hipError_tPvRmT0_T1_T2_T3_T4_T5_mmT6_P12ihipStream_tbEUlT_E_NS1_11comp_targetILNS1_3genE2ELNS1_11target_archE906ELNS1_3gpuE6ELNS1_3repE0EEENS1_30default_config_static_selectorELNS0_4arch9wavefront6targetE0EEEvS10_,"axG",@progbits,_ZN7rocprim17ROCPRIM_400000_NS6detail17trampoline_kernelINS0_14default_configENS1_21merge_config_selectorINS0_5tupleIJffEEENS0_10empty_typeEEEZNS1_10merge_implIS3_NS0_12zip_iteratorINS5_IJN6thrust23THRUST_200600_302600_NS6detail15normal_iteratorINSC_10device_ptrIKfEEEESI_EEEEESK_NSA_INS5_IJNSE_INSF_IfEEEESM_EEEEEPS7_SP_SP_NSC_11hip_rocprim7__merge17predicate_wrapperIffNSC_4lessIfEEEEEE10hipError_tPvRmT0_T1_T2_T3_T4_T5_mmT6_P12ihipStream_tbEUlT_E_NS1_11comp_targetILNS1_3genE2ELNS1_11target_archE906ELNS1_3gpuE6ELNS1_3repE0EEENS1_30default_config_static_selectorELNS0_4arch9wavefront6targetE0EEEvS10_,comdat
.Lfunc_end63:
	.size	_ZN7rocprim17ROCPRIM_400000_NS6detail17trampoline_kernelINS0_14default_configENS1_21merge_config_selectorINS0_5tupleIJffEEENS0_10empty_typeEEEZNS1_10merge_implIS3_NS0_12zip_iteratorINS5_IJN6thrust23THRUST_200600_302600_NS6detail15normal_iteratorINSC_10device_ptrIKfEEEESI_EEEEESK_NSA_INS5_IJNSE_INSF_IfEEEESM_EEEEEPS7_SP_SP_NSC_11hip_rocprim7__merge17predicate_wrapperIffNSC_4lessIfEEEEEE10hipError_tPvRmT0_T1_T2_T3_T4_T5_mmT6_P12ihipStream_tbEUlT_E_NS1_11comp_targetILNS1_3genE2ELNS1_11target_archE906ELNS1_3gpuE6ELNS1_3repE0EEENS1_30default_config_static_selectorELNS0_4arch9wavefront6targetE0EEEvS10_, .Lfunc_end63-_ZN7rocprim17ROCPRIM_400000_NS6detail17trampoline_kernelINS0_14default_configENS1_21merge_config_selectorINS0_5tupleIJffEEENS0_10empty_typeEEEZNS1_10merge_implIS3_NS0_12zip_iteratorINS5_IJN6thrust23THRUST_200600_302600_NS6detail15normal_iteratorINSC_10device_ptrIKfEEEESI_EEEEESK_NSA_INS5_IJNSE_INSF_IfEEEESM_EEEEEPS7_SP_SP_NSC_11hip_rocprim7__merge17predicate_wrapperIffNSC_4lessIfEEEEEE10hipError_tPvRmT0_T1_T2_T3_T4_T5_mmT6_P12ihipStream_tbEUlT_E_NS1_11comp_targetILNS1_3genE2ELNS1_11target_archE906ELNS1_3gpuE6ELNS1_3repE0EEENS1_30default_config_static_selectorELNS0_4arch9wavefront6targetE0EEEvS10_
                                        ; -- End function
	.set _ZN7rocprim17ROCPRIM_400000_NS6detail17trampoline_kernelINS0_14default_configENS1_21merge_config_selectorINS0_5tupleIJffEEENS0_10empty_typeEEEZNS1_10merge_implIS3_NS0_12zip_iteratorINS5_IJN6thrust23THRUST_200600_302600_NS6detail15normal_iteratorINSC_10device_ptrIKfEEEESI_EEEEESK_NSA_INS5_IJNSE_INSF_IfEEEESM_EEEEEPS7_SP_SP_NSC_11hip_rocprim7__merge17predicate_wrapperIffNSC_4lessIfEEEEEE10hipError_tPvRmT0_T1_T2_T3_T4_T5_mmT6_P12ihipStream_tbEUlT_E_NS1_11comp_targetILNS1_3genE2ELNS1_11target_archE906ELNS1_3gpuE6ELNS1_3repE0EEENS1_30default_config_static_selectorELNS0_4arch9wavefront6targetE0EEEvS10_.num_vgpr, 0
	.set _ZN7rocprim17ROCPRIM_400000_NS6detail17trampoline_kernelINS0_14default_configENS1_21merge_config_selectorINS0_5tupleIJffEEENS0_10empty_typeEEEZNS1_10merge_implIS3_NS0_12zip_iteratorINS5_IJN6thrust23THRUST_200600_302600_NS6detail15normal_iteratorINSC_10device_ptrIKfEEEESI_EEEEESK_NSA_INS5_IJNSE_INSF_IfEEEESM_EEEEEPS7_SP_SP_NSC_11hip_rocprim7__merge17predicate_wrapperIffNSC_4lessIfEEEEEE10hipError_tPvRmT0_T1_T2_T3_T4_T5_mmT6_P12ihipStream_tbEUlT_E_NS1_11comp_targetILNS1_3genE2ELNS1_11target_archE906ELNS1_3gpuE6ELNS1_3repE0EEENS1_30default_config_static_selectorELNS0_4arch9wavefront6targetE0EEEvS10_.num_agpr, 0
	.set _ZN7rocprim17ROCPRIM_400000_NS6detail17trampoline_kernelINS0_14default_configENS1_21merge_config_selectorINS0_5tupleIJffEEENS0_10empty_typeEEEZNS1_10merge_implIS3_NS0_12zip_iteratorINS5_IJN6thrust23THRUST_200600_302600_NS6detail15normal_iteratorINSC_10device_ptrIKfEEEESI_EEEEESK_NSA_INS5_IJNSE_INSF_IfEEEESM_EEEEEPS7_SP_SP_NSC_11hip_rocprim7__merge17predicate_wrapperIffNSC_4lessIfEEEEEE10hipError_tPvRmT0_T1_T2_T3_T4_T5_mmT6_P12ihipStream_tbEUlT_E_NS1_11comp_targetILNS1_3genE2ELNS1_11target_archE906ELNS1_3gpuE6ELNS1_3repE0EEENS1_30default_config_static_selectorELNS0_4arch9wavefront6targetE0EEEvS10_.numbered_sgpr, 0
	.set _ZN7rocprim17ROCPRIM_400000_NS6detail17trampoline_kernelINS0_14default_configENS1_21merge_config_selectorINS0_5tupleIJffEEENS0_10empty_typeEEEZNS1_10merge_implIS3_NS0_12zip_iteratorINS5_IJN6thrust23THRUST_200600_302600_NS6detail15normal_iteratorINSC_10device_ptrIKfEEEESI_EEEEESK_NSA_INS5_IJNSE_INSF_IfEEEESM_EEEEEPS7_SP_SP_NSC_11hip_rocprim7__merge17predicate_wrapperIffNSC_4lessIfEEEEEE10hipError_tPvRmT0_T1_T2_T3_T4_T5_mmT6_P12ihipStream_tbEUlT_E_NS1_11comp_targetILNS1_3genE2ELNS1_11target_archE906ELNS1_3gpuE6ELNS1_3repE0EEENS1_30default_config_static_selectorELNS0_4arch9wavefront6targetE0EEEvS10_.num_named_barrier, 0
	.set _ZN7rocprim17ROCPRIM_400000_NS6detail17trampoline_kernelINS0_14default_configENS1_21merge_config_selectorINS0_5tupleIJffEEENS0_10empty_typeEEEZNS1_10merge_implIS3_NS0_12zip_iteratorINS5_IJN6thrust23THRUST_200600_302600_NS6detail15normal_iteratorINSC_10device_ptrIKfEEEESI_EEEEESK_NSA_INS5_IJNSE_INSF_IfEEEESM_EEEEEPS7_SP_SP_NSC_11hip_rocprim7__merge17predicate_wrapperIffNSC_4lessIfEEEEEE10hipError_tPvRmT0_T1_T2_T3_T4_T5_mmT6_P12ihipStream_tbEUlT_E_NS1_11comp_targetILNS1_3genE2ELNS1_11target_archE906ELNS1_3gpuE6ELNS1_3repE0EEENS1_30default_config_static_selectorELNS0_4arch9wavefront6targetE0EEEvS10_.private_seg_size, 0
	.set _ZN7rocprim17ROCPRIM_400000_NS6detail17trampoline_kernelINS0_14default_configENS1_21merge_config_selectorINS0_5tupleIJffEEENS0_10empty_typeEEEZNS1_10merge_implIS3_NS0_12zip_iteratorINS5_IJN6thrust23THRUST_200600_302600_NS6detail15normal_iteratorINSC_10device_ptrIKfEEEESI_EEEEESK_NSA_INS5_IJNSE_INSF_IfEEEESM_EEEEEPS7_SP_SP_NSC_11hip_rocprim7__merge17predicate_wrapperIffNSC_4lessIfEEEEEE10hipError_tPvRmT0_T1_T2_T3_T4_T5_mmT6_P12ihipStream_tbEUlT_E_NS1_11comp_targetILNS1_3genE2ELNS1_11target_archE906ELNS1_3gpuE6ELNS1_3repE0EEENS1_30default_config_static_selectorELNS0_4arch9wavefront6targetE0EEEvS10_.uses_vcc, 0
	.set _ZN7rocprim17ROCPRIM_400000_NS6detail17trampoline_kernelINS0_14default_configENS1_21merge_config_selectorINS0_5tupleIJffEEENS0_10empty_typeEEEZNS1_10merge_implIS3_NS0_12zip_iteratorINS5_IJN6thrust23THRUST_200600_302600_NS6detail15normal_iteratorINSC_10device_ptrIKfEEEESI_EEEEESK_NSA_INS5_IJNSE_INSF_IfEEEESM_EEEEEPS7_SP_SP_NSC_11hip_rocprim7__merge17predicate_wrapperIffNSC_4lessIfEEEEEE10hipError_tPvRmT0_T1_T2_T3_T4_T5_mmT6_P12ihipStream_tbEUlT_E_NS1_11comp_targetILNS1_3genE2ELNS1_11target_archE906ELNS1_3gpuE6ELNS1_3repE0EEENS1_30default_config_static_selectorELNS0_4arch9wavefront6targetE0EEEvS10_.uses_flat_scratch, 0
	.set _ZN7rocprim17ROCPRIM_400000_NS6detail17trampoline_kernelINS0_14default_configENS1_21merge_config_selectorINS0_5tupleIJffEEENS0_10empty_typeEEEZNS1_10merge_implIS3_NS0_12zip_iteratorINS5_IJN6thrust23THRUST_200600_302600_NS6detail15normal_iteratorINSC_10device_ptrIKfEEEESI_EEEEESK_NSA_INS5_IJNSE_INSF_IfEEEESM_EEEEEPS7_SP_SP_NSC_11hip_rocprim7__merge17predicate_wrapperIffNSC_4lessIfEEEEEE10hipError_tPvRmT0_T1_T2_T3_T4_T5_mmT6_P12ihipStream_tbEUlT_E_NS1_11comp_targetILNS1_3genE2ELNS1_11target_archE906ELNS1_3gpuE6ELNS1_3repE0EEENS1_30default_config_static_selectorELNS0_4arch9wavefront6targetE0EEEvS10_.has_dyn_sized_stack, 0
	.set _ZN7rocprim17ROCPRIM_400000_NS6detail17trampoline_kernelINS0_14default_configENS1_21merge_config_selectorINS0_5tupleIJffEEENS0_10empty_typeEEEZNS1_10merge_implIS3_NS0_12zip_iteratorINS5_IJN6thrust23THRUST_200600_302600_NS6detail15normal_iteratorINSC_10device_ptrIKfEEEESI_EEEEESK_NSA_INS5_IJNSE_INSF_IfEEEESM_EEEEEPS7_SP_SP_NSC_11hip_rocprim7__merge17predicate_wrapperIffNSC_4lessIfEEEEEE10hipError_tPvRmT0_T1_T2_T3_T4_T5_mmT6_P12ihipStream_tbEUlT_E_NS1_11comp_targetILNS1_3genE2ELNS1_11target_archE906ELNS1_3gpuE6ELNS1_3repE0EEENS1_30default_config_static_selectorELNS0_4arch9wavefront6targetE0EEEvS10_.has_recursion, 0
	.set _ZN7rocprim17ROCPRIM_400000_NS6detail17trampoline_kernelINS0_14default_configENS1_21merge_config_selectorINS0_5tupleIJffEEENS0_10empty_typeEEEZNS1_10merge_implIS3_NS0_12zip_iteratorINS5_IJN6thrust23THRUST_200600_302600_NS6detail15normal_iteratorINSC_10device_ptrIKfEEEESI_EEEEESK_NSA_INS5_IJNSE_INSF_IfEEEESM_EEEEEPS7_SP_SP_NSC_11hip_rocprim7__merge17predicate_wrapperIffNSC_4lessIfEEEEEE10hipError_tPvRmT0_T1_T2_T3_T4_T5_mmT6_P12ihipStream_tbEUlT_E_NS1_11comp_targetILNS1_3genE2ELNS1_11target_archE906ELNS1_3gpuE6ELNS1_3repE0EEENS1_30default_config_static_selectorELNS0_4arch9wavefront6targetE0EEEvS10_.has_indirect_call, 0
	.section	.AMDGPU.csdata,"",@progbits
; Kernel info:
; codeLenInByte = 0
; TotalNumSgprs: 0
; NumVgprs: 0
; ScratchSize: 0
; MemoryBound: 0
; FloatMode: 240
; IeeeMode: 1
; LDSByteSize: 0 bytes/workgroup (compile time only)
; SGPRBlocks: 0
; VGPRBlocks: 0
; NumSGPRsForWavesPerEU: 1
; NumVGPRsForWavesPerEU: 1
; NamedBarCnt: 0
; Occupancy: 16
; WaveLimiterHint : 0
; COMPUTE_PGM_RSRC2:SCRATCH_EN: 0
; COMPUTE_PGM_RSRC2:USER_SGPR: 2
; COMPUTE_PGM_RSRC2:TRAP_HANDLER: 0
; COMPUTE_PGM_RSRC2:TGID_X_EN: 1
; COMPUTE_PGM_RSRC2:TGID_Y_EN: 0
; COMPUTE_PGM_RSRC2:TGID_Z_EN: 0
; COMPUTE_PGM_RSRC2:TIDIG_COMP_CNT: 0
	.section	.text._ZN7rocprim17ROCPRIM_400000_NS6detail17trampoline_kernelINS0_14default_configENS1_21merge_config_selectorINS0_5tupleIJffEEENS0_10empty_typeEEEZNS1_10merge_implIS3_NS0_12zip_iteratorINS5_IJN6thrust23THRUST_200600_302600_NS6detail15normal_iteratorINSC_10device_ptrIKfEEEESI_EEEEESK_NSA_INS5_IJNSE_INSF_IfEEEESM_EEEEEPS7_SP_SP_NSC_11hip_rocprim7__merge17predicate_wrapperIffNSC_4lessIfEEEEEE10hipError_tPvRmT0_T1_T2_T3_T4_T5_mmT6_P12ihipStream_tbEUlT_E_NS1_11comp_targetILNS1_3genE10ELNS1_11target_archE1201ELNS1_3gpuE5ELNS1_3repE0EEENS1_30default_config_static_selectorELNS0_4arch9wavefront6targetE0EEEvS10_,"axG",@progbits,_ZN7rocprim17ROCPRIM_400000_NS6detail17trampoline_kernelINS0_14default_configENS1_21merge_config_selectorINS0_5tupleIJffEEENS0_10empty_typeEEEZNS1_10merge_implIS3_NS0_12zip_iteratorINS5_IJN6thrust23THRUST_200600_302600_NS6detail15normal_iteratorINSC_10device_ptrIKfEEEESI_EEEEESK_NSA_INS5_IJNSE_INSF_IfEEEESM_EEEEEPS7_SP_SP_NSC_11hip_rocprim7__merge17predicate_wrapperIffNSC_4lessIfEEEEEE10hipError_tPvRmT0_T1_T2_T3_T4_T5_mmT6_P12ihipStream_tbEUlT_E_NS1_11comp_targetILNS1_3genE10ELNS1_11target_archE1201ELNS1_3gpuE5ELNS1_3repE0EEENS1_30default_config_static_selectorELNS0_4arch9wavefront6targetE0EEEvS10_,comdat
	.protected	_ZN7rocprim17ROCPRIM_400000_NS6detail17trampoline_kernelINS0_14default_configENS1_21merge_config_selectorINS0_5tupleIJffEEENS0_10empty_typeEEEZNS1_10merge_implIS3_NS0_12zip_iteratorINS5_IJN6thrust23THRUST_200600_302600_NS6detail15normal_iteratorINSC_10device_ptrIKfEEEESI_EEEEESK_NSA_INS5_IJNSE_INSF_IfEEEESM_EEEEEPS7_SP_SP_NSC_11hip_rocprim7__merge17predicate_wrapperIffNSC_4lessIfEEEEEE10hipError_tPvRmT0_T1_T2_T3_T4_T5_mmT6_P12ihipStream_tbEUlT_E_NS1_11comp_targetILNS1_3genE10ELNS1_11target_archE1201ELNS1_3gpuE5ELNS1_3repE0EEENS1_30default_config_static_selectorELNS0_4arch9wavefront6targetE0EEEvS10_ ; -- Begin function _ZN7rocprim17ROCPRIM_400000_NS6detail17trampoline_kernelINS0_14default_configENS1_21merge_config_selectorINS0_5tupleIJffEEENS0_10empty_typeEEEZNS1_10merge_implIS3_NS0_12zip_iteratorINS5_IJN6thrust23THRUST_200600_302600_NS6detail15normal_iteratorINSC_10device_ptrIKfEEEESI_EEEEESK_NSA_INS5_IJNSE_INSF_IfEEEESM_EEEEEPS7_SP_SP_NSC_11hip_rocprim7__merge17predicate_wrapperIffNSC_4lessIfEEEEEE10hipError_tPvRmT0_T1_T2_T3_T4_T5_mmT6_P12ihipStream_tbEUlT_E_NS1_11comp_targetILNS1_3genE10ELNS1_11target_archE1201ELNS1_3gpuE5ELNS1_3repE0EEENS1_30default_config_static_selectorELNS0_4arch9wavefront6targetE0EEEvS10_
	.globl	_ZN7rocprim17ROCPRIM_400000_NS6detail17trampoline_kernelINS0_14default_configENS1_21merge_config_selectorINS0_5tupleIJffEEENS0_10empty_typeEEEZNS1_10merge_implIS3_NS0_12zip_iteratorINS5_IJN6thrust23THRUST_200600_302600_NS6detail15normal_iteratorINSC_10device_ptrIKfEEEESI_EEEEESK_NSA_INS5_IJNSE_INSF_IfEEEESM_EEEEEPS7_SP_SP_NSC_11hip_rocprim7__merge17predicate_wrapperIffNSC_4lessIfEEEEEE10hipError_tPvRmT0_T1_T2_T3_T4_T5_mmT6_P12ihipStream_tbEUlT_E_NS1_11comp_targetILNS1_3genE10ELNS1_11target_archE1201ELNS1_3gpuE5ELNS1_3repE0EEENS1_30default_config_static_selectorELNS0_4arch9wavefront6targetE0EEEvS10_
	.p2align	8
	.type	_ZN7rocprim17ROCPRIM_400000_NS6detail17trampoline_kernelINS0_14default_configENS1_21merge_config_selectorINS0_5tupleIJffEEENS0_10empty_typeEEEZNS1_10merge_implIS3_NS0_12zip_iteratorINS5_IJN6thrust23THRUST_200600_302600_NS6detail15normal_iteratorINSC_10device_ptrIKfEEEESI_EEEEESK_NSA_INS5_IJNSE_INSF_IfEEEESM_EEEEEPS7_SP_SP_NSC_11hip_rocprim7__merge17predicate_wrapperIffNSC_4lessIfEEEEEE10hipError_tPvRmT0_T1_T2_T3_T4_T5_mmT6_P12ihipStream_tbEUlT_E_NS1_11comp_targetILNS1_3genE10ELNS1_11target_archE1201ELNS1_3gpuE5ELNS1_3repE0EEENS1_30default_config_static_selectorELNS0_4arch9wavefront6targetE0EEEvS10_,@function
_ZN7rocprim17ROCPRIM_400000_NS6detail17trampoline_kernelINS0_14default_configENS1_21merge_config_selectorINS0_5tupleIJffEEENS0_10empty_typeEEEZNS1_10merge_implIS3_NS0_12zip_iteratorINS5_IJN6thrust23THRUST_200600_302600_NS6detail15normal_iteratorINSC_10device_ptrIKfEEEESI_EEEEESK_NSA_INS5_IJNSE_INSF_IfEEEESM_EEEEEPS7_SP_SP_NSC_11hip_rocprim7__merge17predicate_wrapperIffNSC_4lessIfEEEEEE10hipError_tPvRmT0_T1_T2_T3_T4_T5_mmT6_P12ihipStream_tbEUlT_E_NS1_11comp_targetILNS1_3genE10ELNS1_11target_archE1201ELNS1_3gpuE5ELNS1_3repE0EEENS1_30default_config_static_selectorELNS0_4arch9wavefront6targetE0EEEvS10_: ; @_ZN7rocprim17ROCPRIM_400000_NS6detail17trampoline_kernelINS0_14default_configENS1_21merge_config_selectorINS0_5tupleIJffEEENS0_10empty_typeEEEZNS1_10merge_implIS3_NS0_12zip_iteratorINS5_IJN6thrust23THRUST_200600_302600_NS6detail15normal_iteratorINSC_10device_ptrIKfEEEESI_EEEEESK_NSA_INS5_IJNSE_INSF_IfEEEESM_EEEEEPS7_SP_SP_NSC_11hip_rocprim7__merge17predicate_wrapperIffNSC_4lessIfEEEEEE10hipError_tPvRmT0_T1_T2_T3_T4_T5_mmT6_P12ihipStream_tbEUlT_E_NS1_11comp_targetILNS1_3genE10ELNS1_11target_archE1201ELNS1_3gpuE5ELNS1_3repE0EEENS1_30default_config_static_selectorELNS0_4arch9wavefront6targetE0EEEvS10_
; %bb.0:
	.section	.rodata,"a",@progbits
	.p2align	6, 0x0
	.amdhsa_kernel _ZN7rocprim17ROCPRIM_400000_NS6detail17trampoline_kernelINS0_14default_configENS1_21merge_config_selectorINS0_5tupleIJffEEENS0_10empty_typeEEEZNS1_10merge_implIS3_NS0_12zip_iteratorINS5_IJN6thrust23THRUST_200600_302600_NS6detail15normal_iteratorINSC_10device_ptrIKfEEEESI_EEEEESK_NSA_INS5_IJNSE_INSF_IfEEEESM_EEEEEPS7_SP_SP_NSC_11hip_rocprim7__merge17predicate_wrapperIffNSC_4lessIfEEEEEE10hipError_tPvRmT0_T1_T2_T3_T4_T5_mmT6_P12ihipStream_tbEUlT_E_NS1_11comp_targetILNS1_3genE10ELNS1_11target_archE1201ELNS1_3gpuE5ELNS1_3repE0EEENS1_30default_config_static_selectorELNS0_4arch9wavefront6targetE0EEEvS10_
		.amdhsa_group_segment_fixed_size 0
		.amdhsa_private_segment_fixed_size 0
		.amdhsa_kernarg_size 64
		.amdhsa_user_sgpr_count 2
		.amdhsa_user_sgpr_dispatch_ptr 0
		.amdhsa_user_sgpr_queue_ptr 0
		.amdhsa_user_sgpr_kernarg_segment_ptr 1
		.amdhsa_user_sgpr_dispatch_id 0
		.amdhsa_user_sgpr_kernarg_preload_length 0
		.amdhsa_user_sgpr_kernarg_preload_offset 0
		.amdhsa_user_sgpr_private_segment_size 0
		.amdhsa_wavefront_size32 1
		.amdhsa_uses_dynamic_stack 0
		.amdhsa_enable_private_segment 0
		.amdhsa_system_sgpr_workgroup_id_x 1
		.amdhsa_system_sgpr_workgroup_id_y 0
		.amdhsa_system_sgpr_workgroup_id_z 0
		.amdhsa_system_sgpr_workgroup_info 0
		.amdhsa_system_vgpr_workitem_id 0
		.amdhsa_next_free_vgpr 1
		.amdhsa_next_free_sgpr 1
		.amdhsa_named_barrier_count 0
		.amdhsa_reserve_vcc 0
		.amdhsa_float_round_mode_32 0
		.amdhsa_float_round_mode_16_64 0
		.amdhsa_float_denorm_mode_32 3
		.amdhsa_float_denorm_mode_16_64 3
		.amdhsa_fp16_overflow 0
		.amdhsa_memory_ordered 1
		.amdhsa_forward_progress 1
		.amdhsa_inst_pref_size 0
		.amdhsa_round_robin_scheduling 0
		.amdhsa_exception_fp_ieee_invalid_op 0
		.amdhsa_exception_fp_denorm_src 0
		.amdhsa_exception_fp_ieee_div_zero 0
		.amdhsa_exception_fp_ieee_overflow 0
		.amdhsa_exception_fp_ieee_underflow 0
		.amdhsa_exception_fp_ieee_inexact 0
		.amdhsa_exception_int_div_zero 0
	.end_amdhsa_kernel
	.section	.text._ZN7rocprim17ROCPRIM_400000_NS6detail17trampoline_kernelINS0_14default_configENS1_21merge_config_selectorINS0_5tupleIJffEEENS0_10empty_typeEEEZNS1_10merge_implIS3_NS0_12zip_iteratorINS5_IJN6thrust23THRUST_200600_302600_NS6detail15normal_iteratorINSC_10device_ptrIKfEEEESI_EEEEESK_NSA_INS5_IJNSE_INSF_IfEEEESM_EEEEEPS7_SP_SP_NSC_11hip_rocprim7__merge17predicate_wrapperIffNSC_4lessIfEEEEEE10hipError_tPvRmT0_T1_T2_T3_T4_T5_mmT6_P12ihipStream_tbEUlT_E_NS1_11comp_targetILNS1_3genE10ELNS1_11target_archE1201ELNS1_3gpuE5ELNS1_3repE0EEENS1_30default_config_static_selectorELNS0_4arch9wavefront6targetE0EEEvS10_,"axG",@progbits,_ZN7rocprim17ROCPRIM_400000_NS6detail17trampoline_kernelINS0_14default_configENS1_21merge_config_selectorINS0_5tupleIJffEEENS0_10empty_typeEEEZNS1_10merge_implIS3_NS0_12zip_iteratorINS5_IJN6thrust23THRUST_200600_302600_NS6detail15normal_iteratorINSC_10device_ptrIKfEEEESI_EEEEESK_NSA_INS5_IJNSE_INSF_IfEEEESM_EEEEEPS7_SP_SP_NSC_11hip_rocprim7__merge17predicate_wrapperIffNSC_4lessIfEEEEEE10hipError_tPvRmT0_T1_T2_T3_T4_T5_mmT6_P12ihipStream_tbEUlT_E_NS1_11comp_targetILNS1_3genE10ELNS1_11target_archE1201ELNS1_3gpuE5ELNS1_3repE0EEENS1_30default_config_static_selectorELNS0_4arch9wavefront6targetE0EEEvS10_,comdat
.Lfunc_end64:
	.size	_ZN7rocprim17ROCPRIM_400000_NS6detail17trampoline_kernelINS0_14default_configENS1_21merge_config_selectorINS0_5tupleIJffEEENS0_10empty_typeEEEZNS1_10merge_implIS3_NS0_12zip_iteratorINS5_IJN6thrust23THRUST_200600_302600_NS6detail15normal_iteratorINSC_10device_ptrIKfEEEESI_EEEEESK_NSA_INS5_IJNSE_INSF_IfEEEESM_EEEEEPS7_SP_SP_NSC_11hip_rocprim7__merge17predicate_wrapperIffNSC_4lessIfEEEEEE10hipError_tPvRmT0_T1_T2_T3_T4_T5_mmT6_P12ihipStream_tbEUlT_E_NS1_11comp_targetILNS1_3genE10ELNS1_11target_archE1201ELNS1_3gpuE5ELNS1_3repE0EEENS1_30default_config_static_selectorELNS0_4arch9wavefront6targetE0EEEvS10_, .Lfunc_end64-_ZN7rocprim17ROCPRIM_400000_NS6detail17trampoline_kernelINS0_14default_configENS1_21merge_config_selectorINS0_5tupleIJffEEENS0_10empty_typeEEEZNS1_10merge_implIS3_NS0_12zip_iteratorINS5_IJN6thrust23THRUST_200600_302600_NS6detail15normal_iteratorINSC_10device_ptrIKfEEEESI_EEEEESK_NSA_INS5_IJNSE_INSF_IfEEEESM_EEEEEPS7_SP_SP_NSC_11hip_rocprim7__merge17predicate_wrapperIffNSC_4lessIfEEEEEE10hipError_tPvRmT0_T1_T2_T3_T4_T5_mmT6_P12ihipStream_tbEUlT_E_NS1_11comp_targetILNS1_3genE10ELNS1_11target_archE1201ELNS1_3gpuE5ELNS1_3repE0EEENS1_30default_config_static_selectorELNS0_4arch9wavefront6targetE0EEEvS10_
                                        ; -- End function
	.set _ZN7rocprim17ROCPRIM_400000_NS6detail17trampoline_kernelINS0_14default_configENS1_21merge_config_selectorINS0_5tupleIJffEEENS0_10empty_typeEEEZNS1_10merge_implIS3_NS0_12zip_iteratorINS5_IJN6thrust23THRUST_200600_302600_NS6detail15normal_iteratorINSC_10device_ptrIKfEEEESI_EEEEESK_NSA_INS5_IJNSE_INSF_IfEEEESM_EEEEEPS7_SP_SP_NSC_11hip_rocprim7__merge17predicate_wrapperIffNSC_4lessIfEEEEEE10hipError_tPvRmT0_T1_T2_T3_T4_T5_mmT6_P12ihipStream_tbEUlT_E_NS1_11comp_targetILNS1_3genE10ELNS1_11target_archE1201ELNS1_3gpuE5ELNS1_3repE0EEENS1_30default_config_static_selectorELNS0_4arch9wavefront6targetE0EEEvS10_.num_vgpr, 0
	.set _ZN7rocprim17ROCPRIM_400000_NS6detail17trampoline_kernelINS0_14default_configENS1_21merge_config_selectorINS0_5tupleIJffEEENS0_10empty_typeEEEZNS1_10merge_implIS3_NS0_12zip_iteratorINS5_IJN6thrust23THRUST_200600_302600_NS6detail15normal_iteratorINSC_10device_ptrIKfEEEESI_EEEEESK_NSA_INS5_IJNSE_INSF_IfEEEESM_EEEEEPS7_SP_SP_NSC_11hip_rocprim7__merge17predicate_wrapperIffNSC_4lessIfEEEEEE10hipError_tPvRmT0_T1_T2_T3_T4_T5_mmT6_P12ihipStream_tbEUlT_E_NS1_11comp_targetILNS1_3genE10ELNS1_11target_archE1201ELNS1_3gpuE5ELNS1_3repE0EEENS1_30default_config_static_selectorELNS0_4arch9wavefront6targetE0EEEvS10_.num_agpr, 0
	.set _ZN7rocprim17ROCPRIM_400000_NS6detail17trampoline_kernelINS0_14default_configENS1_21merge_config_selectorINS0_5tupleIJffEEENS0_10empty_typeEEEZNS1_10merge_implIS3_NS0_12zip_iteratorINS5_IJN6thrust23THRUST_200600_302600_NS6detail15normal_iteratorINSC_10device_ptrIKfEEEESI_EEEEESK_NSA_INS5_IJNSE_INSF_IfEEEESM_EEEEEPS7_SP_SP_NSC_11hip_rocprim7__merge17predicate_wrapperIffNSC_4lessIfEEEEEE10hipError_tPvRmT0_T1_T2_T3_T4_T5_mmT6_P12ihipStream_tbEUlT_E_NS1_11comp_targetILNS1_3genE10ELNS1_11target_archE1201ELNS1_3gpuE5ELNS1_3repE0EEENS1_30default_config_static_selectorELNS0_4arch9wavefront6targetE0EEEvS10_.numbered_sgpr, 0
	.set _ZN7rocprim17ROCPRIM_400000_NS6detail17trampoline_kernelINS0_14default_configENS1_21merge_config_selectorINS0_5tupleIJffEEENS0_10empty_typeEEEZNS1_10merge_implIS3_NS0_12zip_iteratorINS5_IJN6thrust23THRUST_200600_302600_NS6detail15normal_iteratorINSC_10device_ptrIKfEEEESI_EEEEESK_NSA_INS5_IJNSE_INSF_IfEEEESM_EEEEEPS7_SP_SP_NSC_11hip_rocprim7__merge17predicate_wrapperIffNSC_4lessIfEEEEEE10hipError_tPvRmT0_T1_T2_T3_T4_T5_mmT6_P12ihipStream_tbEUlT_E_NS1_11comp_targetILNS1_3genE10ELNS1_11target_archE1201ELNS1_3gpuE5ELNS1_3repE0EEENS1_30default_config_static_selectorELNS0_4arch9wavefront6targetE0EEEvS10_.num_named_barrier, 0
	.set _ZN7rocprim17ROCPRIM_400000_NS6detail17trampoline_kernelINS0_14default_configENS1_21merge_config_selectorINS0_5tupleIJffEEENS0_10empty_typeEEEZNS1_10merge_implIS3_NS0_12zip_iteratorINS5_IJN6thrust23THRUST_200600_302600_NS6detail15normal_iteratorINSC_10device_ptrIKfEEEESI_EEEEESK_NSA_INS5_IJNSE_INSF_IfEEEESM_EEEEEPS7_SP_SP_NSC_11hip_rocprim7__merge17predicate_wrapperIffNSC_4lessIfEEEEEE10hipError_tPvRmT0_T1_T2_T3_T4_T5_mmT6_P12ihipStream_tbEUlT_E_NS1_11comp_targetILNS1_3genE10ELNS1_11target_archE1201ELNS1_3gpuE5ELNS1_3repE0EEENS1_30default_config_static_selectorELNS0_4arch9wavefront6targetE0EEEvS10_.private_seg_size, 0
	.set _ZN7rocprim17ROCPRIM_400000_NS6detail17trampoline_kernelINS0_14default_configENS1_21merge_config_selectorINS0_5tupleIJffEEENS0_10empty_typeEEEZNS1_10merge_implIS3_NS0_12zip_iteratorINS5_IJN6thrust23THRUST_200600_302600_NS6detail15normal_iteratorINSC_10device_ptrIKfEEEESI_EEEEESK_NSA_INS5_IJNSE_INSF_IfEEEESM_EEEEEPS7_SP_SP_NSC_11hip_rocprim7__merge17predicate_wrapperIffNSC_4lessIfEEEEEE10hipError_tPvRmT0_T1_T2_T3_T4_T5_mmT6_P12ihipStream_tbEUlT_E_NS1_11comp_targetILNS1_3genE10ELNS1_11target_archE1201ELNS1_3gpuE5ELNS1_3repE0EEENS1_30default_config_static_selectorELNS0_4arch9wavefront6targetE0EEEvS10_.uses_vcc, 0
	.set _ZN7rocprim17ROCPRIM_400000_NS6detail17trampoline_kernelINS0_14default_configENS1_21merge_config_selectorINS0_5tupleIJffEEENS0_10empty_typeEEEZNS1_10merge_implIS3_NS0_12zip_iteratorINS5_IJN6thrust23THRUST_200600_302600_NS6detail15normal_iteratorINSC_10device_ptrIKfEEEESI_EEEEESK_NSA_INS5_IJNSE_INSF_IfEEEESM_EEEEEPS7_SP_SP_NSC_11hip_rocprim7__merge17predicate_wrapperIffNSC_4lessIfEEEEEE10hipError_tPvRmT0_T1_T2_T3_T4_T5_mmT6_P12ihipStream_tbEUlT_E_NS1_11comp_targetILNS1_3genE10ELNS1_11target_archE1201ELNS1_3gpuE5ELNS1_3repE0EEENS1_30default_config_static_selectorELNS0_4arch9wavefront6targetE0EEEvS10_.uses_flat_scratch, 0
	.set _ZN7rocprim17ROCPRIM_400000_NS6detail17trampoline_kernelINS0_14default_configENS1_21merge_config_selectorINS0_5tupleIJffEEENS0_10empty_typeEEEZNS1_10merge_implIS3_NS0_12zip_iteratorINS5_IJN6thrust23THRUST_200600_302600_NS6detail15normal_iteratorINSC_10device_ptrIKfEEEESI_EEEEESK_NSA_INS5_IJNSE_INSF_IfEEEESM_EEEEEPS7_SP_SP_NSC_11hip_rocprim7__merge17predicate_wrapperIffNSC_4lessIfEEEEEE10hipError_tPvRmT0_T1_T2_T3_T4_T5_mmT6_P12ihipStream_tbEUlT_E_NS1_11comp_targetILNS1_3genE10ELNS1_11target_archE1201ELNS1_3gpuE5ELNS1_3repE0EEENS1_30default_config_static_selectorELNS0_4arch9wavefront6targetE0EEEvS10_.has_dyn_sized_stack, 0
	.set _ZN7rocprim17ROCPRIM_400000_NS6detail17trampoline_kernelINS0_14default_configENS1_21merge_config_selectorINS0_5tupleIJffEEENS0_10empty_typeEEEZNS1_10merge_implIS3_NS0_12zip_iteratorINS5_IJN6thrust23THRUST_200600_302600_NS6detail15normal_iteratorINSC_10device_ptrIKfEEEESI_EEEEESK_NSA_INS5_IJNSE_INSF_IfEEEESM_EEEEEPS7_SP_SP_NSC_11hip_rocprim7__merge17predicate_wrapperIffNSC_4lessIfEEEEEE10hipError_tPvRmT0_T1_T2_T3_T4_T5_mmT6_P12ihipStream_tbEUlT_E_NS1_11comp_targetILNS1_3genE10ELNS1_11target_archE1201ELNS1_3gpuE5ELNS1_3repE0EEENS1_30default_config_static_selectorELNS0_4arch9wavefront6targetE0EEEvS10_.has_recursion, 0
	.set _ZN7rocprim17ROCPRIM_400000_NS6detail17trampoline_kernelINS0_14default_configENS1_21merge_config_selectorINS0_5tupleIJffEEENS0_10empty_typeEEEZNS1_10merge_implIS3_NS0_12zip_iteratorINS5_IJN6thrust23THRUST_200600_302600_NS6detail15normal_iteratorINSC_10device_ptrIKfEEEESI_EEEEESK_NSA_INS5_IJNSE_INSF_IfEEEESM_EEEEEPS7_SP_SP_NSC_11hip_rocprim7__merge17predicate_wrapperIffNSC_4lessIfEEEEEE10hipError_tPvRmT0_T1_T2_T3_T4_T5_mmT6_P12ihipStream_tbEUlT_E_NS1_11comp_targetILNS1_3genE10ELNS1_11target_archE1201ELNS1_3gpuE5ELNS1_3repE0EEENS1_30default_config_static_selectorELNS0_4arch9wavefront6targetE0EEEvS10_.has_indirect_call, 0
	.section	.AMDGPU.csdata,"",@progbits
; Kernel info:
; codeLenInByte = 0
; TotalNumSgprs: 0
; NumVgprs: 0
; ScratchSize: 0
; MemoryBound: 0
; FloatMode: 240
; IeeeMode: 1
; LDSByteSize: 0 bytes/workgroup (compile time only)
; SGPRBlocks: 0
; VGPRBlocks: 0
; NumSGPRsForWavesPerEU: 1
; NumVGPRsForWavesPerEU: 1
; NamedBarCnt: 0
; Occupancy: 16
; WaveLimiterHint : 0
; COMPUTE_PGM_RSRC2:SCRATCH_EN: 0
; COMPUTE_PGM_RSRC2:USER_SGPR: 2
; COMPUTE_PGM_RSRC2:TRAP_HANDLER: 0
; COMPUTE_PGM_RSRC2:TGID_X_EN: 1
; COMPUTE_PGM_RSRC2:TGID_Y_EN: 0
; COMPUTE_PGM_RSRC2:TGID_Z_EN: 0
; COMPUTE_PGM_RSRC2:TIDIG_COMP_CNT: 0
	.section	.text._ZN7rocprim17ROCPRIM_400000_NS6detail17trampoline_kernelINS0_14default_configENS1_21merge_config_selectorINS0_5tupleIJffEEENS0_10empty_typeEEEZNS1_10merge_implIS3_NS0_12zip_iteratorINS5_IJN6thrust23THRUST_200600_302600_NS6detail15normal_iteratorINSC_10device_ptrIKfEEEESI_EEEEESK_NSA_INS5_IJNSE_INSF_IfEEEESM_EEEEEPS7_SP_SP_NSC_11hip_rocprim7__merge17predicate_wrapperIffNSC_4lessIfEEEEEE10hipError_tPvRmT0_T1_T2_T3_T4_T5_mmT6_P12ihipStream_tbEUlT_E_NS1_11comp_targetILNS1_3genE10ELNS1_11target_archE1200ELNS1_3gpuE4ELNS1_3repE0EEENS1_30default_config_static_selectorELNS0_4arch9wavefront6targetE0EEEvS10_,"axG",@progbits,_ZN7rocprim17ROCPRIM_400000_NS6detail17trampoline_kernelINS0_14default_configENS1_21merge_config_selectorINS0_5tupleIJffEEENS0_10empty_typeEEEZNS1_10merge_implIS3_NS0_12zip_iteratorINS5_IJN6thrust23THRUST_200600_302600_NS6detail15normal_iteratorINSC_10device_ptrIKfEEEESI_EEEEESK_NSA_INS5_IJNSE_INSF_IfEEEESM_EEEEEPS7_SP_SP_NSC_11hip_rocprim7__merge17predicate_wrapperIffNSC_4lessIfEEEEEE10hipError_tPvRmT0_T1_T2_T3_T4_T5_mmT6_P12ihipStream_tbEUlT_E_NS1_11comp_targetILNS1_3genE10ELNS1_11target_archE1200ELNS1_3gpuE4ELNS1_3repE0EEENS1_30default_config_static_selectorELNS0_4arch9wavefront6targetE0EEEvS10_,comdat
	.protected	_ZN7rocprim17ROCPRIM_400000_NS6detail17trampoline_kernelINS0_14default_configENS1_21merge_config_selectorINS0_5tupleIJffEEENS0_10empty_typeEEEZNS1_10merge_implIS3_NS0_12zip_iteratorINS5_IJN6thrust23THRUST_200600_302600_NS6detail15normal_iteratorINSC_10device_ptrIKfEEEESI_EEEEESK_NSA_INS5_IJNSE_INSF_IfEEEESM_EEEEEPS7_SP_SP_NSC_11hip_rocprim7__merge17predicate_wrapperIffNSC_4lessIfEEEEEE10hipError_tPvRmT0_T1_T2_T3_T4_T5_mmT6_P12ihipStream_tbEUlT_E_NS1_11comp_targetILNS1_3genE10ELNS1_11target_archE1200ELNS1_3gpuE4ELNS1_3repE0EEENS1_30default_config_static_selectorELNS0_4arch9wavefront6targetE0EEEvS10_ ; -- Begin function _ZN7rocprim17ROCPRIM_400000_NS6detail17trampoline_kernelINS0_14default_configENS1_21merge_config_selectorINS0_5tupleIJffEEENS0_10empty_typeEEEZNS1_10merge_implIS3_NS0_12zip_iteratorINS5_IJN6thrust23THRUST_200600_302600_NS6detail15normal_iteratorINSC_10device_ptrIKfEEEESI_EEEEESK_NSA_INS5_IJNSE_INSF_IfEEEESM_EEEEEPS7_SP_SP_NSC_11hip_rocprim7__merge17predicate_wrapperIffNSC_4lessIfEEEEEE10hipError_tPvRmT0_T1_T2_T3_T4_T5_mmT6_P12ihipStream_tbEUlT_E_NS1_11comp_targetILNS1_3genE10ELNS1_11target_archE1200ELNS1_3gpuE4ELNS1_3repE0EEENS1_30default_config_static_selectorELNS0_4arch9wavefront6targetE0EEEvS10_
	.globl	_ZN7rocprim17ROCPRIM_400000_NS6detail17trampoline_kernelINS0_14default_configENS1_21merge_config_selectorINS0_5tupleIJffEEENS0_10empty_typeEEEZNS1_10merge_implIS3_NS0_12zip_iteratorINS5_IJN6thrust23THRUST_200600_302600_NS6detail15normal_iteratorINSC_10device_ptrIKfEEEESI_EEEEESK_NSA_INS5_IJNSE_INSF_IfEEEESM_EEEEEPS7_SP_SP_NSC_11hip_rocprim7__merge17predicate_wrapperIffNSC_4lessIfEEEEEE10hipError_tPvRmT0_T1_T2_T3_T4_T5_mmT6_P12ihipStream_tbEUlT_E_NS1_11comp_targetILNS1_3genE10ELNS1_11target_archE1200ELNS1_3gpuE4ELNS1_3repE0EEENS1_30default_config_static_selectorELNS0_4arch9wavefront6targetE0EEEvS10_
	.p2align	8
	.type	_ZN7rocprim17ROCPRIM_400000_NS6detail17trampoline_kernelINS0_14default_configENS1_21merge_config_selectorINS0_5tupleIJffEEENS0_10empty_typeEEEZNS1_10merge_implIS3_NS0_12zip_iteratorINS5_IJN6thrust23THRUST_200600_302600_NS6detail15normal_iteratorINSC_10device_ptrIKfEEEESI_EEEEESK_NSA_INS5_IJNSE_INSF_IfEEEESM_EEEEEPS7_SP_SP_NSC_11hip_rocprim7__merge17predicate_wrapperIffNSC_4lessIfEEEEEE10hipError_tPvRmT0_T1_T2_T3_T4_T5_mmT6_P12ihipStream_tbEUlT_E_NS1_11comp_targetILNS1_3genE10ELNS1_11target_archE1200ELNS1_3gpuE4ELNS1_3repE0EEENS1_30default_config_static_selectorELNS0_4arch9wavefront6targetE0EEEvS10_,@function
_ZN7rocprim17ROCPRIM_400000_NS6detail17trampoline_kernelINS0_14default_configENS1_21merge_config_selectorINS0_5tupleIJffEEENS0_10empty_typeEEEZNS1_10merge_implIS3_NS0_12zip_iteratorINS5_IJN6thrust23THRUST_200600_302600_NS6detail15normal_iteratorINSC_10device_ptrIKfEEEESI_EEEEESK_NSA_INS5_IJNSE_INSF_IfEEEESM_EEEEEPS7_SP_SP_NSC_11hip_rocprim7__merge17predicate_wrapperIffNSC_4lessIfEEEEEE10hipError_tPvRmT0_T1_T2_T3_T4_T5_mmT6_P12ihipStream_tbEUlT_E_NS1_11comp_targetILNS1_3genE10ELNS1_11target_archE1200ELNS1_3gpuE4ELNS1_3repE0EEENS1_30default_config_static_selectorELNS0_4arch9wavefront6targetE0EEEvS10_: ; @_ZN7rocprim17ROCPRIM_400000_NS6detail17trampoline_kernelINS0_14default_configENS1_21merge_config_selectorINS0_5tupleIJffEEENS0_10empty_typeEEEZNS1_10merge_implIS3_NS0_12zip_iteratorINS5_IJN6thrust23THRUST_200600_302600_NS6detail15normal_iteratorINSC_10device_ptrIKfEEEESI_EEEEESK_NSA_INS5_IJNSE_INSF_IfEEEESM_EEEEEPS7_SP_SP_NSC_11hip_rocprim7__merge17predicate_wrapperIffNSC_4lessIfEEEEEE10hipError_tPvRmT0_T1_T2_T3_T4_T5_mmT6_P12ihipStream_tbEUlT_E_NS1_11comp_targetILNS1_3genE10ELNS1_11target_archE1200ELNS1_3gpuE4ELNS1_3repE0EEENS1_30default_config_static_selectorELNS0_4arch9wavefront6targetE0EEEvS10_
; %bb.0:
	.section	.rodata,"a",@progbits
	.p2align	6, 0x0
	.amdhsa_kernel _ZN7rocprim17ROCPRIM_400000_NS6detail17trampoline_kernelINS0_14default_configENS1_21merge_config_selectorINS0_5tupleIJffEEENS0_10empty_typeEEEZNS1_10merge_implIS3_NS0_12zip_iteratorINS5_IJN6thrust23THRUST_200600_302600_NS6detail15normal_iteratorINSC_10device_ptrIKfEEEESI_EEEEESK_NSA_INS5_IJNSE_INSF_IfEEEESM_EEEEEPS7_SP_SP_NSC_11hip_rocprim7__merge17predicate_wrapperIffNSC_4lessIfEEEEEE10hipError_tPvRmT0_T1_T2_T3_T4_T5_mmT6_P12ihipStream_tbEUlT_E_NS1_11comp_targetILNS1_3genE10ELNS1_11target_archE1200ELNS1_3gpuE4ELNS1_3repE0EEENS1_30default_config_static_selectorELNS0_4arch9wavefront6targetE0EEEvS10_
		.amdhsa_group_segment_fixed_size 0
		.amdhsa_private_segment_fixed_size 0
		.amdhsa_kernarg_size 64
		.amdhsa_user_sgpr_count 2
		.amdhsa_user_sgpr_dispatch_ptr 0
		.amdhsa_user_sgpr_queue_ptr 0
		.amdhsa_user_sgpr_kernarg_segment_ptr 1
		.amdhsa_user_sgpr_dispatch_id 0
		.amdhsa_user_sgpr_kernarg_preload_length 0
		.amdhsa_user_sgpr_kernarg_preload_offset 0
		.amdhsa_user_sgpr_private_segment_size 0
		.amdhsa_wavefront_size32 1
		.amdhsa_uses_dynamic_stack 0
		.amdhsa_enable_private_segment 0
		.amdhsa_system_sgpr_workgroup_id_x 1
		.amdhsa_system_sgpr_workgroup_id_y 0
		.amdhsa_system_sgpr_workgroup_id_z 0
		.amdhsa_system_sgpr_workgroup_info 0
		.amdhsa_system_vgpr_workitem_id 0
		.amdhsa_next_free_vgpr 1
		.amdhsa_next_free_sgpr 1
		.amdhsa_named_barrier_count 0
		.amdhsa_reserve_vcc 0
		.amdhsa_float_round_mode_32 0
		.amdhsa_float_round_mode_16_64 0
		.amdhsa_float_denorm_mode_32 3
		.amdhsa_float_denorm_mode_16_64 3
		.amdhsa_fp16_overflow 0
		.amdhsa_memory_ordered 1
		.amdhsa_forward_progress 1
		.amdhsa_inst_pref_size 0
		.amdhsa_round_robin_scheduling 0
		.amdhsa_exception_fp_ieee_invalid_op 0
		.amdhsa_exception_fp_denorm_src 0
		.amdhsa_exception_fp_ieee_div_zero 0
		.amdhsa_exception_fp_ieee_overflow 0
		.amdhsa_exception_fp_ieee_underflow 0
		.amdhsa_exception_fp_ieee_inexact 0
		.amdhsa_exception_int_div_zero 0
	.end_amdhsa_kernel
	.section	.text._ZN7rocprim17ROCPRIM_400000_NS6detail17trampoline_kernelINS0_14default_configENS1_21merge_config_selectorINS0_5tupleIJffEEENS0_10empty_typeEEEZNS1_10merge_implIS3_NS0_12zip_iteratorINS5_IJN6thrust23THRUST_200600_302600_NS6detail15normal_iteratorINSC_10device_ptrIKfEEEESI_EEEEESK_NSA_INS5_IJNSE_INSF_IfEEEESM_EEEEEPS7_SP_SP_NSC_11hip_rocprim7__merge17predicate_wrapperIffNSC_4lessIfEEEEEE10hipError_tPvRmT0_T1_T2_T3_T4_T5_mmT6_P12ihipStream_tbEUlT_E_NS1_11comp_targetILNS1_3genE10ELNS1_11target_archE1200ELNS1_3gpuE4ELNS1_3repE0EEENS1_30default_config_static_selectorELNS0_4arch9wavefront6targetE0EEEvS10_,"axG",@progbits,_ZN7rocprim17ROCPRIM_400000_NS6detail17trampoline_kernelINS0_14default_configENS1_21merge_config_selectorINS0_5tupleIJffEEENS0_10empty_typeEEEZNS1_10merge_implIS3_NS0_12zip_iteratorINS5_IJN6thrust23THRUST_200600_302600_NS6detail15normal_iteratorINSC_10device_ptrIKfEEEESI_EEEEESK_NSA_INS5_IJNSE_INSF_IfEEEESM_EEEEEPS7_SP_SP_NSC_11hip_rocprim7__merge17predicate_wrapperIffNSC_4lessIfEEEEEE10hipError_tPvRmT0_T1_T2_T3_T4_T5_mmT6_P12ihipStream_tbEUlT_E_NS1_11comp_targetILNS1_3genE10ELNS1_11target_archE1200ELNS1_3gpuE4ELNS1_3repE0EEENS1_30default_config_static_selectorELNS0_4arch9wavefront6targetE0EEEvS10_,comdat
.Lfunc_end65:
	.size	_ZN7rocprim17ROCPRIM_400000_NS6detail17trampoline_kernelINS0_14default_configENS1_21merge_config_selectorINS0_5tupleIJffEEENS0_10empty_typeEEEZNS1_10merge_implIS3_NS0_12zip_iteratorINS5_IJN6thrust23THRUST_200600_302600_NS6detail15normal_iteratorINSC_10device_ptrIKfEEEESI_EEEEESK_NSA_INS5_IJNSE_INSF_IfEEEESM_EEEEEPS7_SP_SP_NSC_11hip_rocprim7__merge17predicate_wrapperIffNSC_4lessIfEEEEEE10hipError_tPvRmT0_T1_T2_T3_T4_T5_mmT6_P12ihipStream_tbEUlT_E_NS1_11comp_targetILNS1_3genE10ELNS1_11target_archE1200ELNS1_3gpuE4ELNS1_3repE0EEENS1_30default_config_static_selectorELNS0_4arch9wavefront6targetE0EEEvS10_, .Lfunc_end65-_ZN7rocprim17ROCPRIM_400000_NS6detail17trampoline_kernelINS0_14default_configENS1_21merge_config_selectorINS0_5tupleIJffEEENS0_10empty_typeEEEZNS1_10merge_implIS3_NS0_12zip_iteratorINS5_IJN6thrust23THRUST_200600_302600_NS6detail15normal_iteratorINSC_10device_ptrIKfEEEESI_EEEEESK_NSA_INS5_IJNSE_INSF_IfEEEESM_EEEEEPS7_SP_SP_NSC_11hip_rocprim7__merge17predicate_wrapperIffNSC_4lessIfEEEEEE10hipError_tPvRmT0_T1_T2_T3_T4_T5_mmT6_P12ihipStream_tbEUlT_E_NS1_11comp_targetILNS1_3genE10ELNS1_11target_archE1200ELNS1_3gpuE4ELNS1_3repE0EEENS1_30default_config_static_selectorELNS0_4arch9wavefront6targetE0EEEvS10_
                                        ; -- End function
	.set _ZN7rocprim17ROCPRIM_400000_NS6detail17trampoline_kernelINS0_14default_configENS1_21merge_config_selectorINS0_5tupleIJffEEENS0_10empty_typeEEEZNS1_10merge_implIS3_NS0_12zip_iteratorINS5_IJN6thrust23THRUST_200600_302600_NS6detail15normal_iteratorINSC_10device_ptrIKfEEEESI_EEEEESK_NSA_INS5_IJNSE_INSF_IfEEEESM_EEEEEPS7_SP_SP_NSC_11hip_rocprim7__merge17predicate_wrapperIffNSC_4lessIfEEEEEE10hipError_tPvRmT0_T1_T2_T3_T4_T5_mmT6_P12ihipStream_tbEUlT_E_NS1_11comp_targetILNS1_3genE10ELNS1_11target_archE1200ELNS1_3gpuE4ELNS1_3repE0EEENS1_30default_config_static_selectorELNS0_4arch9wavefront6targetE0EEEvS10_.num_vgpr, 0
	.set _ZN7rocprim17ROCPRIM_400000_NS6detail17trampoline_kernelINS0_14default_configENS1_21merge_config_selectorINS0_5tupleIJffEEENS0_10empty_typeEEEZNS1_10merge_implIS3_NS0_12zip_iteratorINS5_IJN6thrust23THRUST_200600_302600_NS6detail15normal_iteratorINSC_10device_ptrIKfEEEESI_EEEEESK_NSA_INS5_IJNSE_INSF_IfEEEESM_EEEEEPS7_SP_SP_NSC_11hip_rocprim7__merge17predicate_wrapperIffNSC_4lessIfEEEEEE10hipError_tPvRmT0_T1_T2_T3_T4_T5_mmT6_P12ihipStream_tbEUlT_E_NS1_11comp_targetILNS1_3genE10ELNS1_11target_archE1200ELNS1_3gpuE4ELNS1_3repE0EEENS1_30default_config_static_selectorELNS0_4arch9wavefront6targetE0EEEvS10_.num_agpr, 0
	.set _ZN7rocprim17ROCPRIM_400000_NS6detail17trampoline_kernelINS0_14default_configENS1_21merge_config_selectorINS0_5tupleIJffEEENS0_10empty_typeEEEZNS1_10merge_implIS3_NS0_12zip_iteratorINS5_IJN6thrust23THRUST_200600_302600_NS6detail15normal_iteratorINSC_10device_ptrIKfEEEESI_EEEEESK_NSA_INS5_IJNSE_INSF_IfEEEESM_EEEEEPS7_SP_SP_NSC_11hip_rocprim7__merge17predicate_wrapperIffNSC_4lessIfEEEEEE10hipError_tPvRmT0_T1_T2_T3_T4_T5_mmT6_P12ihipStream_tbEUlT_E_NS1_11comp_targetILNS1_3genE10ELNS1_11target_archE1200ELNS1_3gpuE4ELNS1_3repE0EEENS1_30default_config_static_selectorELNS0_4arch9wavefront6targetE0EEEvS10_.numbered_sgpr, 0
	.set _ZN7rocprim17ROCPRIM_400000_NS6detail17trampoline_kernelINS0_14default_configENS1_21merge_config_selectorINS0_5tupleIJffEEENS0_10empty_typeEEEZNS1_10merge_implIS3_NS0_12zip_iteratorINS5_IJN6thrust23THRUST_200600_302600_NS6detail15normal_iteratorINSC_10device_ptrIKfEEEESI_EEEEESK_NSA_INS5_IJNSE_INSF_IfEEEESM_EEEEEPS7_SP_SP_NSC_11hip_rocprim7__merge17predicate_wrapperIffNSC_4lessIfEEEEEE10hipError_tPvRmT0_T1_T2_T3_T4_T5_mmT6_P12ihipStream_tbEUlT_E_NS1_11comp_targetILNS1_3genE10ELNS1_11target_archE1200ELNS1_3gpuE4ELNS1_3repE0EEENS1_30default_config_static_selectorELNS0_4arch9wavefront6targetE0EEEvS10_.num_named_barrier, 0
	.set _ZN7rocprim17ROCPRIM_400000_NS6detail17trampoline_kernelINS0_14default_configENS1_21merge_config_selectorINS0_5tupleIJffEEENS0_10empty_typeEEEZNS1_10merge_implIS3_NS0_12zip_iteratorINS5_IJN6thrust23THRUST_200600_302600_NS6detail15normal_iteratorINSC_10device_ptrIKfEEEESI_EEEEESK_NSA_INS5_IJNSE_INSF_IfEEEESM_EEEEEPS7_SP_SP_NSC_11hip_rocprim7__merge17predicate_wrapperIffNSC_4lessIfEEEEEE10hipError_tPvRmT0_T1_T2_T3_T4_T5_mmT6_P12ihipStream_tbEUlT_E_NS1_11comp_targetILNS1_3genE10ELNS1_11target_archE1200ELNS1_3gpuE4ELNS1_3repE0EEENS1_30default_config_static_selectorELNS0_4arch9wavefront6targetE0EEEvS10_.private_seg_size, 0
	.set _ZN7rocprim17ROCPRIM_400000_NS6detail17trampoline_kernelINS0_14default_configENS1_21merge_config_selectorINS0_5tupleIJffEEENS0_10empty_typeEEEZNS1_10merge_implIS3_NS0_12zip_iteratorINS5_IJN6thrust23THRUST_200600_302600_NS6detail15normal_iteratorINSC_10device_ptrIKfEEEESI_EEEEESK_NSA_INS5_IJNSE_INSF_IfEEEESM_EEEEEPS7_SP_SP_NSC_11hip_rocprim7__merge17predicate_wrapperIffNSC_4lessIfEEEEEE10hipError_tPvRmT0_T1_T2_T3_T4_T5_mmT6_P12ihipStream_tbEUlT_E_NS1_11comp_targetILNS1_3genE10ELNS1_11target_archE1200ELNS1_3gpuE4ELNS1_3repE0EEENS1_30default_config_static_selectorELNS0_4arch9wavefront6targetE0EEEvS10_.uses_vcc, 0
	.set _ZN7rocprim17ROCPRIM_400000_NS6detail17trampoline_kernelINS0_14default_configENS1_21merge_config_selectorINS0_5tupleIJffEEENS0_10empty_typeEEEZNS1_10merge_implIS3_NS0_12zip_iteratorINS5_IJN6thrust23THRUST_200600_302600_NS6detail15normal_iteratorINSC_10device_ptrIKfEEEESI_EEEEESK_NSA_INS5_IJNSE_INSF_IfEEEESM_EEEEEPS7_SP_SP_NSC_11hip_rocprim7__merge17predicate_wrapperIffNSC_4lessIfEEEEEE10hipError_tPvRmT0_T1_T2_T3_T4_T5_mmT6_P12ihipStream_tbEUlT_E_NS1_11comp_targetILNS1_3genE10ELNS1_11target_archE1200ELNS1_3gpuE4ELNS1_3repE0EEENS1_30default_config_static_selectorELNS0_4arch9wavefront6targetE0EEEvS10_.uses_flat_scratch, 0
	.set _ZN7rocprim17ROCPRIM_400000_NS6detail17trampoline_kernelINS0_14default_configENS1_21merge_config_selectorINS0_5tupleIJffEEENS0_10empty_typeEEEZNS1_10merge_implIS3_NS0_12zip_iteratorINS5_IJN6thrust23THRUST_200600_302600_NS6detail15normal_iteratorINSC_10device_ptrIKfEEEESI_EEEEESK_NSA_INS5_IJNSE_INSF_IfEEEESM_EEEEEPS7_SP_SP_NSC_11hip_rocprim7__merge17predicate_wrapperIffNSC_4lessIfEEEEEE10hipError_tPvRmT0_T1_T2_T3_T4_T5_mmT6_P12ihipStream_tbEUlT_E_NS1_11comp_targetILNS1_3genE10ELNS1_11target_archE1200ELNS1_3gpuE4ELNS1_3repE0EEENS1_30default_config_static_selectorELNS0_4arch9wavefront6targetE0EEEvS10_.has_dyn_sized_stack, 0
	.set _ZN7rocprim17ROCPRIM_400000_NS6detail17trampoline_kernelINS0_14default_configENS1_21merge_config_selectorINS0_5tupleIJffEEENS0_10empty_typeEEEZNS1_10merge_implIS3_NS0_12zip_iteratorINS5_IJN6thrust23THRUST_200600_302600_NS6detail15normal_iteratorINSC_10device_ptrIKfEEEESI_EEEEESK_NSA_INS5_IJNSE_INSF_IfEEEESM_EEEEEPS7_SP_SP_NSC_11hip_rocprim7__merge17predicate_wrapperIffNSC_4lessIfEEEEEE10hipError_tPvRmT0_T1_T2_T3_T4_T5_mmT6_P12ihipStream_tbEUlT_E_NS1_11comp_targetILNS1_3genE10ELNS1_11target_archE1200ELNS1_3gpuE4ELNS1_3repE0EEENS1_30default_config_static_selectorELNS0_4arch9wavefront6targetE0EEEvS10_.has_recursion, 0
	.set _ZN7rocprim17ROCPRIM_400000_NS6detail17trampoline_kernelINS0_14default_configENS1_21merge_config_selectorINS0_5tupleIJffEEENS0_10empty_typeEEEZNS1_10merge_implIS3_NS0_12zip_iteratorINS5_IJN6thrust23THRUST_200600_302600_NS6detail15normal_iteratorINSC_10device_ptrIKfEEEESI_EEEEESK_NSA_INS5_IJNSE_INSF_IfEEEESM_EEEEEPS7_SP_SP_NSC_11hip_rocprim7__merge17predicate_wrapperIffNSC_4lessIfEEEEEE10hipError_tPvRmT0_T1_T2_T3_T4_T5_mmT6_P12ihipStream_tbEUlT_E_NS1_11comp_targetILNS1_3genE10ELNS1_11target_archE1200ELNS1_3gpuE4ELNS1_3repE0EEENS1_30default_config_static_selectorELNS0_4arch9wavefront6targetE0EEEvS10_.has_indirect_call, 0
	.section	.AMDGPU.csdata,"",@progbits
; Kernel info:
; codeLenInByte = 0
; TotalNumSgprs: 0
; NumVgprs: 0
; ScratchSize: 0
; MemoryBound: 0
; FloatMode: 240
; IeeeMode: 1
; LDSByteSize: 0 bytes/workgroup (compile time only)
; SGPRBlocks: 0
; VGPRBlocks: 0
; NumSGPRsForWavesPerEU: 1
; NumVGPRsForWavesPerEU: 1
; NamedBarCnt: 0
; Occupancy: 16
; WaveLimiterHint : 0
; COMPUTE_PGM_RSRC2:SCRATCH_EN: 0
; COMPUTE_PGM_RSRC2:USER_SGPR: 2
; COMPUTE_PGM_RSRC2:TRAP_HANDLER: 0
; COMPUTE_PGM_RSRC2:TGID_X_EN: 1
; COMPUTE_PGM_RSRC2:TGID_Y_EN: 0
; COMPUTE_PGM_RSRC2:TGID_Z_EN: 0
; COMPUTE_PGM_RSRC2:TIDIG_COMP_CNT: 0
	.section	.text._ZN7rocprim17ROCPRIM_400000_NS6detail17trampoline_kernelINS0_14default_configENS1_21merge_config_selectorINS0_5tupleIJffEEENS0_10empty_typeEEEZNS1_10merge_implIS3_NS0_12zip_iteratorINS5_IJN6thrust23THRUST_200600_302600_NS6detail15normal_iteratorINSC_10device_ptrIKfEEEESI_EEEEESK_NSA_INS5_IJNSE_INSF_IfEEEESM_EEEEEPS7_SP_SP_NSC_11hip_rocprim7__merge17predicate_wrapperIffNSC_4lessIfEEEEEE10hipError_tPvRmT0_T1_T2_T3_T4_T5_mmT6_P12ihipStream_tbEUlT_E_NS1_11comp_targetILNS1_3genE9ELNS1_11target_archE1100ELNS1_3gpuE3ELNS1_3repE0EEENS1_30default_config_static_selectorELNS0_4arch9wavefront6targetE0EEEvS10_,"axG",@progbits,_ZN7rocprim17ROCPRIM_400000_NS6detail17trampoline_kernelINS0_14default_configENS1_21merge_config_selectorINS0_5tupleIJffEEENS0_10empty_typeEEEZNS1_10merge_implIS3_NS0_12zip_iteratorINS5_IJN6thrust23THRUST_200600_302600_NS6detail15normal_iteratorINSC_10device_ptrIKfEEEESI_EEEEESK_NSA_INS5_IJNSE_INSF_IfEEEESM_EEEEEPS7_SP_SP_NSC_11hip_rocprim7__merge17predicate_wrapperIffNSC_4lessIfEEEEEE10hipError_tPvRmT0_T1_T2_T3_T4_T5_mmT6_P12ihipStream_tbEUlT_E_NS1_11comp_targetILNS1_3genE9ELNS1_11target_archE1100ELNS1_3gpuE3ELNS1_3repE0EEENS1_30default_config_static_selectorELNS0_4arch9wavefront6targetE0EEEvS10_,comdat
	.protected	_ZN7rocprim17ROCPRIM_400000_NS6detail17trampoline_kernelINS0_14default_configENS1_21merge_config_selectorINS0_5tupleIJffEEENS0_10empty_typeEEEZNS1_10merge_implIS3_NS0_12zip_iteratorINS5_IJN6thrust23THRUST_200600_302600_NS6detail15normal_iteratorINSC_10device_ptrIKfEEEESI_EEEEESK_NSA_INS5_IJNSE_INSF_IfEEEESM_EEEEEPS7_SP_SP_NSC_11hip_rocprim7__merge17predicate_wrapperIffNSC_4lessIfEEEEEE10hipError_tPvRmT0_T1_T2_T3_T4_T5_mmT6_P12ihipStream_tbEUlT_E_NS1_11comp_targetILNS1_3genE9ELNS1_11target_archE1100ELNS1_3gpuE3ELNS1_3repE0EEENS1_30default_config_static_selectorELNS0_4arch9wavefront6targetE0EEEvS10_ ; -- Begin function _ZN7rocprim17ROCPRIM_400000_NS6detail17trampoline_kernelINS0_14default_configENS1_21merge_config_selectorINS0_5tupleIJffEEENS0_10empty_typeEEEZNS1_10merge_implIS3_NS0_12zip_iteratorINS5_IJN6thrust23THRUST_200600_302600_NS6detail15normal_iteratorINSC_10device_ptrIKfEEEESI_EEEEESK_NSA_INS5_IJNSE_INSF_IfEEEESM_EEEEEPS7_SP_SP_NSC_11hip_rocprim7__merge17predicate_wrapperIffNSC_4lessIfEEEEEE10hipError_tPvRmT0_T1_T2_T3_T4_T5_mmT6_P12ihipStream_tbEUlT_E_NS1_11comp_targetILNS1_3genE9ELNS1_11target_archE1100ELNS1_3gpuE3ELNS1_3repE0EEENS1_30default_config_static_selectorELNS0_4arch9wavefront6targetE0EEEvS10_
	.globl	_ZN7rocprim17ROCPRIM_400000_NS6detail17trampoline_kernelINS0_14default_configENS1_21merge_config_selectorINS0_5tupleIJffEEENS0_10empty_typeEEEZNS1_10merge_implIS3_NS0_12zip_iteratorINS5_IJN6thrust23THRUST_200600_302600_NS6detail15normal_iteratorINSC_10device_ptrIKfEEEESI_EEEEESK_NSA_INS5_IJNSE_INSF_IfEEEESM_EEEEEPS7_SP_SP_NSC_11hip_rocprim7__merge17predicate_wrapperIffNSC_4lessIfEEEEEE10hipError_tPvRmT0_T1_T2_T3_T4_T5_mmT6_P12ihipStream_tbEUlT_E_NS1_11comp_targetILNS1_3genE9ELNS1_11target_archE1100ELNS1_3gpuE3ELNS1_3repE0EEENS1_30default_config_static_selectorELNS0_4arch9wavefront6targetE0EEEvS10_
	.p2align	8
	.type	_ZN7rocprim17ROCPRIM_400000_NS6detail17trampoline_kernelINS0_14default_configENS1_21merge_config_selectorINS0_5tupleIJffEEENS0_10empty_typeEEEZNS1_10merge_implIS3_NS0_12zip_iteratorINS5_IJN6thrust23THRUST_200600_302600_NS6detail15normal_iteratorINSC_10device_ptrIKfEEEESI_EEEEESK_NSA_INS5_IJNSE_INSF_IfEEEESM_EEEEEPS7_SP_SP_NSC_11hip_rocprim7__merge17predicate_wrapperIffNSC_4lessIfEEEEEE10hipError_tPvRmT0_T1_T2_T3_T4_T5_mmT6_P12ihipStream_tbEUlT_E_NS1_11comp_targetILNS1_3genE9ELNS1_11target_archE1100ELNS1_3gpuE3ELNS1_3repE0EEENS1_30default_config_static_selectorELNS0_4arch9wavefront6targetE0EEEvS10_,@function
_ZN7rocprim17ROCPRIM_400000_NS6detail17trampoline_kernelINS0_14default_configENS1_21merge_config_selectorINS0_5tupleIJffEEENS0_10empty_typeEEEZNS1_10merge_implIS3_NS0_12zip_iteratorINS5_IJN6thrust23THRUST_200600_302600_NS6detail15normal_iteratorINSC_10device_ptrIKfEEEESI_EEEEESK_NSA_INS5_IJNSE_INSF_IfEEEESM_EEEEEPS7_SP_SP_NSC_11hip_rocprim7__merge17predicate_wrapperIffNSC_4lessIfEEEEEE10hipError_tPvRmT0_T1_T2_T3_T4_T5_mmT6_P12ihipStream_tbEUlT_E_NS1_11comp_targetILNS1_3genE9ELNS1_11target_archE1100ELNS1_3gpuE3ELNS1_3repE0EEENS1_30default_config_static_selectorELNS0_4arch9wavefront6targetE0EEEvS10_: ; @_ZN7rocprim17ROCPRIM_400000_NS6detail17trampoline_kernelINS0_14default_configENS1_21merge_config_selectorINS0_5tupleIJffEEENS0_10empty_typeEEEZNS1_10merge_implIS3_NS0_12zip_iteratorINS5_IJN6thrust23THRUST_200600_302600_NS6detail15normal_iteratorINSC_10device_ptrIKfEEEESI_EEEEESK_NSA_INS5_IJNSE_INSF_IfEEEESM_EEEEEPS7_SP_SP_NSC_11hip_rocprim7__merge17predicate_wrapperIffNSC_4lessIfEEEEEE10hipError_tPvRmT0_T1_T2_T3_T4_T5_mmT6_P12ihipStream_tbEUlT_E_NS1_11comp_targetILNS1_3genE9ELNS1_11target_archE1100ELNS1_3gpuE3ELNS1_3repE0EEENS1_30default_config_static_selectorELNS0_4arch9wavefront6targetE0EEEvS10_
; %bb.0:
	.section	.rodata,"a",@progbits
	.p2align	6, 0x0
	.amdhsa_kernel _ZN7rocprim17ROCPRIM_400000_NS6detail17trampoline_kernelINS0_14default_configENS1_21merge_config_selectorINS0_5tupleIJffEEENS0_10empty_typeEEEZNS1_10merge_implIS3_NS0_12zip_iteratorINS5_IJN6thrust23THRUST_200600_302600_NS6detail15normal_iteratorINSC_10device_ptrIKfEEEESI_EEEEESK_NSA_INS5_IJNSE_INSF_IfEEEESM_EEEEEPS7_SP_SP_NSC_11hip_rocprim7__merge17predicate_wrapperIffNSC_4lessIfEEEEEE10hipError_tPvRmT0_T1_T2_T3_T4_T5_mmT6_P12ihipStream_tbEUlT_E_NS1_11comp_targetILNS1_3genE9ELNS1_11target_archE1100ELNS1_3gpuE3ELNS1_3repE0EEENS1_30default_config_static_selectorELNS0_4arch9wavefront6targetE0EEEvS10_
		.amdhsa_group_segment_fixed_size 0
		.amdhsa_private_segment_fixed_size 0
		.amdhsa_kernarg_size 64
		.amdhsa_user_sgpr_count 2
		.amdhsa_user_sgpr_dispatch_ptr 0
		.amdhsa_user_sgpr_queue_ptr 0
		.amdhsa_user_sgpr_kernarg_segment_ptr 1
		.amdhsa_user_sgpr_dispatch_id 0
		.amdhsa_user_sgpr_kernarg_preload_length 0
		.amdhsa_user_sgpr_kernarg_preload_offset 0
		.amdhsa_user_sgpr_private_segment_size 0
		.amdhsa_wavefront_size32 1
		.amdhsa_uses_dynamic_stack 0
		.amdhsa_enable_private_segment 0
		.amdhsa_system_sgpr_workgroup_id_x 1
		.amdhsa_system_sgpr_workgroup_id_y 0
		.amdhsa_system_sgpr_workgroup_id_z 0
		.amdhsa_system_sgpr_workgroup_info 0
		.amdhsa_system_vgpr_workitem_id 0
		.amdhsa_next_free_vgpr 1
		.amdhsa_next_free_sgpr 1
		.amdhsa_named_barrier_count 0
		.amdhsa_reserve_vcc 0
		.amdhsa_float_round_mode_32 0
		.amdhsa_float_round_mode_16_64 0
		.amdhsa_float_denorm_mode_32 3
		.amdhsa_float_denorm_mode_16_64 3
		.amdhsa_fp16_overflow 0
		.amdhsa_memory_ordered 1
		.amdhsa_forward_progress 1
		.amdhsa_inst_pref_size 0
		.amdhsa_round_robin_scheduling 0
		.amdhsa_exception_fp_ieee_invalid_op 0
		.amdhsa_exception_fp_denorm_src 0
		.amdhsa_exception_fp_ieee_div_zero 0
		.amdhsa_exception_fp_ieee_overflow 0
		.amdhsa_exception_fp_ieee_underflow 0
		.amdhsa_exception_fp_ieee_inexact 0
		.amdhsa_exception_int_div_zero 0
	.end_amdhsa_kernel
	.section	.text._ZN7rocprim17ROCPRIM_400000_NS6detail17trampoline_kernelINS0_14default_configENS1_21merge_config_selectorINS0_5tupleIJffEEENS0_10empty_typeEEEZNS1_10merge_implIS3_NS0_12zip_iteratorINS5_IJN6thrust23THRUST_200600_302600_NS6detail15normal_iteratorINSC_10device_ptrIKfEEEESI_EEEEESK_NSA_INS5_IJNSE_INSF_IfEEEESM_EEEEEPS7_SP_SP_NSC_11hip_rocprim7__merge17predicate_wrapperIffNSC_4lessIfEEEEEE10hipError_tPvRmT0_T1_T2_T3_T4_T5_mmT6_P12ihipStream_tbEUlT_E_NS1_11comp_targetILNS1_3genE9ELNS1_11target_archE1100ELNS1_3gpuE3ELNS1_3repE0EEENS1_30default_config_static_selectorELNS0_4arch9wavefront6targetE0EEEvS10_,"axG",@progbits,_ZN7rocprim17ROCPRIM_400000_NS6detail17trampoline_kernelINS0_14default_configENS1_21merge_config_selectorINS0_5tupleIJffEEENS0_10empty_typeEEEZNS1_10merge_implIS3_NS0_12zip_iteratorINS5_IJN6thrust23THRUST_200600_302600_NS6detail15normal_iteratorINSC_10device_ptrIKfEEEESI_EEEEESK_NSA_INS5_IJNSE_INSF_IfEEEESM_EEEEEPS7_SP_SP_NSC_11hip_rocprim7__merge17predicate_wrapperIffNSC_4lessIfEEEEEE10hipError_tPvRmT0_T1_T2_T3_T4_T5_mmT6_P12ihipStream_tbEUlT_E_NS1_11comp_targetILNS1_3genE9ELNS1_11target_archE1100ELNS1_3gpuE3ELNS1_3repE0EEENS1_30default_config_static_selectorELNS0_4arch9wavefront6targetE0EEEvS10_,comdat
.Lfunc_end66:
	.size	_ZN7rocprim17ROCPRIM_400000_NS6detail17trampoline_kernelINS0_14default_configENS1_21merge_config_selectorINS0_5tupleIJffEEENS0_10empty_typeEEEZNS1_10merge_implIS3_NS0_12zip_iteratorINS5_IJN6thrust23THRUST_200600_302600_NS6detail15normal_iteratorINSC_10device_ptrIKfEEEESI_EEEEESK_NSA_INS5_IJNSE_INSF_IfEEEESM_EEEEEPS7_SP_SP_NSC_11hip_rocprim7__merge17predicate_wrapperIffNSC_4lessIfEEEEEE10hipError_tPvRmT0_T1_T2_T3_T4_T5_mmT6_P12ihipStream_tbEUlT_E_NS1_11comp_targetILNS1_3genE9ELNS1_11target_archE1100ELNS1_3gpuE3ELNS1_3repE0EEENS1_30default_config_static_selectorELNS0_4arch9wavefront6targetE0EEEvS10_, .Lfunc_end66-_ZN7rocprim17ROCPRIM_400000_NS6detail17trampoline_kernelINS0_14default_configENS1_21merge_config_selectorINS0_5tupleIJffEEENS0_10empty_typeEEEZNS1_10merge_implIS3_NS0_12zip_iteratorINS5_IJN6thrust23THRUST_200600_302600_NS6detail15normal_iteratorINSC_10device_ptrIKfEEEESI_EEEEESK_NSA_INS5_IJNSE_INSF_IfEEEESM_EEEEEPS7_SP_SP_NSC_11hip_rocprim7__merge17predicate_wrapperIffNSC_4lessIfEEEEEE10hipError_tPvRmT0_T1_T2_T3_T4_T5_mmT6_P12ihipStream_tbEUlT_E_NS1_11comp_targetILNS1_3genE9ELNS1_11target_archE1100ELNS1_3gpuE3ELNS1_3repE0EEENS1_30default_config_static_selectorELNS0_4arch9wavefront6targetE0EEEvS10_
                                        ; -- End function
	.set _ZN7rocprim17ROCPRIM_400000_NS6detail17trampoline_kernelINS0_14default_configENS1_21merge_config_selectorINS0_5tupleIJffEEENS0_10empty_typeEEEZNS1_10merge_implIS3_NS0_12zip_iteratorINS5_IJN6thrust23THRUST_200600_302600_NS6detail15normal_iteratorINSC_10device_ptrIKfEEEESI_EEEEESK_NSA_INS5_IJNSE_INSF_IfEEEESM_EEEEEPS7_SP_SP_NSC_11hip_rocprim7__merge17predicate_wrapperIffNSC_4lessIfEEEEEE10hipError_tPvRmT0_T1_T2_T3_T4_T5_mmT6_P12ihipStream_tbEUlT_E_NS1_11comp_targetILNS1_3genE9ELNS1_11target_archE1100ELNS1_3gpuE3ELNS1_3repE0EEENS1_30default_config_static_selectorELNS0_4arch9wavefront6targetE0EEEvS10_.num_vgpr, 0
	.set _ZN7rocprim17ROCPRIM_400000_NS6detail17trampoline_kernelINS0_14default_configENS1_21merge_config_selectorINS0_5tupleIJffEEENS0_10empty_typeEEEZNS1_10merge_implIS3_NS0_12zip_iteratorINS5_IJN6thrust23THRUST_200600_302600_NS6detail15normal_iteratorINSC_10device_ptrIKfEEEESI_EEEEESK_NSA_INS5_IJNSE_INSF_IfEEEESM_EEEEEPS7_SP_SP_NSC_11hip_rocprim7__merge17predicate_wrapperIffNSC_4lessIfEEEEEE10hipError_tPvRmT0_T1_T2_T3_T4_T5_mmT6_P12ihipStream_tbEUlT_E_NS1_11comp_targetILNS1_3genE9ELNS1_11target_archE1100ELNS1_3gpuE3ELNS1_3repE0EEENS1_30default_config_static_selectorELNS0_4arch9wavefront6targetE0EEEvS10_.num_agpr, 0
	.set _ZN7rocprim17ROCPRIM_400000_NS6detail17trampoline_kernelINS0_14default_configENS1_21merge_config_selectorINS0_5tupleIJffEEENS0_10empty_typeEEEZNS1_10merge_implIS3_NS0_12zip_iteratorINS5_IJN6thrust23THRUST_200600_302600_NS6detail15normal_iteratorINSC_10device_ptrIKfEEEESI_EEEEESK_NSA_INS5_IJNSE_INSF_IfEEEESM_EEEEEPS7_SP_SP_NSC_11hip_rocprim7__merge17predicate_wrapperIffNSC_4lessIfEEEEEE10hipError_tPvRmT0_T1_T2_T3_T4_T5_mmT6_P12ihipStream_tbEUlT_E_NS1_11comp_targetILNS1_3genE9ELNS1_11target_archE1100ELNS1_3gpuE3ELNS1_3repE0EEENS1_30default_config_static_selectorELNS0_4arch9wavefront6targetE0EEEvS10_.numbered_sgpr, 0
	.set _ZN7rocprim17ROCPRIM_400000_NS6detail17trampoline_kernelINS0_14default_configENS1_21merge_config_selectorINS0_5tupleIJffEEENS0_10empty_typeEEEZNS1_10merge_implIS3_NS0_12zip_iteratorINS5_IJN6thrust23THRUST_200600_302600_NS6detail15normal_iteratorINSC_10device_ptrIKfEEEESI_EEEEESK_NSA_INS5_IJNSE_INSF_IfEEEESM_EEEEEPS7_SP_SP_NSC_11hip_rocprim7__merge17predicate_wrapperIffNSC_4lessIfEEEEEE10hipError_tPvRmT0_T1_T2_T3_T4_T5_mmT6_P12ihipStream_tbEUlT_E_NS1_11comp_targetILNS1_3genE9ELNS1_11target_archE1100ELNS1_3gpuE3ELNS1_3repE0EEENS1_30default_config_static_selectorELNS0_4arch9wavefront6targetE0EEEvS10_.num_named_barrier, 0
	.set _ZN7rocprim17ROCPRIM_400000_NS6detail17trampoline_kernelINS0_14default_configENS1_21merge_config_selectorINS0_5tupleIJffEEENS0_10empty_typeEEEZNS1_10merge_implIS3_NS0_12zip_iteratorINS5_IJN6thrust23THRUST_200600_302600_NS6detail15normal_iteratorINSC_10device_ptrIKfEEEESI_EEEEESK_NSA_INS5_IJNSE_INSF_IfEEEESM_EEEEEPS7_SP_SP_NSC_11hip_rocprim7__merge17predicate_wrapperIffNSC_4lessIfEEEEEE10hipError_tPvRmT0_T1_T2_T3_T4_T5_mmT6_P12ihipStream_tbEUlT_E_NS1_11comp_targetILNS1_3genE9ELNS1_11target_archE1100ELNS1_3gpuE3ELNS1_3repE0EEENS1_30default_config_static_selectorELNS0_4arch9wavefront6targetE0EEEvS10_.private_seg_size, 0
	.set _ZN7rocprim17ROCPRIM_400000_NS6detail17trampoline_kernelINS0_14default_configENS1_21merge_config_selectorINS0_5tupleIJffEEENS0_10empty_typeEEEZNS1_10merge_implIS3_NS0_12zip_iteratorINS5_IJN6thrust23THRUST_200600_302600_NS6detail15normal_iteratorINSC_10device_ptrIKfEEEESI_EEEEESK_NSA_INS5_IJNSE_INSF_IfEEEESM_EEEEEPS7_SP_SP_NSC_11hip_rocprim7__merge17predicate_wrapperIffNSC_4lessIfEEEEEE10hipError_tPvRmT0_T1_T2_T3_T4_T5_mmT6_P12ihipStream_tbEUlT_E_NS1_11comp_targetILNS1_3genE9ELNS1_11target_archE1100ELNS1_3gpuE3ELNS1_3repE0EEENS1_30default_config_static_selectorELNS0_4arch9wavefront6targetE0EEEvS10_.uses_vcc, 0
	.set _ZN7rocprim17ROCPRIM_400000_NS6detail17trampoline_kernelINS0_14default_configENS1_21merge_config_selectorINS0_5tupleIJffEEENS0_10empty_typeEEEZNS1_10merge_implIS3_NS0_12zip_iteratorINS5_IJN6thrust23THRUST_200600_302600_NS6detail15normal_iteratorINSC_10device_ptrIKfEEEESI_EEEEESK_NSA_INS5_IJNSE_INSF_IfEEEESM_EEEEEPS7_SP_SP_NSC_11hip_rocprim7__merge17predicate_wrapperIffNSC_4lessIfEEEEEE10hipError_tPvRmT0_T1_T2_T3_T4_T5_mmT6_P12ihipStream_tbEUlT_E_NS1_11comp_targetILNS1_3genE9ELNS1_11target_archE1100ELNS1_3gpuE3ELNS1_3repE0EEENS1_30default_config_static_selectorELNS0_4arch9wavefront6targetE0EEEvS10_.uses_flat_scratch, 0
	.set _ZN7rocprim17ROCPRIM_400000_NS6detail17trampoline_kernelINS0_14default_configENS1_21merge_config_selectorINS0_5tupleIJffEEENS0_10empty_typeEEEZNS1_10merge_implIS3_NS0_12zip_iteratorINS5_IJN6thrust23THRUST_200600_302600_NS6detail15normal_iteratorINSC_10device_ptrIKfEEEESI_EEEEESK_NSA_INS5_IJNSE_INSF_IfEEEESM_EEEEEPS7_SP_SP_NSC_11hip_rocprim7__merge17predicate_wrapperIffNSC_4lessIfEEEEEE10hipError_tPvRmT0_T1_T2_T3_T4_T5_mmT6_P12ihipStream_tbEUlT_E_NS1_11comp_targetILNS1_3genE9ELNS1_11target_archE1100ELNS1_3gpuE3ELNS1_3repE0EEENS1_30default_config_static_selectorELNS0_4arch9wavefront6targetE0EEEvS10_.has_dyn_sized_stack, 0
	.set _ZN7rocprim17ROCPRIM_400000_NS6detail17trampoline_kernelINS0_14default_configENS1_21merge_config_selectorINS0_5tupleIJffEEENS0_10empty_typeEEEZNS1_10merge_implIS3_NS0_12zip_iteratorINS5_IJN6thrust23THRUST_200600_302600_NS6detail15normal_iteratorINSC_10device_ptrIKfEEEESI_EEEEESK_NSA_INS5_IJNSE_INSF_IfEEEESM_EEEEEPS7_SP_SP_NSC_11hip_rocprim7__merge17predicate_wrapperIffNSC_4lessIfEEEEEE10hipError_tPvRmT0_T1_T2_T3_T4_T5_mmT6_P12ihipStream_tbEUlT_E_NS1_11comp_targetILNS1_3genE9ELNS1_11target_archE1100ELNS1_3gpuE3ELNS1_3repE0EEENS1_30default_config_static_selectorELNS0_4arch9wavefront6targetE0EEEvS10_.has_recursion, 0
	.set _ZN7rocprim17ROCPRIM_400000_NS6detail17trampoline_kernelINS0_14default_configENS1_21merge_config_selectorINS0_5tupleIJffEEENS0_10empty_typeEEEZNS1_10merge_implIS3_NS0_12zip_iteratorINS5_IJN6thrust23THRUST_200600_302600_NS6detail15normal_iteratorINSC_10device_ptrIKfEEEESI_EEEEESK_NSA_INS5_IJNSE_INSF_IfEEEESM_EEEEEPS7_SP_SP_NSC_11hip_rocprim7__merge17predicate_wrapperIffNSC_4lessIfEEEEEE10hipError_tPvRmT0_T1_T2_T3_T4_T5_mmT6_P12ihipStream_tbEUlT_E_NS1_11comp_targetILNS1_3genE9ELNS1_11target_archE1100ELNS1_3gpuE3ELNS1_3repE0EEENS1_30default_config_static_selectorELNS0_4arch9wavefront6targetE0EEEvS10_.has_indirect_call, 0
	.section	.AMDGPU.csdata,"",@progbits
; Kernel info:
; codeLenInByte = 0
; TotalNumSgprs: 0
; NumVgprs: 0
; ScratchSize: 0
; MemoryBound: 0
; FloatMode: 240
; IeeeMode: 1
; LDSByteSize: 0 bytes/workgroup (compile time only)
; SGPRBlocks: 0
; VGPRBlocks: 0
; NumSGPRsForWavesPerEU: 1
; NumVGPRsForWavesPerEU: 1
; NamedBarCnt: 0
; Occupancy: 16
; WaveLimiterHint : 0
; COMPUTE_PGM_RSRC2:SCRATCH_EN: 0
; COMPUTE_PGM_RSRC2:USER_SGPR: 2
; COMPUTE_PGM_RSRC2:TRAP_HANDLER: 0
; COMPUTE_PGM_RSRC2:TGID_X_EN: 1
; COMPUTE_PGM_RSRC2:TGID_Y_EN: 0
; COMPUTE_PGM_RSRC2:TGID_Z_EN: 0
; COMPUTE_PGM_RSRC2:TIDIG_COMP_CNT: 0
	.section	.text._ZN7rocprim17ROCPRIM_400000_NS6detail17trampoline_kernelINS0_14default_configENS1_21merge_config_selectorINS0_5tupleIJffEEENS0_10empty_typeEEEZNS1_10merge_implIS3_NS0_12zip_iteratorINS5_IJN6thrust23THRUST_200600_302600_NS6detail15normal_iteratorINSC_10device_ptrIKfEEEESI_EEEEESK_NSA_INS5_IJNSE_INSF_IfEEEESM_EEEEEPS7_SP_SP_NSC_11hip_rocprim7__merge17predicate_wrapperIffNSC_4lessIfEEEEEE10hipError_tPvRmT0_T1_T2_T3_T4_T5_mmT6_P12ihipStream_tbEUlT_E_NS1_11comp_targetILNS1_3genE8ELNS1_11target_archE1030ELNS1_3gpuE2ELNS1_3repE0EEENS1_30default_config_static_selectorELNS0_4arch9wavefront6targetE0EEEvS10_,"axG",@progbits,_ZN7rocprim17ROCPRIM_400000_NS6detail17trampoline_kernelINS0_14default_configENS1_21merge_config_selectorINS0_5tupleIJffEEENS0_10empty_typeEEEZNS1_10merge_implIS3_NS0_12zip_iteratorINS5_IJN6thrust23THRUST_200600_302600_NS6detail15normal_iteratorINSC_10device_ptrIKfEEEESI_EEEEESK_NSA_INS5_IJNSE_INSF_IfEEEESM_EEEEEPS7_SP_SP_NSC_11hip_rocprim7__merge17predicate_wrapperIffNSC_4lessIfEEEEEE10hipError_tPvRmT0_T1_T2_T3_T4_T5_mmT6_P12ihipStream_tbEUlT_E_NS1_11comp_targetILNS1_3genE8ELNS1_11target_archE1030ELNS1_3gpuE2ELNS1_3repE0EEENS1_30default_config_static_selectorELNS0_4arch9wavefront6targetE0EEEvS10_,comdat
	.protected	_ZN7rocprim17ROCPRIM_400000_NS6detail17trampoline_kernelINS0_14default_configENS1_21merge_config_selectorINS0_5tupleIJffEEENS0_10empty_typeEEEZNS1_10merge_implIS3_NS0_12zip_iteratorINS5_IJN6thrust23THRUST_200600_302600_NS6detail15normal_iteratorINSC_10device_ptrIKfEEEESI_EEEEESK_NSA_INS5_IJNSE_INSF_IfEEEESM_EEEEEPS7_SP_SP_NSC_11hip_rocprim7__merge17predicate_wrapperIffNSC_4lessIfEEEEEE10hipError_tPvRmT0_T1_T2_T3_T4_T5_mmT6_P12ihipStream_tbEUlT_E_NS1_11comp_targetILNS1_3genE8ELNS1_11target_archE1030ELNS1_3gpuE2ELNS1_3repE0EEENS1_30default_config_static_selectorELNS0_4arch9wavefront6targetE0EEEvS10_ ; -- Begin function _ZN7rocprim17ROCPRIM_400000_NS6detail17trampoline_kernelINS0_14default_configENS1_21merge_config_selectorINS0_5tupleIJffEEENS0_10empty_typeEEEZNS1_10merge_implIS3_NS0_12zip_iteratorINS5_IJN6thrust23THRUST_200600_302600_NS6detail15normal_iteratorINSC_10device_ptrIKfEEEESI_EEEEESK_NSA_INS5_IJNSE_INSF_IfEEEESM_EEEEEPS7_SP_SP_NSC_11hip_rocprim7__merge17predicate_wrapperIffNSC_4lessIfEEEEEE10hipError_tPvRmT0_T1_T2_T3_T4_T5_mmT6_P12ihipStream_tbEUlT_E_NS1_11comp_targetILNS1_3genE8ELNS1_11target_archE1030ELNS1_3gpuE2ELNS1_3repE0EEENS1_30default_config_static_selectorELNS0_4arch9wavefront6targetE0EEEvS10_
	.globl	_ZN7rocprim17ROCPRIM_400000_NS6detail17trampoline_kernelINS0_14default_configENS1_21merge_config_selectorINS0_5tupleIJffEEENS0_10empty_typeEEEZNS1_10merge_implIS3_NS0_12zip_iteratorINS5_IJN6thrust23THRUST_200600_302600_NS6detail15normal_iteratorINSC_10device_ptrIKfEEEESI_EEEEESK_NSA_INS5_IJNSE_INSF_IfEEEESM_EEEEEPS7_SP_SP_NSC_11hip_rocprim7__merge17predicate_wrapperIffNSC_4lessIfEEEEEE10hipError_tPvRmT0_T1_T2_T3_T4_T5_mmT6_P12ihipStream_tbEUlT_E_NS1_11comp_targetILNS1_3genE8ELNS1_11target_archE1030ELNS1_3gpuE2ELNS1_3repE0EEENS1_30default_config_static_selectorELNS0_4arch9wavefront6targetE0EEEvS10_
	.p2align	8
	.type	_ZN7rocprim17ROCPRIM_400000_NS6detail17trampoline_kernelINS0_14default_configENS1_21merge_config_selectorINS0_5tupleIJffEEENS0_10empty_typeEEEZNS1_10merge_implIS3_NS0_12zip_iteratorINS5_IJN6thrust23THRUST_200600_302600_NS6detail15normal_iteratorINSC_10device_ptrIKfEEEESI_EEEEESK_NSA_INS5_IJNSE_INSF_IfEEEESM_EEEEEPS7_SP_SP_NSC_11hip_rocprim7__merge17predicate_wrapperIffNSC_4lessIfEEEEEE10hipError_tPvRmT0_T1_T2_T3_T4_T5_mmT6_P12ihipStream_tbEUlT_E_NS1_11comp_targetILNS1_3genE8ELNS1_11target_archE1030ELNS1_3gpuE2ELNS1_3repE0EEENS1_30default_config_static_selectorELNS0_4arch9wavefront6targetE0EEEvS10_,@function
_ZN7rocprim17ROCPRIM_400000_NS6detail17trampoline_kernelINS0_14default_configENS1_21merge_config_selectorINS0_5tupleIJffEEENS0_10empty_typeEEEZNS1_10merge_implIS3_NS0_12zip_iteratorINS5_IJN6thrust23THRUST_200600_302600_NS6detail15normal_iteratorINSC_10device_ptrIKfEEEESI_EEEEESK_NSA_INS5_IJNSE_INSF_IfEEEESM_EEEEEPS7_SP_SP_NSC_11hip_rocprim7__merge17predicate_wrapperIffNSC_4lessIfEEEEEE10hipError_tPvRmT0_T1_T2_T3_T4_T5_mmT6_P12ihipStream_tbEUlT_E_NS1_11comp_targetILNS1_3genE8ELNS1_11target_archE1030ELNS1_3gpuE2ELNS1_3repE0EEENS1_30default_config_static_selectorELNS0_4arch9wavefront6targetE0EEEvS10_: ; @_ZN7rocprim17ROCPRIM_400000_NS6detail17trampoline_kernelINS0_14default_configENS1_21merge_config_selectorINS0_5tupleIJffEEENS0_10empty_typeEEEZNS1_10merge_implIS3_NS0_12zip_iteratorINS5_IJN6thrust23THRUST_200600_302600_NS6detail15normal_iteratorINSC_10device_ptrIKfEEEESI_EEEEESK_NSA_INS5_IJNSE_INSF_IfEEEESM_EEEEEPS7_SP_SP_NSC_11hip_rocprim7__merge17predicate_wrapperIffNSC_4lessIfEEEEEE10hipError_tPvRmT0_T1_T2_T3_T4_T5_mmT6_P12ihipStream_tbEUlT_E_NS1_11comp_targetILNS1_3genE8ELNS1_11target_archE1030ELNS1_3gpuE2ELNS1_3repE0EEENS1_30default_config_static_selectorELNS0_4arch9wavefront6targetE0EEEvS10_
; %bb.0:
	.section	.rodata,"a",@progbits
	.p2align	6, 0x0
	.amdhsa_kernel _ZN7rocprim17ROCPRIM_400000_NS6detail17trampoline_kernelINS0_14default_configENS1_21merge_config_selectorINS0_5tupleIJffEEENS0_10empty_typeEEEZNS1_10merge_implIS3_NS0_12zip_iteratorINS5_IJN6thrust23THRUST_200600_302600_NS6detail15normal_iteratorINSC_10device_ptrIKfEEEESI_EEEEESK_NSA_INS5_IJNSE_INSF_IfEEEESM_EEEEEPS7_SP_SP_NSC_11hip_rocprim7__merge17predicate_wrapperIffNSC_4lessIfEEEEEE10hipError_tPvRmT0_T1_T2_T3_T4_T5_mmT6_P12ihipStream_tbEUlT_E_NS1_11comp_targetILNS1_3genE8ELNS1_11target_archE1030ELNS1_3gpuE2ELNS1_3repE0EEENS1_30default_config_static_selectorELNS0_4arch9wavefront6targetE0EEEvS10_
		.amdhsa_group_segment_fixed_size 0
		.amdhsa_private_segment_fixed_size 0
		.amdhsa_kernarg_size 64
		.amdhsa_user_sgpr_count 2
		.amdhsa_user_sgpr_dispatch_ptr 0
		.amdhsa_user_sgpr_queue_ptr 0
		.amdhsa_user_sgpr_kernarg_segment_ptr 1
		.amdhsa_user_sgpr_dispatch_id 0
		.amdhsa_user_sgpr_kernarg_preload_length 0
		.amdhsa_user_sgpr_kernarg_preload_offset 0
		.amdhsa_user_sgpr_private_segment_size 0
		.amdhsa_wavefront_size32 1
		.amdhsa_uses_dynamic_stack 0
		.amdhsa_enable_private_segment 0
		.amdhsa_system_sgpr_workgroup_id_x 1
		.amdhsa_system_sgpr_workgroup_id_y 0
		.amdhsa_system_sgpr_workgroup_id_z 0
		.amdhsa_system_sgpr_workgroup_info 0
		.amdhsa_system_vgpr_workitem_id 0
		.amdhsa_next_free_vgpr 1
		.amdhsa_next_free_sgpr 1
		.amdhsa_named_barrier_count 0
		.amdhsa_reserve_vcc 0
		.amdhsa_float_round_mode_32 0
		.amdhsa_float_round_mode_16_64 0
		.amdhsa_float_denorm_mode_32 3
		.amdhsa_float_denorm_mode_16_64 3
		.amdhsa_fp16_overflow 0
		.amdhsa_memory_ordered 1
		.amdhsa_forward_progress 1
		.amdhsa_inst_pref_size 0
		.amdhsa_round_robin_scheduling 0
		.amdhsa_exception_fp_ieee_invalid_op 0
		.amdhsa_exception_fp_denorm_src 0
		.amdhsa_exception_fp_ieee_div_zero 0
		.amdhsa_exception_fp_ieee_overflow 0
		.amdhsa_exception_fp_ieee_underflow 0
		.amdhsa_exception_fp_ieee_inexact 0
		.amdhsa_exception_int_div_zero 0
	.end_amdhsa_kernel
	.section	.text._ZN7rocprim17ROCPRIM_400000_NS6detail17trampoline_kernelINS0_14default_configENS1_21merge_config_selectorINS0_5tupleIJffEEENS0_10empty_typeEEEZNS1_10merge_implIS3_NS0_12zip_iteratorINS5_IJN6thrust23THRUST_200600_302600_NS6detail15normal_iteratorINSC_10device_ptrIKfEEEESI_EEEEESK_NSA_INS5_IJNSE_INSF_IfEEEESM_EEEEEPS7_SP_SP_NSC_11hip_rocprim7__merge17predicate_wrapperIffNSC_4lessIfEEEEEE10hipError_tPvRmT0_T1_T2_T3_T4_T5_mmT6_P12ihipStream_tbEUlT_E_NS1_11comp_targetILNS1_3genE8ELNS1_11target_archE1030ELNS1_3gpuE2ELNS1_3repE0EEENS1_30default_config_static_selectorELNS0_4arch9wavefront6targetE0EEEvS10_,"axG",@progbits,_ZN7rocprim17ROCPRIM_400000_NS6detail17trampoline_kernelINS0_14default_configENS1_21merge_config_selectorINS0_5tupleIJffEEENS0_10empty_typeEEEZNS1_10merge_implIS3_NS0_12zip_iteratorINS5_IJN6thrust23THRUST_200600_302600_NS6detail15normal_iteratorINSC_10device_ptrIKfEEEESI_EEEEESK_NSA_INS5_IJNSE_INSF_IfEEEESM_EEEEEPS7_SP_SP_NSC_11hip_rocprim7__merge17predicate_wrapperIffNSC_4lessIfEEEEEE10hipError_tPvRmT0_T1_T2_T3_T4_T5_mmT6_P12ihipStream_tbEUlT_E_NS1_11comp_targetILNS1_3genE8ELNS1_11target_archE1030ELNS1_3gpuE2ELNS1_3repE0EEENS1_30default_config_static_selectorELNS0_4arch9wavefront6targetE0EEEvS10_,comdat
.Lfunc_end67:
	.size	_ZN7rocprim17ROCPRIM_400000_NS6detail17trampoline_kernelINS0_14default_configENS1_21merge_config_selectorINS0_5tupleIJffEEENS0_10empty_typeEEEZNS1_10merge_implIS3_NS0_12zip_iteratorINS5_IJN6thrust23THRUST_200600_302600_NS6detail15normal_iteratorINSC_10device_ptrIKfEEEESI_EEEEESK_NSA_INS5_IJNSE_INSF_IfEEEESM_EEEEEPS7_SP_SP_NSC_11hip_rocprim7__merge17predicate_wrapperIffNSC_4lessIfEEEEEE10hipError_tPvRmT0_T1_T2_T3_T4_T5_mmT6_P12ihipStream_tbEUlT_E_NS1_11comp_targetILNS1_3genE8ELNS1_11target_archE1030ELNS1_3gpuE2ELNS1_3repE0EEENS1_30default_config_static_selectorELNS0_4arch9wavefront6targetE0EEEvS10_, .Lfunc_end67-_ZN7rocprim17ROCPRIM_400000_NS6detail17trampoline_kernelINS0_14default_configENS1_21merge_config_selectorINS0_5tupleIJffEEENS0_10empty_typeEEEZNS1_10merge_implIS3_NS0_12zip_iteratorINS5_IJN6thrust23THRUST_200600_302600_NS6detail15normal_iteratorINSC_10device_ptrIKfEEEESI_EEEEESK_NSA_INS5_IJNSE_INSF_IfEEEESM_EEEEEPS7_SP_SP_NSC_11hip_rocprim7__merge17predicate_wrapperIffNSC_4lessIfEEEEEE10hipError_tPvRmT0_T1_T2_T3_T4_T5_mmT6_P12ihipStream_tbEUlT_E_NS1_11comp_targetILNS1_3genE8ELNS1_11target_archE1030ELNS1_3gpuE2ELNS1_3repE0EEENS1_30default_config_static_selectorELNS0_4arch9wavefront6targetE0EEEvS10_
                                        ; -- End function
	.set _ZN7rocprim17ROCPRIM_400000_NS6detail17trampoline_kernelINS0_14default_configENS1_21merge_config_selectorINS0_5tupleIJffEEENS0_10empty_typeEEEZNS1_10merge_implIS3_NS0_12zip_iteratorINS5_IJN6thrust23THRUST_200600_302600_NS6detail15normal_iteratorINSC_10device_ptrIKfEEEESI_EEEEESK_NSA_INS5_IJNSE_INSF_IfEEEESM_EEEEEPS7_SP_SP_NSC_11hip_rocprim7__merge17predicate_wrapperIffNSC_4lessIfEEEEEE10hipError_tPvRmT0_T1_T2_T3_T4_T5_mmT6_P12ihipStream_tbEUlT_E_NS1_11comp_targetILNS1_3genE8ELNS1_11target_archE1030ELNS1_3gpuE2ELNS1_3repE0EEENS1_30default_config_static_selectorELNS0_4arch9wavefront6targetE0EEEvS10_.num_vgpr, 0
	.set _ZN7rocprim17ROCPRIM_400000_NS6detail17trampoline_kernelINS0_14default_configENS1_21merge_config_selectorINS0_5tupleIJffEEENS0_10empty_typeEEEZNS1_10merge_implIS3_NS0_12zip_iteratorINS5_IJN6thrust23THRUST_200600_302600_NS6detail15normal_iteratorINSC_10device_ptrIKfEEEESI_EEEEESK_NSA_INS5_IJNSE_INSF_IfEEEESM_EEEEEPS7_SP_SP_NSC_11hip_rocprim7__merge17predicate_wrapperIffNSC_4lessIfEEEEEE10hipError_tPvRmT0_T1_T2_T3_T4_T5_mmT6_P12ihipStream_tbEUlT_E_NS1_11comp_targetILNS1_3genE8ELNS1_11target_archE1030ELNS1_3gpuE2ELNS1_3repE0EEENS1_30default_config_static_selectorELNS0_4arch9wavefront6targetE0EEEvS10_.num_agpr, 0
	.set _ZN7rocprim17ROCPRIM_400000_NS6detail17trampoline_kernelINS0_14default_configENS1_21merge_config_selectorINS0_5tupleIJffEEENS0_10empty_typeEEEZNS1_10merge_implIS3_NS0_12zip_iteratorINS5_IJN6thrust23THRUST_200600_302600_NS6detail15normal_iteratorINSC_10device_ptrIKfEEEESI_EEEEESK_NSA_INS5_IJNSE_INSF_IfEEEESM_EEEEEPS7_SP_SP_NSC_11hip_rocprim7__merge17predicate_wrapperIffNSC_4lessIfEEEEEE10hipError_tPvRmT0_T1_T2_T3_T4_T5_mmT6_P12ihipStream_tbEUlT_E_NS1_11comp_targetILNS1_3genE8ELNS1_11target_archE1030ELNS1_3gpuE2ELNS1_3repE0EEENS1_30default_config_static_selectorELNS0_4arch9wavefront6targetE0EEEvS10_.numbered_sgpr, 0
	.set _ZN7rocprim17ROCPRIM_400000_NS6detail17trampoline_kernelINS0_14default_configENS1_21merge_config_selectorINS0_5tupleIJffEEENS0_10empty_typeEEEZNS1_10merge_implIS3_NS0_12zip_iteratorINS5_IJN6thrust23THRUST_200600_302600_NS6detail15normal_iteratorINSC_10device_ptrIKfEEEESI_EEEEESK_NSA_INS5_IJNSE_INSF_IfEEEESM_EEEEEPS7_SP_SP_NSC_11hip_rocprim7__merge17predicate_wrapperIffNSC_4lessIfEEEEEE10hipError_tPvRmT0_T1_T2_T3_T4_T5_mmT6_P12ihipStream_tbEUlT_E_NS1_11comp_targetILNS1_3genE8ELNS1_11target_archE1030ELNS1_3gpuE2ELNS1_3repE0EEENS1_30default_config_static_selectorELNS0_4arch9wavefront6targetE0EEEvS10_.num_named_barrier, 0
	.set _ZN7rocprim17ROCPRIM_400000_NS6detail17trampoline_kernelINS0_14default_configENS1_21merge_config_selectorINS0_5tupleIJffEEENS0_10empty_typeEEEZNS1_10merge_implIS3_NS0_12zip_iteratorINS5_IJN6thrust23THRUST_200600_302600_NS6detail15normal_iteratorINSC_10device_ptrIKfEEEESI_EEEEESK_NSA_INS5_IJNSE_INSF_IfEEEESM_EEEEEPS7_SP_SP_NSC_11hip_rocprim7__merge17predicate_wrapperIffNSC_4lessIfEEEEEE10hipError_tPvRmT0_T1_T2_T3_T4_T5_mmT6_P12ihipStream_tbEUlT_E_NS1_11comp_targetILNS1_3genE8ELNS1_11target_archE1030ELNS1_3gpuE2ELNS1_3repE0EEENS1_30default_config_static_selectorELNS0_4arch9wavefront6targetE0EEEvS10_.private_seg_size, 0
	.set _ZN7rocprim17ROCPRIM_400000_NS6detail17trampoline_kernelINS0_14default_configENS1_21merge_config_selectorINS0_5tupleIJffEEENS0_10empty_typeEEEZNS1_10merge_implIS3_NS0_12zip_iteratorINS5_IJN6thrust23THRUST_200600_302600_NS6detail15normal_iteratorINSC_10device_ptrIKfEEEESI_EEEEESK_NSA_INS5_IJNSE_INSF_IfEEEESM_EEEEEPS7_SP_SP_NSC_11hip_rocprim7__merge17predicate_wrapperIffNSC_4lessIfEEEEEE10hipError_tPvRmT0_T1_T2_T3_T4_T5_mmT6_P12ihipStream_tbEUlT_E_NS1_11comp_targetILNS1_3genE8ELNS1_11target_archE1030ELNS1_3gpuE2ELNS1_3repE0EEENS1_30default_config_static_selectorELNS0_4arch9wavefront6targetE0EEEvS10_.uses_vcc, 0
	.set _ZN7rocprim17ROCPRIM_400000_NS6detail17trampoline_kernelINS0_14default_configENS1_21merge_config_selectorINS0_5tupleIJffEEENS0_10empty_typeEEEZNS1_10merge_implIS3_NS0_12zip_iteratorINS5_IJN6thrust23THRUST_200600_302600_NS6detail15normal_iteratorINSC_10device_ptrIKfEEEESI_EEEEESK_NSA_INS5_IJNSE_INSF_IfEEEESM_EEEEEPS7_SP_SP_NSC_11hip_rocprim7__merge17predicate_wrapperIffNSC_4lessIfEEEEEE10hipError_tPvRmT0_T1_T2_T3_T4_T5_mmT6_P12ihipStream_tbEUlT_E_NS1_11comp_targetILNS1_3genE8ELNS1_11target_archE1030ELNS1_3gpuE2ELNS1_3repE0EEENS1_30default_config_static_selectorELNS0_4arch9wavefront6targetE0EEEvS10_.uses_flat_scratch, 0
	.set _ZN7rocprim17ROCPRIM_400000_NS6detail17trampoline_kernelINS0_14default_configENS1_21merge_config_selectorINS0_5tupleIJffEEENS0_10empty_typeEEEZNS1_10merge_implIS3_NS0_12zip_iteratorINS5_IJN6thrust23THRUST_200600_302600_NS6detail15normal_iteratorINSC_10device_ptrIKfEEEESI_EEEEESK_NSA_INS5_IJNSE_INSF_IfEEEESM_EEEEEPS7_SP_SP_NSC_11hip_rocprim7__merge17predicate_wrapperIffNSC_4lessIfEEEEEE10hipError_tPvRmT0_T1_T2_T3_T4_T5_mmT6_P12ihipStream_tbEUlT_E_NS1_11comp_targetILNS1_3genE8ELNS1_11target_archE1030ELNS1_3gpuE2ELNS1_3repE0EEENS1_30default_config_static_selectorELNS0_4arch9wavefront6targetE0EEEvS10_.has_dyn_sized_stack, 0
	.set _ZN7rocprim17ROCPRIM_400000_NS6detail17trampoline_kernelINS0_14default_configENS1_21merge_config_selectorINS0_5tupleIJffEEENS0_10empty_typeEEEZNS1_10merge_implIS3_NS0_12zip_iteratorINS5_IJN6thrust23THRUST_200600_302600_NS6detail15normal_iteratorINSC_10device_ptrIKfEEEESI_EEEEESK_NSA_INS5_IJNSE_INSF_IfEEEESM_EEEEEPS7_SP_SP_NSC_11hip_rocprim7__merge17predicate_wrapperIffNSC_4lessIfEEEEEE10hipError_tPvRmT0_T1_T2_T3_T4_T5_mmT6_P12ihipStream_tbEUlT_E_NS1_11comp_targetILNS1_3genE8ELNS1_11target_archE1030ELNS1_3gpuE2ELNS1_3repE0EEENS1_30default_config_static_selectorELNS0_4arch9wavefront6targetE0EEEvS10_.has_recursion, 0
	.set _ZN7rocprim17ROCPRIM_400000_NS6detail17trampoline_kernelINS0_14default_configENS1_21merge_config_selectorINS0_5tupleIJffEEENS0_10empty_typeEEEZNS1_10merge_implIS3_NS0_12zip_iteratorINS5_IJN6thrust23THRUST_200600_302600_NS6detail15normal_iteratorINSC_10device_ptrIKfEEEESI_EEEEESK_NSA_INS5_IJNSE_INSF_IfEEEESM_EEEEEPS7_SP_SP_NSC_11hip_rocprim7__merge17predicate_wrapperIffNSC_4lessIfEEEEEE10hipError_tPvRmT0_T1_T2_T3_T4_T5_mmT6_P12ihipStream_tbEUlT_E_NS1_11comp_targetILNS1_3genE8ELNS1_11target_archE1030ELNS1_3gpuE2ELNS1_3repE0EEENS1_30default_config_static_selectorELNS0_4arch9wavefront6targetE0EEEvS10_.has_indirect_call, 0
	.section	.AMDGPU.csdata,"",@progbits
; Kernel info:
; codeLenInByte = 0
; TotalNumSgprs: 0
; NumVgprs: 0
; ScratchSize: 0
; MemoryBound: 0
; FloatMode: 240
; IeeeMode: 1
; LDSByteSize: 0 bytes/workgroup (compile time only)
; SGPRBlocks: 0
; VGPRBlocks: 0
; NumSGPRsForWavesPerEU: 1
; NumVGPRsForWavesPerEU: 1
; NamedBarCnt: 0
; Occupancy: 16
; WaveLimiterHint : 0
; COMPUTE_PGM_RSRC2:SCRATCH_EN: 0
; COMPUTE_PGM_RSRC2:USER_SGPR: 2
; COMPUTE_PGM_RSRC2:TRAP_HANDLER: 0
; COMPUTE_PGM_RSRC2:TGID_X_EN: 1
; COMPUTE_PGM_RSRC2:TGID_Y_EN: 0
; COMPUTE_PGM_RSRC2:TGID_Z_EN: 0
; COMPUTE_PGM_RSRC2:TIDIG_COMP_CNT: 0
	.section	.text._ZN7rocprim17ROCPRIM_400000_NS6detail17trampoline_kernelINS0_14default_configENS1_21merge_config_selectorINS0_5tupleIJffEEENS0_10empty_typeEEEZNS1_10merge_implIS3_NS0_12zip_iteratorINS5_IJN6thrust23THRUST_200600_302600_NS6detail15normal_iteratorINSC_10device_ptrIKfEEEESI_EEEEESK_NSA_INS5_IJNSE_INSF_IfEEEESM_EEEEEPS7_SP_SP_NSC_11hip_rocprim7__merge17predicate_wrapperIffNSC_4lessIfEEEEEE10hipError_tPvRmT0_T1_T2_T3_T4_T5_mmT6_P12ihipStream_tbEUlT_E0_NS1_11comp_targetILNS1_3genE0ELNS1_11target_archE4294967295ELNS1_3gpuE0ELNS1_3repE0EEENS1_30default_config_static_selectorELNS0_4arch9wavefront6targetE0EEEvS10_,"axG",@progbits,_ZN7rocprim17ROCPRIM_400000_NS6detail17trampoline_kernelINS0_14default_configENS1_21merge_config_selectorINS0_5tupleIJffEEENS0_10empty_typeEEEZNS1_10merge_implIS3_NS0_12zip_iteratorINS5_IJN6thrust23THRUST_200600_302600_NS6detail15normal_iteratorINSC_10device_ptrIKfEEEESI_EEEEESK_NSA_INS5_IJNSE_INSF_IfEEEESM_EEEEEPS7_SP_SP_NSC_11hip_rocprim7__merge17predicate_wrapperIffNSC_4lessIfEEEEEE10hipError_tPvRmT0_T1_T2_T3_T4_T5_mmT6_P12ihipStream_tbEUlT_E0_NS1_11comp_targetILNS1_3genE0ELNS1_11target_archE4294967295ELNS1_3gpuE0ELNS1_3repE0EEENS1_30default_config_static_selectorELNS0_4arch9wavefront6targetE0EEEvS10_,comdat
	.protected	_ZN7rocprim17ROCPRIM_400000_NS6detail17trampoline_kernelINS0_14default_configENS1_21merge_config_selectorINS0_5tupleIJffEEENS0_10empty_typeEEEZNS1_10merge_implIS3_NS0_12zip_iteratorINS5_IJN6thrust23THRUST_200600_302600_NS6detail15normal_iteratorINSC_10device_ptrIKfEEEESI_EEEEESK_NSA_INS5_IJNSE_INSF_IfEEEESM_EEEEEPS7_SP_SP_NSC_11hip_rocprim7__merge17predicate_wrapperIffNSC_4lessIfEEEEEE10hipError_tPvRmT0_T1_T2_T3_T4_T5_mmT6_P12ihipStream_tbEUlT_E0_NS1_11comp_targetILNS1_3genE0ELNS1_11target_archE4294967295ELNS1_3gpuE0ELNS1_3repE0EEENS1_30default_config_static_selectorELNS0_4arch9wavefront6targetE0EEEvS10_ ; -- Begin function _ZN7rocprim17ROCPRIM_400000_NS6detail17trampoline_kernelINS0_14default_configENS1_21merge_config_selectorINS0_5tupleIJffEEENS0_10empty_typeEEEZNS1_10merge_implIS3_NS0_12zip_iteratorINS5_IJN6thrust23THRUST_200600_302600_NS6detail15normal_iteratorINSC_10device_ptrIKfEEEESI_EEEEESK_NSA_INS5_IJNSE_INSF_IfEEEESM_EEEEEPS7_SP_SP_NSC_11hip_rocprim7__merge17predicate_wrapperIffNSC_4lessIfEEEEEE10hipError_tPvRmT0_T1_T2_T3_T4_T5_mmT6_P12ihipStream_tbEUlT_E0_NS1_11comp_targetILNS1_3genE0ELNS1_11target_archE4294967295ELNS1_3gpuE0ELNS1_3repE0EEENS1_30default_config_static_selectorELNS0_4arch9wavefront6targetE0EEEvS10_
	.globl	_ZN7rocprim17ROCPRIM_400000_NS6detail17trampoline_kernelINS0_14default_configENS1_21merge_config_selectorINS0_5tupleIJffEEENS0_10empty_typeEEEZNS1_10merge_implIS3_NS0_12zip_iteratorINS5_IJN6thrust23THRUST_200600_302600_NS6detail15normal_iteratorINSC_10device_ptrIKfEEEESI_EEEEESK_NSA_INS5_IJNSE_INSF_IfEEEESM_EEEEEPS7_SP_SP_NSC_11hip_rocprim7__merge17predicate_wrapperIffNSC_4lessIfEEEEEE10hipError_tPvRmT0_T1_T2_T3_T4_T5_mmT6_P12ihipStream_tbEUlT_E0_NS1_11comp_targetILNS1_3genE0ELNS1_11target_archE4294967295ELNS1_3gpuE0ELNS1_3repE0EEENS1_30default_config_static_selectorELNS0_4arch9wavefront6targetE0EEEvS10_
	.p2align	8
	.type	_ZN7rocprim17ROCPRIM_400000_NS6detail17trampoline_kernelINS0_14default_configENS1_21merge_config_selectorINS0_5tupleIJffEEENS0_10empty_typeEEEZNS1_10merge_implIS3_NS0_12zip_iteratorINS5_IJN6thrust23THRUST_200600_302600_NS6detail15normal_iteratorINSC_10device_ptrIKfEEEESI_EEEEESK_NSA_INS5_IJNSE_INSF_IfEEEESM_EEEEEPS7_SP_SP_NSC_11hip_rocprim7__merge17predicate_wrapperIffNSC_4lessIfEEEEEE10hipError_tPvRmT0_T1_T2_T3_T4_T5_mmT6_P12ihipStream_tbEUlT_E0_NS1_11comp_targetILNS1_3genE0ELNS1_11target_archE4294967295ELNS1_3gpuE0ELNS1_3repE0EEENS1_30default_config_static_selectorELNS0_4arch9wavefront6targetE0EEEvS10_,@function
_ZN7rocprim17ROCPRIM_400000_NS6detail17trampoline_kernelINS0_14default_configENS1_21merge_config_selectorINS0_5tupleIJffEEENS0_10empty_typeEEEZNS1_10merge_implIS3_NS0_12zip_iteratorINS5_IJN6thrust23THRUST_200600_302600_NS6detail15normal_iteratorINSC_10device_ptrIKfEEEESI_EEEEESK_NSA_INS5_IJNSE_INSF_IfEEEESM_EEEEEPS7_SP_SP_NSC_11hip_rocprim7__merge17predicate_wrapperIffNSC_4lessIfEEEEEE10hipError_tPvRmT0_T1_T2_T3_T4_T5_mmT6_P12ihipStream_tbEUlT_E0_NS1_11comp_targetILNS1_3genE0ELNS1_11target_archE4294967295ELNS1_3gpuE0ELNS1_3repE0EEENS1_30default_config_static_selectorELNS0_4arch9wavefront6targetE0EEEvS10_: ; @_ZN7rocprim17ROCPRIM_400000_NS6detail17trampoline_kernelINS0_14default_configENS1_21merge_config_selectorINS0_5tupleIJffEEENS0_10empty_typeEEEZNS1_10merge_implIS3_NS0_12zip_iteratorINS5_IJN6thrust23THRUST_200600_302600_NS6detail15normal_iteratorINSC_10device_ptrIKfEEEESI_EEEEESK_NSA_INS5_IJNSE_INSF_IfEEEESM_EEEEEPS7_SP_SP_NSC_11hip_rocprim7__merge17predicate_wrapperIffNSC_4lessIfEEEEEE10hipError_tPvRmT0_T1_T2_T3_T4_T5_mmT6_P12ihipStream_tbEUlT_E0_NS1_11comp_targetILNS1_3genE0ELNS1_11target_archE4294967295ELNS1_3gpuE0ELNS1_3repE0EEENS1_30default_config_static_selectorELNS0_4arch9wavefront6targetE0EEEvS10_
; %bb.0:
	s_clause 0x1
	s_load_b128 s[12:15], s[0:1], 0x58
	s_load_b256 s[4:11], s[0:1], 0x8
	s_bfe_u32 s2, ttmp6, 0x4000c
	s_and_b32 s3, ttmp6, 15
	s_add_co_i32 s2, s2, 1
	s_wait_kmcnt 0x0
	s_getreg_b32 s13, hwreg(HW_REG_IB_STS2, 6, 4)
	s_mul_i32 s2, ttmp9, s2
	s_mov_b32 s19, 0
	s_add_co_i32 s3, s3, s2
	s_cmp_eq_u32 s13, 0
	v_mov_b32_e32 v1, 0
	s_cselect_b32 s2, ttmp9, s3
	s_add_co_i32 s24, s14, s12
	s_add_co_i32 s12, s2, 1
	;; [unrolled: 1-line block ×3, first 2 shown]
	s_delay_alu instid0(SALU_CYCLE_1) | instskip(NEXT) | instid1(SALU_CYCLE_1)
	s_lshr_b32 s3, s3, 8
	s_mul_hi_u32 s3, s3, 0x24924925
	s_delay_alu instid0(SALU_CYCLE_1)
	s_min_u32 s16, s2, s3
	s_min_u32 s3, s12, s3
	s_clause 0x1
	s_load_b32 s18, s[4:5], s16 offset:0x0 scale_offset
	s_load_b32 s17, s[4:5], s3 offset:0x0 scale_offset
	s_load_b128 s[12:15], s[0:1], 0x28
	s_wait_xcnt 0x0
	s_mul_i32 s16, s2, 0x700
	s_mov_b32 s3, s19
	s_add_co_i32 s2, s16, 0x700
	s_delay_alu instid0(SALU_CYCLE_1)
	s_min_u32 s25, s24, s2
	s_wait_kmcnt 0x0
	s_sub_co_i32 s2, s16, s18
	s_lshl_b64 s[22:23], s[18:19], 2
	s_lshl_b64 s[20:21], s[2:3], 2
	s_add_co_i32 s2, s2, s17
	s_sub_co_i32 s18, s17, s18
	s_sub_co_i32 s2, s25, s2
	s_add_nc_u64 s[4:5], s[10:11], s[20:21]
	s_add_nc_u64 s[10:11], s[12:13], s[20:21]
	;; [unrolled: 1-line block ×3, first 2 shown]
	s_mov_b32 s3, exec_lo
	v_cmpx_le_u32_e64 s18, v0
	s_xor_b32 s3, exec_lo, s3
	s_cbranch_execz .LBB68_4
; %bb.1:
	s_mov_b32 s12, exec_lo
	v_cmpx_gt_u64_e64 s[20:21], v[0:1]
	s_cbranch_execz .LBB68_3
; %bb.2:
	v_subrev_nc_u32_e32 v4, s18, v0
	s_clause 0x1
	global_load_b32 v2, v4, s[4:5] scale_offset
	global_load_b32 v3, v4, s[10:11] scale_offset
	s_wait_xcnt 0x0
	v_lshlrev_b32_e32 v4, 3, v0
	s_wait_loadcnt 0x0
	ds_store_b64 v4, v[2:3]
.LBB68_3:
	s_or_b32 exec_lo, exec_lo, s12
.LBB68_4:
	s_or_saveexec_b32 s3, s3
	v_lshlrev_b32_e32 v2, 3, v0
	s_add_nc_u64 s[6:7], s[6:7], s[22:23]
	s_add_nc_u64 s[12:13], s[8:9], s[22:23]
	s_xor_b32 exec_lo, exec_lo, s3
	s_cbranch_execz .LBB68_6
; %bb.5:
	s_clause 0x1
	global_load_b32 v4, v0, s[6:7] scale_offset
	global_load_b32 v5, v0, s[12:13] scale_offset
	s_wait_loadcnt 0x0
	ds_store_b64 v2, v[4:5]
.LBB68_6:
	s_or_b32 exec_lo, exec_lo, s3
	v_or_b32_e32 v14, 0x100, v0
	v_mov_b32_e32 v15, 0
	s_mov_b32 s3, exec_lo
	s_delay_alu instid0(VALU_DEP_2)
	v_cmpx_le_u32_e64 s18, v14
	s_xor_b32 s3, exec_lo, s3
	s_cbranch_execz .LBB68_10
; %bb.7:
	s_mov_b32 s8, exec_lo
	v_cmpx_gt_u64_e64 s[20:21], v[14:15]
	s_cbranch_execz .LBB68_9
; %bb.8:
	v_sub_nc_u64_e64 v[4:5], v[0:1], s[18:19]
	s_delay_alu instid0(VALU_DEP_1) | instskip(NEXT) | instid1(VALU_DEP_1)
	v_lshlrev_b64_e32 v[4:5], 2, v[4:5]
	v_add_nc_u64_e32 v[6:7], s[4:5], v[4:5]
	v_add_nc_u64_e32 v[4:5], s[10:11], v[4:5]
	global_load_b32 v8, v[6:7], off offset:1024
	global_load_b32 v9, v[4:5], off offset:1024
	s_wait_loadcnt 0x0
	ds_store_b64 v2, v[8:9] offset:2048
.LBB68_9:
	s_or_b32 exec_lo, exec_lo, s8
.LBB68_10:
	s_and_not1_saveexec_b32 s3, s3
	s_cbranch_execz .LBB68_12
; %bb.11:
	s_clause 0x1
	global_load_b32 v4, v0, s[6:7] offset:1024 scale_offset
	global_load_b32 v5, v0, s[12:13] offset:1024 scale_offset
	s_wait_loadcnt 0x0
	ds_store_b64 v2, v[4:5] offset:2048
.LBB68_12:
	s_or_b32 exec_lo, exec_lo, s3
	v_or_b32_e32 v16, 0x200, v0
	v_mov_b32_e32 v17, 0
	s_mov_b32 s3, exec_lo
	s_delay_alu instid0(VALU_DEP_2)
	v_cmpx_le_u32_e64 s18, v16
	s_xor_b32 s3, exec_lo, s3
	s_cbranch_execz .LBB68_16
; %bb.13:
	s_mov_b32 s8, exec_lo
	v_cmpx_gt_u64_e64 s[20:21], v[16:17]
	s_cbranch_execz .LBB68_15
; %bb.14:
	v_sub_nc_u64_e64 v[4:5], v[0:1], s[18:19]
	s_delay_alu instid0(VALU_DEP_1) | instskip(NEXT) | instid1(VALU_DEP_1)
	v_lshlrev_b64_e32 v[4:5], 2, v[4:5]
	v_add_nc_u64_e32 v[6:7], s[4:5], v[4:5]
	v_add_nc_u64_e32 v[4:5], s[10:11], v[4:5]
	global_load_b32 v8, v[6:7], off offset:2048
	global_load_b32 v9, v[4:5], off offset:2048
	s_wait_loadcnt 0x0
	ds_store_b64 v2, v[8:9] offset:4096
.LBB68_15:
	s_or_b32 exec_lo, exec_lo, s8
.LBB68_16:
	s_and_not1_saveexec_b32 s3, s3
	s_cbranch_execz .LBB68_18
; %bb.17:
	s_clause 0x1
	global_load_b32 v4, v0, s[6:7] offset:2048 scale_offset
	global_load_b32 v5, v0, s[12:13] offset:2048 scale_offset
	s_wait_loadcnt 0x0
	ds_store_b64 v2, v[4:5] offset:4096
.LBB68_18:
	;; [unrolled: 34-line block ×5, first 2 shown]
	s_or_b32 exec_lo, exec_lo, s3
	v_or_b32_e32 v24, 0x600, v0
	v_mov_b32_e32 v25, 0
	s_mov_b32 s3, exec_lo
	s_delay_alu instid0(VALU_DEP_2)
	v_cmpx_le_u32_e64 s18, v24
	s_xor_b32 s3, exec_lo, s3
	s_cbranch_execz .LBB68_40
; %bb.37:
	s_mov_b32 s8, exec_lo
	v_cmpx_gt_u64_e64 s[20:21], v[24:25]
	s_cbranch_execz .LBB68_39
; %bb.38:
	v_sub_nc_u64_e64 v[4:5], v[0:1], s[18:19]
	s_delay_alu instid0(VALU_DEP_1) | instskip(NEXT) | instid1(VALU_DEP_1)
	v_lshlrev_b64_e32 v[4:5], 2, v[4:5]
	v_add_nc_u64_e32 v[6:7], s[4:5], v[4:5]
	v_add_nc_u64_e32 v[4:5], s[10:11], v[4:5]
	global_load_b32 v8, v[6:7], off offset:6144
	global_load_b32 v9, v[4:5], off offset:6144
	s_wait_loadcnt 0x0
	ds_store_b64 v2, v[8:9] offset:12288
.LBB68_39:
	s_or_b32 exec_lo, exec_lo, s8
                                        ; implicit-def: $vgpr2
.LBB68_40:
	s_or_saveexec_b32 s3, s3
	s_load_b64 s[8:9], s[0:1], 0x38
	s_xor_b32 exec_lo, exec_lo, s3
	s_cbranch_execz .LBB68_42
; %bb.41:
	s_clause 0x1
	global_load_b32 v4, v0, s[6:7] offset:6144 scale_offset
	global_load_b32 v5, v0, s[12:13] offset:6144 scale_offset
	s_wait_loadcnt 0x0
	ds_store_b64 v2, v[4:5] offset:12288
.LBB68_42:
	s_or_b32 exec_lo, exec_lo, s3
	v_mul_u32_u24_e32 v2, 7, v0
	s_wait_xcnt 0x0
	s_mov_b32 s0, exec_lo
	s_wait_dscnt 0x0
	s_barrier_signal -1
	s_barrier_wait -1
	v_sub_nc_u32_e64 v15, v2, s2 clamp
	v_min_u32_e32 v3, s18, v2
	v_lshlrev_b32_e32 v1, 3, v2
	s_delay_alu instid0(VALU_DEP_2)
	v_cmpx_lt_u32_e64 v15, v3
	s_cbranch_execz .LBB68_46
; %bb.43:
	s_delay_alu instid0(VALU_DEP_2)
	v_lshl_add_u32 v4, s18, 3, v1
	s_mov_b32 s1, 0
.LBB68_44:                              ; =>This Inner Loop Header: Depth=1
	v_add_nc_u32_e32 v5, v3, v15
	s_delay_alu instid0(VALU_DEP_1) | instskip(NEXT) | instid1(VALU_DEP_1)
	v_lshrrev_b32_e32 v5, 1, v5
	v_not_b32_e32 v6, v5
	v_dual_lshlrev_b32 v7, 3, v5 :: v_dual_add_nc_u32 v8, 1, v5
	s_delay_alu instid0(VALU_DEP_2)
	v_lshl_add_u32 v6, v6, 3, v4
	ds_load_b32 v7, v7
	ds_load_b32 v6, v6
	s_wait_dscnt 0x0
	v_cmp_lt_f32_e32 vcc_lo, v6, v7
	v_dual_cndmask_b32 v3, v3, v5, vcc_lo :: v_dual_cndmask_b32 v15, v8, v15, vcc_lo
	s_delay_alu instid0(VALU_DEP_1) | instskip(SKIP_1) | instid1(SALU_CYCLE_1)
	v_cmp_ge_u32_e32 vcc_lo, v15, v3
	s_or_b32 s1, vcc_lo, s1
	s_and_not1_b32 exec_lo, exec_lo, s1
	s_cbranch_execnz .LBB68_44
; %bb.45:
	s_or_b32 exec_lo, exec_lo, s1
.LBB68_46:
	s_delay_alu instid0(SALU_CYCLE_1) | instskip(SKIP_4) | instid1(VALU_DEP_3)
	s_or_b32 exec_lo, exec_lo, s0
	v_dual_mov_b32 v27, 0 :: v_dual_add_nc_u32 v2, s18, v2
	v_mov_b32_e32 v26, 0
	s_add_co_i32 s10, s2, s18
	v_cmp_ge_u32_e32 vcc_lo, s18, v15
	v_dual_sub_nc_u32 v17, v2, v15 :: v_dual_mov_b32 v13, 0
	v_dual_mov_b32 v12, 0 :: v_dual_mov_b32 v5, 0
	v_mov_b32_e32 v4, 0
	s_delay_alu instid0(VALU_DEP_3)
	v_cmp_ge_u32_e64 s0, s10, v17
	v_dual_mov_b32 v11, 0 :: v_dual_mov_b32 v10, 0
	v_dual_mov_b32 v7, 0 :: v_dual_mov_b32 v6, 0
	v_dual_mov_b32 v9, 0 :: v_dual_mov_b32 v8, 0
	v_dual_mov_b32 v3, 0 :: v_dual_mov_b32 v2, 0
	s_or_b32 s0, vcc_lo, s0
	s_delay_alu instid0(SALU_CYCLE_1)
	s_and_saveexec_b32 s7, s0
	s_cbranch_execz .LBB68_52
; %bb.47:
	v_cmp_gt_u32_e32 vcc_lo, s18, v15
	v_dual_mov_b32 v2, 0 :: v_dual_mov_b32 v4, 0
	v_mov_b32_e32 v5, 0
	s_and_saveexec_b32 s0, vcc_lo
; %bb.48:
	v_lshlrev_b32_e32 v3, 3, v15
	ds_load_b64 v[4:5], v3
; %bb.49:
	s_or_b32 exec_lo, exec_lo, s0
	v_cmp_le_u32_e64 s0, s10, v17
	v_mov_b32_e32 v3, 0
	s_mov_b32 s2, exec_lo
	v_cmpx_gt_u32_e64 s10, v17
; %bb.50:
	v_lshlrev_b32_e32 v2, 3, v17
	ds_load_b64 v[2:3], v2
; %bb.51:
	s_or_b32 exec_lo, exec_lo, s2
	s_wait_dscnt 0x0
	v_cmp_nlt_f32_e64 s1, v2, v4
	s_and_b32 s1, vcc_lo, s1
	s_delay_alu instid0(SALU_CYCLE_1) | instskip(SKIP_1) | instid1(VALU_DEP_1)
	s_or_b32 vcc_lo, s0, s1
	v_dual_mov_b32 v19, s18 :: v_dual_cndmask_b32 v6, v17, v15
	v_dual_cndmask_b32 v7, s10, v19 :: v_dual_add_nc_u32 v8, 1, v6
	s_delay_alu instid0(VALU_DEP_1) | instskip(SKIP_1) | instid1(VALU_DEP_2)
	v_add_min_u32_e64 v6, v7, -1, v8
	v_dual_cndmask_b32 v10, v15, v8 :: v_dual_cndmask_b32 v11, v8, v17
	v_lshlrev_b32_e32 v6, 3, v6
	s_delay_alu instid0(VALU_DEP_2) | instskip(NEXT) | instid1(VALU_DEP_3)
	v_cmp_gt_u32_e64 s0, s18, v10
	v_cmp_le_u32_e64 s2, s10, v11
	ds_load_b64 v[6:7], v6
	s_wait_dscnt 0x0
	v_cndmask_b32_e32 v15, v6, v2, vcc_lo
	v_dual_cndmask_b32 v6, v4, v6, vcc_lo :: v_dual_cndmask_b32 v2, v2, v4, vcc_lo
	s_delay_alu instid0(VALU_DEP_1) | instskip(SKIP_1) | instid1(SALU_CYCLE_1)
	v_cmp_nlt_f32_e64 s1, v15, v6
	s_and_b32 s0, s0, s1
	s_or_b32 s0, s2, s0
	s_delay_alu instid0(SALU_CYCLE_1) | instskip(NEXT) | instid1(VALU_DEP_1)
	v_cndmask_b32_e64 v8, v11, v10, s0
	v_dual_cndmask_b32 v9, s10, v19, s0 :: v_dual_add_nc_u32 v12, 1, v8
	s_delay_alu instid0(VALU_DEP_1) | instskip(SKIP_1) | instid1(VALU_DEP_2)
	v_add_min_u32_e64 v8, v9, -1, v12
	v_cndmask_b32_e64 v13, v10, v12, s0
	v_lshlrev_b32_e32 v8, 3, v8
	s_delay_alu instid0(VALU_DEP_2) | instskip(SKIP_4) | instid1(VALU_DEP_2)
	v_cmp_gt_u32_e64 s1, s18, v13
	ds_load_b64 v[8:9], v8
	s_wait_dscnt 0x0
	v_dual_cndmask_b32 v17, v8, v15, s0 :: v_dual_cndmask_b32 v21, v6, v8, s0
	v_cndmask_b32_e64 v8, v12, v11, s0
	v_cmp_nlt_f32_e64 s2, v17, v21
	s_delay_alu instid0(VALU_DEP_2) | instskip(SKIP_1) | instid1(SALU_CYCLE_1)
	v_cmp_le_u32_e64 s3, s10, v8
	s_and_b32 s1, s1, s2
	s_or_b32 s1, s3, s1
	s_delay_alu instid0(SALU_CYCLE_1) | instskip(NEXT) | instid1(VALU_DEP_1)
	v_cndmask_b32_e64 v10, v8, v13, s1
	v_dual_cndmask_b32 v11, s10, v19, s1 :: v_dual_add_nc_u32 v12, 1, v10
	s_delay_alu instid0(VALU_DEP_1) | instskip(SKIP_1) | instid1(VALU_DEP_2)
	v_add_min_u32_e64 v10, v11, -1, v12
	v_cndmask_b32_e64 v23, v13, v12, s1
	v_dual_cndmask_b32 v8, v12, v8, s1 :: v_dual_lshlrev_b32 v10, 3, v10
	s_delay_alu instid0(VALU_DEP_2) | instskip(NEXT) | instid1(VALU_DEP_2)
	v_cmp_gt_u32_e64 s2, s18, v23
	v_cmp_le_u32_e64 s4, s10, v8
	ds_load_b64 v[10:11], v10
	s_wait_dscnt 0x0
	v_dual_cndmask_b32 v25, v10, v17, s1 :: v_dual_cndmask_b32 v10, v21, v10, s1
	s_delay_alu instid0(VALU_DEP_1) | instskip(SKIP_1) | instid1(SALU_CYCLE_1)
	v_cmp_nlt_f32_e64 s3, v25, v10
	s_and_b32 s2, s2, s3
	s_or_b32 s2, s4, s2
	s_delay_alu instid0(SALU_CYCLE_1) | instskip(NEXT) | instid1(VALU_DEP_1)
	v_cndmask_b32_e64 v12, v8, v23, s2
	v_dual_cndmask_b32 v13, s10, v19, s2 :: v_dual_add_nc_u32 v26, 1, v12
	s_delay_alu instid0(VALU_DEP_1) | instskip(SKIP_1) | instid1(VALU_DEP_2)
	v_add_min_u32_e64 v12, v13, -1, v26
	v_dual_cndmask_b32 v23, v23, v26, s2 :: v_dual_cndmask_b32 v8, v26, v8, s2
	v_lshlrev_b32_e32 v12, 3, v12
	s_delay_alu instid0(VALU_DEP_2) | instskip(NEXT) | instid1(VALU_DEP_3)
	v_cmp_gt_u32_e64 s3, s18, v23
	v_cmp_le_u32_e64 s5, s10, v8
	ds_load_b64 v[12:13], v12
	s_wait_dscnt 0x0
	v_dual_cndmask_b32 v30, v12, v25, s2 :: v_dual_cndmask_b32 v12, v10, v12, s2
	v_cndmask_b32_e64 v10, v25, v10, s2
	s_delay_alu instid0(VALU_DEP_2) | instskip(SKIP_1) | instid1(SALU_CYCLE_1)
	v_cmp_nlt_f32_e64 s4, v30, v12
	s_and_b32 s3, s3, s4
	s_or_b32 s3, s5, s3
	s_delay_alu instid0(SALU_CYCLE_1) | instskip(NEXT) | instid1(VALU_DEP_1)
	v_cndmask_b32_e64 v26, v8, v23, s3
	v_dual_cndmask_b32 v27, s10, v19, s3 :: v_dual_add_nc_u32 v28, 1, v26
	s_delay_alu instid0(VALU_DEP_1) | instskip(SKIP_1) | instid1(VALU_DEP_2)
	v_add_min_u32_e64 v26, v27, -1, v28
	v_cndmask_b32_e64 v23, v23, v28, s3
	v_dual_cndmask_b32 v32, v28, v8, s3 :: v_dual_lshlrev_b32 v26, 3, v26
	s_delay_alu instid0(VALU_DEP_2) | instskip(NEXT) | instid1(VALU_DEP_2)
	v_cmp_gt_u32_e64 s4, s18, v23
	v_cmp_le_u32_e64 s6, s10, v32
	ds_load_b64 v[26:27], v26
	s_wait_dscnt 0x0
	v_cndmask_b32_e64 v31, v26, v30, s3
	v_cndmask_b32_e64 v26, v12, v26, s3
	s_delay_alu instid0(VALU_DEP_1) | instskip(SKIP_1) | instid1(SALU_CYCLE_1)
	v_cmp_nlt_f32_e64 s5, v31, v26
	s_and_b32 s4, s4, s5
	s_or_b32 s4, s6, s4
	s_delay_alu instid0(SALU_CYCLE_1) | instskip(NEXT) | instid1(VALU_DEP_1)
	v_cndmask_b32_e64 v8, v32, v23, s4
	v_dual_cndmask_b32 v19, s10, v19, s4 :: v_dual_add_nc_u32 v33, 1, v8
	s_delay_alu instid0(VALU_DEP_1) | instskip(SKIP_2) | instid1(VALU_DEP_2)
	v_add_min_u32_e64 v8, v19, -1, v33
	v_cndmask_b32_e32 v19, v7, v3, vcc_lo
	v_dual_cndmask_b32 v7, v5, v7, vcc_lo :: v_dual_cndmask_b32 v3, v3, v5, vcc_lo
	v_dual_lshlrev_b32 v8, 3, v8 :: v_dual_cndmask_b32 v34, v9, v19, s0
	s_delay_alu instid0(VALU_DEP_2)
	v_cndmask_b32_e64 v35, v7, v9, s0
	ds_load_b64 v[28:29], v8
	v_cndmask_b32_e64 v8, v15, v6, s0
	v_dual_cndmask_b32 v4, v11, v34, s1 :: v_dual_cndmask_b32 v6, v17, v21, s1
	v_cndmask_b32_e64 v5, v35, v11, s1
	v_dual_cndmask_b32 v9, v19, v7, s0 :: v_dual_cndmask_b32 v21, v33, v32, s4
	s_delay_alu instid0(VALU_DEP_3) | instskip(NEXT) | instid1(VALU_DEP_3)
	v_dual_cndmask_b32 v15, v13, v4, s2 :: v_dual_cndmask_b32 v7, v34, v35, s1
	v_cndmask_b32_e64 v13, v5, v13, s2
	v_dual_cndmask_b32 v11, v4, v5, s2 :: v_dual_cndmask_b32 v4, v30, v12, s3
	v_cndmask_b32_e64 v12, v23, v33, s4
	v_cmp_le_u32_e64 s1, s10, v21
	s_delay_alu instid0(VALU_DEP_4)
	v_cndmask_b32_e64 v5, v15, v13, s3
	v_cndmask_b32_e64 v15, v27, v15, s3
	v_cndmask_b32_e64 v13, v13, v27, s3
	s_wait_dscnt 0x0
	v_dual_cndmask_b32 v17, v28, v31, s4 :: v_dual_cndmask_b32 v19, v26, v28, s4
	v_cmp_gt_u32_e32 vcc_lo, s18, v12
	v_dual_cndmask_b32 v12, v31, v26, s4 :: v_dual_cndmask_b32 v21, v29, v15, s4
	v_cndmask_b32_e64 v23, v13, v29, s4
	s_delay_alu instid0(VALU_DEP_4) | instskip(SKIP_2) | instid1(SALU_CYCLE_1)
	v_cmp_nlt_f32_e64 s0, v17, v19
	v_cndmask_b32_e64 v13, v15, v13, s4
	s_and_b32 s0, vcc_lo, s0
	s_or_b32 vcc_lo, s1, s0
	v_cndmask_b32_e32 v26, v17, v19, vcc_lo
	v_cndmask_b32_e32 v27, v21, v23, vcc_lo
.LBB68_52:
	s_or_b32 exec_lo, exec_lo, s7
	v_mul_i32_i24_e32 v15, 0xffffffd0, v0
	s_mov_b32 s17, 0
	s_sub_co_i32 s4, s24, s16
	s_lshl_b64 s[2:3], s[16:17], 2
	s_cmp_gt_u32 s4, 0x6ff
	v_add_nc_u32_e32 v15, v1, v15
	s_add_nc_u64 s[0:1], s[14:15], s[2:3]
	s_wait_kmcnt 0x0
	s_add_nc_u64 s[2:3], s[8:9], s[2:3]
	s_barrier_signal -1
	s_barrier_wait -1
	ds_store_2addr_b64 v1, v[2:3], v[8:9] offset1:1
	ds_store_2addr_b64 v1, v[6:7], v[10:11] offset0:2 offset1:3
	ds_store_2addr_b64 v1, v[4:5], v[12:13] offset0:4 offset1:5
	ds_store_b64 v1, v[26:27] offset:48
	s_wait_dscnt 0x0
	s_cbranch_scc0 .LBB68_54
; %bb.53:
	s_barrier_signal -1
	s_barrier_wait -1
	ds_load_2addr_stride64_b64 v[6:9], v15 offset1:4
	ds_load_2addr_stride64_b64 v[10:13], v15 offset0:8 offset1:12
	ds_load_2addr_stride64_b64 v[26:29], v15 offset0:16 offset1:20
	ds_load_b64 v[4:5], v15 offset:12288
	s_mov_b32 s17, -1
	s_wait_dscnt 0x3
	s_clause 0x3
	global_store_b32 v0, v6, s[0:1] scale_offset
	global_store_b32 v0, v7, s[2:3] scale_offset
	global_store_b32 v0, v8, s[0:1] offset:1024 scale_offset
	global_store_b32 v0, v9, s[2:3] offset:1024 scale_offset
	s_wait_dscnt 0x2
	s_clause 0x3
	global_store_b32 v0, v10, s[0:1] offset:2048 scale_offset
	global_store_b32 v0, v11, s[2:3] offset:2048 scale_offset
	;; [unrolled: 1-line block ×4, first 2 shown]
	s_wait_dscnt 0x1
	s_clause 0x3
	global_store_b32 v0, v26, s[0:1] offset:4096 scale_offset
	global_store_b32 v0, v27, s[2:3] offset:4096 scale_offset
	;; [unrolled: 1-line block ×4, first 2 shown]
	s_cbranch_execz .LBB68_55
	s_branch .LBB68_63
.LBB68_54:
                                        ; implicit-def: $vgpr4_vgpr5
.LBB68_55:
	s_barrier_signal -1
	s_barrier_wait -1
	s_wait_storecnt_dscnt 0x0
	s_wait_xcnt 0x4
	ds_load_2addr_stride64_b64 v[10:13], v15 offset0:4 offset1:8
	ds_load_2addr_stride64_b64 v[6:9], v15 offset0:12 offset1:16
	;; [unrolled: 1-line block ×3, first 2 shown]
	s_wait_xcnt 0x0
	v_dual_mov_b32 v29, 0 :: v_dual_lshlrev_b32 v28, 2, v0
	s_mov_b32 s5, exec_lo
	s_delay_alu instid0(VALU_DEP_1)
	v_add_nc_u64_e32 v[26:27], s[0:1], v[28:29]
	v_add_nc_u64_e32 v[28:29], s[2:3], v[28:29]
	v_cmpx_gt_u32_e64 s4, v0
	s_cbranch_execnz .LBB68_66
; %bb.56:
	s_or_b32 exec_lo, exec_lo, s5
	s_delay_alu instid0(SALU_CYCLE_1)
	s_mov_b32 s5, exec_lo
	v_cmpx_gt_u32_e64 s4, v14
	s_cbranch_execnz .LBB68_67
.LBB68_57:
	s_or_b32 exec_lo, exec_lo, s5
	s_delay_alu instid0(SALU_CYCLE_1)
	s_mov_b32 s5, exec_lo
	v_cmpx_gt_u32_e64 s4, v16
	s_cbranch_execnz .LBB68_68
.LBB68_58:
	s_or_b32 exec_lo, exec_lo, s5
	s_delay_alu instid0(SALU_CYCLE_1)
	s_mov_b32 s5, exec_lo
	v_cmpx_gt_u32_e64 s4, v18
	s_cbranch_execnz .LBB68_69
.LBB68_59:
	s_or_b32 exec_lo, exec_lo, s5
	s_delay_alu instid0(SALU_CYCLE_1)
	s_mov_b32 s5, exec_lo
	v_cmpx_gt_u32_e64 s4, v20
	s_cbranch_execnz .LBB68_70
.LBB68_60:
	s_or_b32 exec_lo, exec_lo, s5
	s_delay_alu instid0(SALU_CYCLE_1)
	s_mov_b32 s5, exec_lo
	v_cmpx_gt_u32_e64 s4, v22
	s_cbranch_execz .LBB68_62
.LBB68_61:
	s_wait_dscnt 0x0
	global_store_b32 v[26:27], v2, off offset:5120
	global_store_b32 v[28:29], v3, off offset:5120
.LBB68_62:
	s_wait_xcnt 0x0
	s_or_b32 exec_lo, exec_lo, s5
	v_cmp_gt_u32_e64 s17, s4, v24
.LBB68_63:
	s_wait_xcnt 0x0
	s_delay_alu instid0(VALU_DEP_1)
	s_and_saveexec_b32 s4, s17
	s_cbranch_execnz .LBB68_65
; %bb.64:
	s_endpgm
.LBB68_65:
	s_wait_dscnt 0x0
	s_clause 0x1
	global_store_b32 v0, v4, s[0:1] offset:6144 scale_offset
	global_store_b32 v0, v5, s[2:3] offset:6144 scale_offset
	s_endpgm
.LBB68_66:
	ds_load_b64 v[30:31], v15
	s_wait_dscnt 0x0
	global_store_b32 v[26:27], v30, off
	global_store_b32 v[28:29], v31, off
	s_wait_xcnt 0x0
	s_or_b32 exec_lo, exec_lo, s5
	s_delay_alu instid0(SALU_CYCLE_1)
	s_mov_b32 s5, exec_lo
	v_cmpx_gt_u32_e64 s4, v14
	s_cbranch_execz .LBB68_57
.LBB68_67:
	s_wait_dscnt 0x2
	global_store_b32 v[26:27], v10, off offset:1024
	global_store_b32 v[28:29], v11, off offset:1024
	s_wait_xcnt 0x0
	s_or_b32 exec_lo, exec_lo, s5
	s_delay_alu instid0(SALU_CYCLE_1)
	s_mov_b32 s5, exec_lo
	v_cmpx_gt_u32_e64 s4, v16
	s_cbranch_execz .LBB68_58
.LBB68_68:
	s_wait_dscnt 0x2
	global_store_b32 v[26:27], v12, off offset:2048
	global_store_b32 v[28:29], v13, off offset:2048
	s_wait_xcnt 0x0
	s_or_b32 exec_lo, exec_lo, s5
	s_delay_alu instid0(SALU_CYCLE_1)
	s_mov_b32 s5, exec_lo
	v_cmpx_gt_u32_e64 s4, v18
	s_cbranch_execz .LBB68_59
.LBB68_69:
	s_wait_dscnt 0x1
	global_store_b32 v[26:27], v6, off offset:3072
	global_store_b32 v[28:29], v7, off offset:3072
	s_wait_xcnt 0x0
	s_or_b32 exec_lo, exec_lo, s5
	s_delay_alu instid0(SALU_CYCLE_1)
	s_mov_b32 s5, exec_lo
	v_cmpx_gt_u32_e64 s4, v20
	s_cbranch_execz .LBB68_60
.LBB68_70:
	s_wait_dscnt 0x1
	global_store_b32 v[26:27], v8, off offset:4096
	global_store_b32 v[28:29], v9, off offset:4096
	s_wait_xcnt 0x0
	s_or_b32 exec_lo, exec_lo, s5
	s_delay_alu instid0(SALU_CYCLE_1)
	s_mov_b32 s5, exec_lo
	v_cmpx_gt_u32_e64 s4, v22
	s_cbranch_execnz .LBB68_61
	s_branch .LBB68_62
	.section	.rodata,"a",@progbits
	.p2align	6, 0x0
	.amdhsa_kernel _ZN7rocprim17ROCPRIM_400000_NS6detail17trampoline_kernelINS0_14default_configENS1_21merge_config_selectorINS0_5tupleIJffEEENS0_10empty_typeEEEZNS1_10merge_implIS3_NS0_12zip_iteratorINS5_IJN6thrust23THRUST_200600_302600_NS6detail15normal_iteratorINSC_10device_ptrIKfEEEESI_EEEEESK_NSA_INS5_IJNSE_INSF_IfEEEESM_EEEEEPS7_SP_SP_NSC_11hip_rocprim7__merge17predicate_wrapperIffNSC_4lessIfEEEEEE10hipError_tPvRmT0_T1_T2_T3_T4_T5_mmT6_P12ihipStream_tbEUlT_E0_NS1_11comp_targetILNS1_3genE0ELNS1_11target_archE4294967295ELNS1_3gpuE0ELNS1_3repE0EEENS1_30default_config_static_selectorELNS0_4arch9wavefront6targetE0EEEvS10_
		.amdhsa_group_segment_fixed_size 14352
		.amdhsa_private_segment_fixed_size 0
		.amdhsa_kernarg_size 112
		.amdhsa_user_sgpr_count 2
		.amdhsa_user_sgpr_dispatch_ptr 0
		.amdhsa_user_sgpr_queue_ptr 0
		.amdhsa_user_sgpr_kernarg_segment_ptr 1
		.amdhsa_user_sgpr_dispatch_id 0
		.amdhsa_user_sgpr_kernarg_preload_length 0
		.amdhsa_user_sgpr_kernarg_preload_offset 0
		.amdhsa_user_sgpr_private_segment_size 0
		.amdhsa_wavefront_size32 1
		.amdhsa_uses_dynamic_stack 0
		.amdhsa_enable_private_segment 0
		.amdhsa_system_sgpr_workgroup_id_x 1
		.amdhsa_system_sgpr_workgroup_id_y 0
		.amdhsa_system_sgpr_workgroup_id_z 0
		.amdhsa_system_sgpr_workgroup_info 0
		.amdhsa_system_vgpr_workitem_id 0
		.amdhsa_next_free_vgpr 36
		.amdhsa_next_free_sgpr 26
		.amdhsa_named_barrier_count 0
		.amdhsa_reserve_vcc 1
		.amdhsa_float_round_mode_32 0
		.amdhsa_float_round_mode_16_64 0
		.amdhsa_float_denorm_mode_32 3
		.amdhsa_float_denorm_mode_16_64 3
		.amdhsa_fp16_overflow 0
		.amdhsa_memory_ordered 1
		.amdhsa_forward_progress 1
		.amdhsa_inst_pref_size 28
		.amdhsa_round_robin_scheduling 0
		.amdhsa_exception_fp_ieee_invalid_op 0
		.amdhsa_exception_fp_denorm_src 0
		.amdhsa_exception_fp_ieee_div_zero 0
		.amdhsa_exception_fp_ieee_overflow 0
		.amdhsa_exception_fp_ieee_underflow 0
		.amdhsa_exception_fp_ieee_inexact 0
		.amdhsa_exception_int_div_zero 0
	.end_amdhsa_kernel
	.section	.text._ZN7rocprim17ROCPRIM_400000_NS6detail17trampoline_kernelINS0_14default_configENS1_21merge_config_selectorINS0_5tupleIJffEEENS0_10empty_typeEEEZNS1_10merge_implIS3_NS0_12zip_iteratorINS5_IJN6thrust23THRUST_200600_302600_NS6detail15normal_iteratorINSC_10device_ptrIKfEEEESI_EEEEESK_NSA_INS5_IJNSE_INSF_IfEEEESM_EEEEEPS7_SP_SP_NSC_11hip_rocprim7__merge17predicate_wrapperIffNSC_4lessIfEEEEEE10hipError_tPvRmT0_T1_T2_T3_T4_T5_mmT6_P12ihipStream_tbEUlT_E0_NS1_11comp_targetILNS1_3genE0ELNS1_11target_archE4294967295ELNS1_3gpuE0ELNS1_3repE0EEENS1_30default_config_static_selectorELNS0_4arch9wavefront6targetE0EEEvS10_,"axG",@progbits,_ZN7rocprim17ROCPRIM_400000_NS6detail17trampoline_kernelINS0_14default_configENS1_21merge_config_selectorINS0_5tupleIJffEEENS0_10empty_typeEEEZNS1_10merge_implIS3_NS0_12zip_iteratorINS5_IJN6thrust23THRUST_200600_302600_NS6detail15normal_iteratorINSC_10device_ptrIKfEEEESI_EEEEESK_NSA_INS5_IJNSE_INSF_IfEEEESM_EEEEEPS7_SP_SP_NSC_11hip_rocprim7__merge17predicate_wrapperIffNSC_4lessIfEEEEEE10hipError_tPvRmT0_T1_T2_T3_T4_T5_mmT6_P12ihipStream_tbEUlT_E0_NS1_11comp_targetILNS1_3genE0ELNS1_11target_archE4294967295ELNS1_3gpuE0ELNS1_3repE0EEENS1_30default_config_static_selectorELNS0_4arch9wavefront6targetE0EEEvS10_,comdat
.Lfunc_end68:
	.size	_ZN7rocprim17ROCPRIM_400000_NS6detail17trampoline_kernelINS0_14default_configENS1_21merge_config_selectorINS0_5tupleIJffEEENS0_10empty_typeEEEZNS1_10merge_implIS3_NS0_12zip_iteratorINS5_IJN6thrust23THRUST_200600_302600_NS6detail15normal_iteratorINSC_10device_ptrIKfEEEESI_EEEEESK_NSA_INS5_IJNSE_INSF_IfEEEESM_EEEEEPS7_SP_SP_NSC_11hip_rocprim7__merge17predicate_wrapperIffNSC_4lessIfEEEEEE10hipError_tPvRmT0_T1_T2_T3_T4_T5_mmT6_P12ihipStream_tbEUlT_E0_NS1_11comp_targetILNS1_3genE0ELNS1_11target_archE4294967295ELNS1_3gpuE0ELNS1_3repE0EEENS1_30default_config_static_selectorELNS0_4arch9wavefront6targetE0EEEvS10_, .Lfunc_end68-_ZN7rocprim17ROCPRIM_400000_NS6detail17trampoline_kernelINS0_14default_configENS1_21merge_config_selectorINS0_5tupleIJffEEENS0_10empty_typeEEEZNS1_10merge_implIS3_NS0_12zip_iteratorINS5_IJN6thrust23THRUST_200600_302600_NS6detail15normal_iteratorINSC_10device_ptrIKfEEEESI_EEEEESK_NSA_INS5_IJNSE_INSF_IfEEEESM_EEEEEPS7_SP_SP_NSC_11hip_rocprim7__merge17predicate_wrapperIffNSC_4lessIfEEEEEE10hipError_tPvRmT0_T1_T2_T3_T4_T5_mmT6_P12ihipStream_tbEUlT_E0_NS1_11comp_targetILNS1_3genE0ELNS1_11target_archE4294967295ELNS1_3gpuE0ELNS1_3repE0EEENS1_30default_config_static_selectorELNS0_4arch9wavefront6targetE0EEEvS10_
                                        ; -- End function
	.set _ZN7rocprim17ROCPRIM_400000_NS6detail17trampoline_kernelINS0_14default_configENS1_21merge_config_selectorINS0_5tupleIJffEEENS0_10empty_typeEEEZNS1_10merge_implIS3_NS0_12zip_iteratorINS5_IJN6thrust23THRUST_200600_302600_NS6detail15normal_iteratorINSC_10device_ptrIKfEEEESI_EEEEESK_NSA_INS5_IJNSE_INSF_IfEEEESM_EEEEEPS7_SP_SP_NSC_11hip_rocprim7__merge17predicate_wrapperIffNSC_4lessIfEEEEEE10hipError_tPvRmT0_T1_T2_T3_T4_T5_mmT6_P12ihipStream_tbEUlT_E0_NS1_11comp_targetILNS1_3genE0ELNS1_11target_archE4294967295ELNS1_3gpuE0ELNS1_3repE0EEENS1_30default_config_static_selectorELNS0_4arch9wavefront6targetE0EEEvS10_.num_vgpr, 36
	.set _ZN7rocprim17ROCPRIM_400000_NS6detail17trampoline_kernelINS0_14default_configENS1_21merge_config_selectorINS0_5tupleIJffEEENS0_10empty_typeEEEZNS1_10merge_implIS3_NS0_12zip_iteratorINS5_IJN6thrust23THRUST_200600_302600_NS6detail15normal_iteratorINSC_10device_ptrIKfEEEESI_EEEEESK_NSA_INS5_IJNSE_INSF_IfEEEESM_EEEEEPS7_SP_SP_NSC_11hip_rocprim7__merge17predicate_wrapperIffNSC_4lessIfEEEEEE10hipError_tPvRmT0_T1_T2_T3_T4_T5_mmT6_P12ihipStream_tbEUlT_E0_NS1_11comp_targetILNS1_3genE0ELNS1_11target_archE4294967295ELNS1_3gpuE0ELNS1_3repE0EEENS1_30default_config_static_selectorELNS0_4arch9wavefront6targetE0EEEvS10_.num_agpr, 0
	.set _ZN7rocprim17ROCPRIM_400000_NS6detail17trampoline_kernelINS0_14default_configENS1_21merge_config_selectorINS0_5tupleIJffEEENS0_10empty_typeEEEZNS1_10merge_implIS3_NS0_12zip_iteratorINS5_IJN6thrust23THRUST_200600_302600_NS6detail15normal_iteratorINSC_10device_ptrIKfEEEESI_EEEEESK_NSA_INS5_IJNSE_INSF_IfEEEESM_EEEEEPS7_SP_SP_NSC_11hip_rocprim7__merge17predicate_wrapperIffNSC_4lessIfEEEEEE10hipError_tPvRmT0_T1_T2_T3_T4_T5_mmT6_P12ihipStream_tbEUlT_E0_NS1_11comp_targetILNS1_3genE0ELNS1_11target_archE4294967295ELNS1_3gpuE0ELNS1_3repE0EEENS1_30default_config_static_selectorELNS0_4arch9wavefront6targetE0EEEvS10_.numbered_sgpr, 26
	.set _ZN7rocprim17ROCPRIM_400000_NS6detail17trampoline_kernelINS0_14default_configENS1_21merge_config_selectorINS0_5tupleIJffEEENS0_10empty_typeEEEZNS1_10merge_implIS3_NS0_12zip_iteratorINS5_IJN6thrust23THRUST_200600_302600_NS6detail15normal_iteratorINSC_10device_ptrIKfEEEESI_EEEEESK_NSA_INS5_IJNSE_INSF_IfEEEESM_EEEEEPS7_SP_SP_NSC_11hip_rocprim7__merge17predicate_wrapperIffNSC_4lessIfEEEEEE10hipError_tPvRmT0_T1_T2_T3_T4_T5_mmT6_P12ihipStream_tbEUlT_E0_NS1_11comp_targetILNS1_3genE0ELNS1_11target_archE4294967295ELNS1_3gpuE0ELNS1_3repE0EEENS1_30default_config_static_selectorELNS0_4arch9wavefront6targetE0EEEvS10_.num_named_barrier, 0
	.set _ZN7rocprim17ROCPRIM_400000_NS6detail17trampoline_kernelINS0_14default_configENS1_21merge_config_selectorINS0_5tupleIJffEEENS0_10empty_typeEEEZNS1_10merge_implIS3_NS0_12zip_iteratorINS5_IJN6thrust23THRUST_200600_302600_NS6detail15normal_iteratorINSC_10device_ptrIKfEEEESI_EEEEESK_NSA_INS5_IJNSE_INSF_IfEEEESM_EEEEEPS7_SP_SP_NSC_11hip_rocprim7__merge17predicate_wrapperIffNSC_4lessIfEEEEEE10hipError_tPvRmT0_T1_T2_T3_T4_T5_mmT6_P12ihipStream_tbEUlT_E0_NS1_11comp_targetILNS1_3genE0ELNS1_11target_archE4294967295ELNS1_3gpuE0ELNS1_3repE0EEENS1_30default_config_static_selectorELNS0_4arch9wavefront6targetE0EEEvS10_.private_seg_size, 0
	.set _ZN7rocprim17ROCPRIM_400000_NS6detail17trampoline_kernelINS0_14default_configENS1_21merge_config_selectorINS0_5tupleIJffEEENS0_10empty_typeEEEZNS1_10merge_implIS3_NS0_12zip_iteratorINS5_IJN6thrust23THRUST_200600_302600_NS6detail15normal_iteratorINSC_10device_ptrIKfEEEESI_EEEEESK_NSA_INS5_IJNSE_INSF_IfEEEESM_EEEEEPS7_SP_SP_NSC_11hip_rocprim7__merge17predicate_wrapperIffNSC_4lessIfEEEEEE10hipError_tPvRmT0_T1_T2_T3_T4_T5_mmT6_P12ihipStream_tbEUlT_E0_NS1_11comp_targetILNS1_3genE0ELNS1_11target_archE4294967295ELNS1_3gpuE0ELNS1_3repE0EEENS1_30default_config_static_selectorELNS0_4arch9wavefront6targetE0EEEvS10_.uses_vcc, 1
	.set _ZN7rocprim17ROCPRIM_400000_NS6detail17trampoline_kernelINS0_14default_configENS1_21merge_config_selectorINS0_5tupleIJffEEENS0_10empty_typeEEEZNS1_10merge_implIS3_NS0_12zip_iteratorINS5_IJN6thrust23THRUST_200600_302600_NS6detail15normal_iteratorINSC_10device_ptrIKfEEEESI_EEEEESK_NSA_INS5_IJNSE_INSF_IfEEEESM_EEEEEPS7_SP_SP_NSC_11hip_rocprim7__merge17predicate_wrapperIffNSC_4lessIfEEEEEE10hipError_tPvRmT0_T1_T2_T3_T4_T5_mmT6_P12ihipStream_tbEUlT_E0_NS1_11comp_targetILNS1_3genE0ELNS1_11target_archE4294967295ELNS1_3gpuE0ELNS1_3repE0EEENS1_30default_config_static_selectorELNS0_4arch9wavefront6targetE0EEEvS10_.uses_flat_scratch, 0
	.set _ZN7rocprim17ROCPRIM_400000_NS6detail17trampoline_kernelINS0_14default_configENS1_21merge_config_selectorINS0_5tupleIJffEEENS0_10empty_typeEEEZNS1_10merge_implIS3_NS0_12zip_iteratorINS5_IJN6thrust23THRUST_200600_302600_NS6detail15normal_iteratorINSC_10device_ptrIKfEEEESI_EEEEESK_NSA_INS5_IJNSE_INSF_IfEEEESM_EEEEEPS7_SP_SP_NSC_11hip_rocprim7__merge17predicate_wrapperIffNSC_4lessIfEEEEEE10hipError_tPvRmT0_T1_T2_T3_T4_T5_mmT6_P12ihipStream_tbEUlT_E0_NS1_11comp_targetILNS1_3genE0ELNS1_11target_archE4294967295ELNS1_3gpuE0ELNS1_3repE0EEENS1_30default_config_static_selectorELNS0_4arch9wavefront6targetE0EEEvS10_.has_dyn_sized_stack, 0
	.set _ZN7rocprim17ROCPRIM_400000_NS6detail17trampoline_kernelINS0_14default_configENS1_21merge_config_selectorINS0_5tupleIJffEEENS0_10empty_typeEEEZNS1_10merge_implIS3_NS0_12zip_iteratorINS5_IJN6thrust23THRUST_200600_302600_NS6detail15normal_iteratorINSC_10device_ptrIKfEEEESI_EEEEESK_NSA_INS5_IJNSE_INSF_IfEEEESM_EEEEEPS7_SP_SP_NSC_11hip_rocprim7__merge17predicate_wrapperIffNSC_4lessIfEEEEEE10hipError_tPvRmT0_T1_T2_T3_T4_T5_mmT6_P12ihipStream_tbEUlT_E0_NS1_11comp_targetILNS1_3genE0ELNS1_11target_archE4294967295ELNS1_3gpuE0ELNS1_3repE0EEENS1_30default_config_static_selectorELNS0_4arch9wavefront6targetE0EEEvS10_.has_recursion, 0
	.set _ZN7rocprim17ROCPRIM_400000_NS6detail17trampoline_kernelINS0_14default_configENS1_21merge_config_selectorINS0_5tupleIJffEEENS0_10empty_typeEEEZNS1_10merge_implIS3_NS0_12zip_iteratorINS5_IJN6thrust23THRUST_200600_302600_NS6detail15normal_iteratorINSC_10device_ptrIKfEEEESI_EEEEESK_NSA_INS5_IJNSE_INSF_IfEEEESM_EEEEEPS7_SP_SP_NSC_11hip_rocprim7__merge17predicate_wrapperIffNSC_4lessIfEEEEEE10hipError_tPvRmT0_T1_T2_T3_T4_T5_mmT6_P12ihipStream_tbEUlT_E0_NS1_11comp_targetILNS1_3genE0ELNS1_11target_archE4294967295ELNS1_3gpuE0ELNS1_3repE0EEENS1_30default_config_static_selectorELNS0_4arch9wavefront6targetE0EEEvS10_.has_indirect_call, 0
	.section	.AMDGPU.csdata,"",@progbits
; Kernel info:
; codeLenInByte = 3564
; TotalNumSgprs: 28
; NumVgprs: 36
; ScratchSize: 0
; MemoryBound: 0
; FloatMode: 240
; IeeeMode: 1
; LDSByteSize: 14352 bytes/workgroup (compile time only)
; SGPRBlocks: 0
; VGPRBlocks: 2
; NumSGPRsForWavesPerEU: 28
; NumVGPRsForWavesPerEU: 36
; NamedBarCnt: 0
; Occupancy: 16
; WaveLimiterHint : 1
; COMPUTE_PGM_RSRC2:SCRATCH_EN: 0
; COMPUTE_PGM_RSRC2:USER_SGPR: 2
; COMPUTE_PGM_RSRC2:TRAP_HANDLER: 0
; COMPUTE_PGM_RSRC2:TGID_X_EN: 1
; COMPUTE_PGM_RSRC2:TGID_Y_EN: 0
; COMPUTE_PGM_RSRC2:TGID_Z_EN: 0
; COMPUTE_PGM_RSRC2:TIDIG_COMP_CNT: 0
	.section	.text._ZN7rocprim17ROCPRIM_400000_NS6detail17trampoline_kernelINS0_14default_configENS1_21merge_config_selectorINS0_5tupleIJffEEENS0_10empty_typeEEEZNS1_10merge_implIS3_NS0_12zip_iteratorINS5_IJN6thrust23THRUST_200600_302600_NS6detail15normal_iteratorINSC_10device_ptrIKfEEEESI_EEEEESK_NSA_INS5_IJNSE_INSF_IfEEEESM_EEEEEPS7_SP_SP_NSC_11hip_rocprim7__merge17predicate_wrapperIffNSC_4lessIfEEEEEE10hipError_tPvRmT0_T1_T2_T3_T4_T5_mmT6_P12ihipStream_tbEUlT_E0_NS1_11comp_targetILNS1_3genE5ELNS1_11target_archE942ELNS1_3gpuE9ELNS1_3repE0EEENS1_30default_config_static_selectorELNS0_4arch9wavefront6targetE0EEEvS10_,"axG",@progbits,_ZN7rocprim17ROCPRIM_400000_NS6detail17trampoline_kernelINS0_14default_configENS1_21merge_config_selectorINS0_5tupleIJffEEENS0_10empty_typeEEEZNS1_10merge_implIS3_NS0_12zip_iteratorINS5_IJN6thrust23THRUST_200600_302600_NS6detail15normal_iteratorINSC_10device_ptrIKfEEEESI_EEEEESK_NSA_INS5_IJNSE_INSF_IfEEEESM_EEEEEPS7_SP_SP_NSC_11hip_rocprim7__merge17predicate_wrapperIffNSC_4lessIfEEEEEE10hipError_tPvRmT0_T1_T2_T3_T4_T5_mmT6_P12ihipStream_tbEUlT_E0_NS1_11comp_targetILNS1_3genE5ELNS1_11target_archE942ELNS1_3gpuE9ELNS1_3repE0EEENS1_30default_config_static_selectorELNS0_4arch9wavefront6targetE0EEEvS10_,comdat
	.protected	_ZN7rocprim17ROCPRIM_400000_NS6detail17trampoline_kernelINS0_14default_configENS1_21merge_config_selectorINS0_5tupleIJffEEENS0_10empty_typeEEEZNS1_10merge_implIS3_NS0_12zip_iteratorINS5_IJN6thrust23THRUST_200600_302600_NS6detail15normal_iteratorINSC_10device_ptrIKfEEEESI_EEEEESK_NSA_INS5_IJNSE_INSF_IfEEEESM_EEEEEPS7_SP_SP_NSC_11hip_rocprim7__merge17predicate_wrapperIffNSC_4lessIfEEEEEE10hipError_tPvRmT0_T1_T2_T3_T4_T5_mmT6_P12ihipStream_tbEUlT_E0_NS1_11comp_targetILNS1_3genE5ELNS1_11target_archE942ELNS1_3gpuE9ELNS1_3repE0EEENS1_30default_config_static_selectorELNS0_4arch9wavefront6targetE0EEEvS10_ ; -- Begin function _ZN7rocprim17ROCPRIM_400000_NS6detail17trampoline_kernelINS0_14default_configENS1_21merge_config_selectorINS0_5tupleIJffEEENS0_10empty_typeEEEZNS1_10merge_implIS3_NS0_12zip_iteratorINS5_IJN6thrust23THRUST_200600_302600_NS6detail15normal_iteratorINSC_10device_ptrIKfEEEESI_EEEEESK_NSA_INS5_IJNSE_INSF_IfEEEESM_EEEEEPS7_SP_SP_NSC_11hip_rocprim7__merge17predicate_wrapperIffNSC_4lessIfEEEEEE10hipError_tPvRmT0_T1_T2_T3_T4_T5_mmT6_P12ihipStream_tbEUlT_E0_NS1_11comp_targetILNS1_3genE5ELNS1_11target_archE942ELNS1_3gpuE9ELNS1_3repE0EEENS1_30default_config_static_selectorELNS0_4arch9wavefront6targetE0EEEvS10_
	.globl	_ZN7rocprim17ROCPRIM_400000_NS6detail17trampoline_kernelINS0_14default_configENS1_21merge_config_selectorINS0_5tupleIJffEEENS0_10empty_typeEEEZNS1_10merge_implIS3_NS0_12zip_iteratorINS5_IJN6thrust23THRUST_200600_302600_NS6detail15normal_iteratorINSC_10device_ptrIKfEEEESI_EEEEESK_NSA_INS5_IJNSE_INSF_IfEEEESM_EEEEEPS7_SP_SP_NSC_11hip_rocprim7__merge17predicate_wrapperIffNSC_4lessIfEEEEEE10hipError_tPvRmT0_T1_T2_T3_T4_T5_mmT6_P12ihipStream_tbEUlT_E0_NS1_11comp_targetILNS1_3genE5ELNS1_11target_archE942ELNS1_3gpuE9ELNS1_3repE0EEENS1_30default_config_static_selectorELNS0_4arch9wavefront6targetE0EEEvS10_
	.p2align	8
	.type	_ZN7rocprim17ROCPRIM_400000_NS6detail17trampoline_kernelINS0_14default_configENS1_21merge_config_selectorINS0_5tupleIJffEEENS0_10empty_typeEEEZNS1_10merge_implIS3_NS0_12zip_iteratorINS5_IJN6thrust23THRUST_200600_302600_NS6detail15normal_iteratorINSC_10device_ptrIKfEEEESI_EEEEESK_NSA_INS5_IJNSE_INSF_IfEEEESM_EEEEEPS7_SP_SP_NSC_11hip_rocprim7__merge17predicate_wrapperIffNSC_4lessIfEEEEEE10hipError_tPvRmT0_T1_T2_T3_T4_T5_mmT6_P12ihipStream_tbEUlT_E0_NS1_11comp_targetILNS1_3genE5ELNS1_11target_archE942ELNS1_3gpuE9ELNS1_3repE0EEENS1_30default_config_static_selectorELNS0_4arch9wavefront6targetE0EEEvS10_,@function
_ZN7rocprim17ROCPRIM_400000_NS6detail17trampoline_kernelINS0_14default_configENS1_21merge_config_selectorINS0_5tupleIJffEEENS0_10empty_typeEEEZNS1_10merge_implIS3_NS0_12zip_iteratorINS5_IJN6thrust23THRUST_200600_302600_NS6detail15normal_iteratorINSC_10device_ptrIKfEEEESI_EEEEESK_NSA_INS5_IJNSE_INSF_IfEEEESM_EEEEEPS7_SP_SP_NSC_11hip_rocprim7__merge17predicate_wrapperIffNSC_4lessIfEEEEEE10hipError_tPvRmT0_T1_T2_T3_T4_T5_mmT6_P12ihipStream_tbEUlT_E0_NS1_11comp_targetILNS1_3genE5ELNS1_11target_archE942ELNS1_3gpuE9ELNS1_3repE0EEENS1_30default_config_static_selectorELNS0_4arch9wavefront6targetE0EEEvS10_: ; @_ZN7rocprim17ROCPRIM_400000_NS6detail17trampoline_kernelINS0_14default_configENS1_21merge_config_selectorINS0_5tupleIJffEEENS0_10empty_typeEEEZNS1_10merge_implIS3_NS0_12zip_iteratorINS5_IJN6thrust23THRUST_200600_302600_NS6detail15normal_iteratorINSC_10device_ptrIKfEEEESI_EEEEESK_NSA_INS5_IJNSE_INSF_IfEEEESM_EEEEEPS7_SP_SP_NSC_11hip_rocprim7__merge17predicate_wrapperIffNSC_4lessIfEEEEEE10hipError_tPvRmT0_T1_T2_T3_T4_T5_mmT6_P12ihipStream_tbEUlT_E0_NS1_11comp_targetILNS1_3genE5ELNS1_11target_archE942ELNS1_3gpuE9ELNS1_3repE0EEENS1_30default_config_static_selectorELNS0_4arch9wavefront6targetE0EEEvS10_
; %bb.0:
	.section	.rodata,"a",@progbits
	.p2align	6, 0x0
	.amdhsa_kernel _ZN7rocprim17ROCPRIM_400000_NS6detail17trampoline_kernelINS0_14default_configENS1_21merge_config_selectorINS0_5tupleIJffEEENS0_10empty_typeEEEZNS1_10merge_implIS3_NS0_12zip_iteratorINS5_IJN6thrust23THRUST_200600_302600_NS6detail15normal_iteratorINSC_10device_ptrIKfEEEESI_EEEEESK_NSA_INS5_IJNSE_INSF_IfEEEESM_EEEEEPS7_SP_SP_NSC_11hip_rocprim7__merge17predicate_wrapperIffNSC_4lessIfEEEEEE10hipError_tPvRmT0_T1_T2_T3_T4_T5_mmT6_P12ihipStream_tbEUlT_E0_NS1_11comp_targetILNS1_3genE5ELNS1_11target_archE942ELNS1_3gpuE9ELNS1_3repE0EEENS1_30default_config_static_selectorELNS0_4arch9wavefront6targetE0EEEvS10_
		.amdhsa_group_segment_fixed_size 0
		.amdhsa_private_segment_fixed_size 0
		.amdhsa_kernarg_size 112
		.amdhsa_user_sgpr_count 2
		.amdhsa_user_sgpr_dispatch_ptr 0
		.amdhsa_user_sgpr_queue_ptr 0
		.amdhsa_user_sgpr_kernarg_segment_ptr 1
		.amdhsa_user_sgpr_dispatch_id 0
		.amdhsa_user_sgpr_kernarg_preload_length 0
		.amdhsa_user_sgpr_kernarg_preload_offset 0
		.amdhsa_user_sgpr_private_segment_size 0
		.amdhsa_wavefront_size32 1
		.amdhsa_uses_dynamic_stack 0
		.amdhsa_enable_private_segment 0
		.amdhsa_system_sgpr_workgroup_id_x 1
		.amdhsa_system_sgpr_workgroup_id_y 0
		.amdhsa_system_sgpr_workgroup_id_z 0
		.amdhsa_system_sgpr_workgroup_info 0
		.amdhsa_system_vgpr_workitem_id 0
		.amdhsa_next_free_vgpr 1
		.amdhsa_next_free_sgpr 1
		.amdhsa_named_barrier_count 0
		.amdhsa_reserve_vcc 0
		.amdhsa_float_round_mode_32 0
		.amdhsa_float_round_mode_16_64 0
		.amdhsa_float_denorm_mode_32 3
		.amdhsa_float_denorm_mode_16_64 3
		.amdhsa_fp16_overflow 0
		.amdhsa_memory_ordered 1
		.amdhsa_forward_progress 1
		.amdhsa_inst_pref_size 0
		.amdhsa_round_robin_scheduling 0
		.amdhsa_exception_fp_ieee_invalid_op 0
		.amdhsa_exception_fp_denorm_src 0
		.amdhsa_exception_fp_ieee_div_zero 0
		.amdhsa_exception_fp_ieee_overflow 0
		.amdhsa_exception_fp_ieee_underflow 0
		.amdhsa_exception_fp_ieee_inexact 0
		.amdhsa_exception_int_div_zero 0
	.end_amdhsa_kernel
	.section	.text._ZN7rocprim17ROCPRIM_400000_NS6detail17trampoline_kernelINS0_14default_configENS1_21merge_config_selectorINS0_5tupleIJffEEENS0_10empty_typeEEEZNS1_10merge_implIS3_NS0_12zip_iteratorINS5_IJN6thrust23THRUST_200600_302600_NS6detail15normal_iteratorINSC_10device_ptrIKfEEEESI_EEEEESK_NSA_INS5_IJNSE_INSF_IfEEEESM_EEEEEPS7_SP_SP_NSC_11hip_rocprim7__merge17predicate_wrapperIffNSC_4lessIfEEEEEE10hipError_tPvRmT0_T1_T2_T3_T4_T5_mmT6_P12ihipStream_tbEUlT_E0_NS1_11comp_targetILNS1_3genE5ELNS1_11target_archE942ELNS1_3gpuE9ELNS1_3repE0EEENS1_30default_config_static_selectorELNS0_4arch9wavefront6targetE0EEEvS10_,"axG",@progbits,_ZN7rocprim17ROCPRIM_400000_NS6detail17trampoline_kernelINS0_14default_configENS1_21merge_config_selectorINS0_5tupleIJffEEENS0_10empty_typeEEEZNS1_10merge_implIS3_NS0_12zip_iteratorINS5_IJN6thrust23THRUST_200600_302600_NS6detail15normal_iteratorINSC_10device_ptrIKfEEEESI_EEEEESK_NSA_INS5_IJNSE_INSF_IfEEEESM_EEEEEPS7_SP_SP_NSC_11hip_rocprim7__merge17predicate_wrapperIffNSC_4lessIfEEEEEE10hipError_tPvRmT0_T1_T2_T3_T4_T5_mmT6_P12ihipStream_tbEUlT_E0_NS1_11comp_targetILNS1_3genE5ELNS1_11target_archE942ELNS1_3gpuE9ELNS1_3repE0EEENS1_30default_config_static_selectorELNS0_4arch9wavefront6targetE0EEEvS10_,comdat
.Lfunc_end69:
	.size	_ZN7rocprim17ROCPRIM_400000_NS6detail17trampoline_kernelINS0_14default_configENS1_21merge_config_selectorINS0_5tupleIJffEEENS0_10empty_typeEEEZNS1_10merge_implIS3_NS0_12zip_iteratorINS5_IJN6thrust23THRUST_200600_302600_NS6detail15normal_iteratorINSC_10device_ptrIKfEEEESI_EEEEESK_NSA_INS5_IJNSE_INSF_IfEEEESM_EEEEEPS7_SP_SP_NSC_11hip_rocprim7__merge17predicate_wrapperIffNSC_4lessIfEEEEEE10hipError_tPvRmT0_T1_T2_T3_T4_T5_mmT6_P12ihipStream_tbEUlT_E0_NS1_11comp_targetILNS1_3genE5ELNS1_11target_archE942ELNS1_3gpuE9ELNS1_3repE0EEENS1_30default_config_static_selectorELNS0_4arch9wavefront6targetE0EEEvS10_, .Lfunc_end69-_ZN7rocprim17ROCPRIM_400000_NS6detail17trampoline_kernelINS0_14default_configENS1_21merge_config_selectorINS0_5tupleIJffEEENS0_10empty_typeEEEZNS1_10merge_implIS3_NS0_12zip_iteratorINS5_IJN6thrust23THRUST_200600_302600_NS6detail15normal_iteratorINSC_10device_ptrIKfEEEESI_EEEEESK_NSA_INS5_IJNSE_INSF_IfEEEESM_EEEEEPS7_SP_SP_NSC_11hip_rocprim7__merge17predicate_wrapperIffNSC_4lessIfEEEEEE10hipError_tPvRmT0_T1_T2_T3_T4_T5_mmT6_P12ihipStream_tbEUlT_E0_NS1_11comp_targetILNS1_3genE5ELNS1_11target_archE942ELNS1_3gpuE9ELNS1_3repE0EEENS1_30default_config_static_selectorELNS0_4arch9wavefront6targetE0EEEvS10_
                                        ; -- End function
	.set _ZN7rocprim17ROCPRIM_400000_NS6detail17trampoline_kernelINS0_14default_configENS1_21merge_config_selectorINS0_5tupleIJffEEENS0_10empty_typeEEEZNS1_10merge_implIS3_NS0_12zip_iteratorINS5_IJN6thrust23THRUST_200600_302600_NS6detail15normal_iteratorINSC_10device_ptrIKfEEEESI_EEEEESK_NSA_INS5_IJNSE_INSF_IfEEEESM_EEEEEPS7_SP_SP_NSC_11hip_rocprim7__merge17predicate_wrapperIffNSC_4lessIfEEEEEE10hipError_tPvRmT0_T1_T2_T3_T4_T5_mmT6_P12ihipStream_tbEUlT_E0_NS1_11comp_targetILNS1_3genE5ELNS1_11target_archE942ELNS1_3gpuE9ELNS1_3repE0EEENS1_30default_config_static_selectorELNS0_4arch9wavefront6targetE0EEEvS10_.num_vgpr, 0
	.set _ZN7rocprim17ROCPRIM_400000_NS6detail17trampoline_kernelINS0_14default_configENS1_21merge_config_selectorINS0_5tupleIJffEEENS0_10empty_typeEEEZNS1_10merge_implIS3_NS0_12zip_iteratorINS5_IJN6thrust23THRUST_200600_302600_NS6detail15normal_iteratorINSC_10device_ptrIKfEEEESI_EEEEESK_NSA_INS5_IJNSE_INSF_IfEEEESM_EEEEEPS7_SP_SP_NSC_11hip_rocprim7__merge17predicate_wrapperIffNSC_4lessIfEEEEEE10hipError_tPvRmT0_T1_T2_T3_T4_T5_mmT6_P12ihipStream_tbEUlT_E0_NS1_11comp_targetILNS1_3genE5ELNS1_11target_archE942ELNS1_3gpuE9ELNS1_3repE0EEENS1_30default_config_static_selectorELNS0_4arch9wavefront6targetE0EEEvS10_.num_agpr, 0
	.set _ZN7rocprim17ROCPRIM_400000_NS6detail17trampoline_kernelINS0_14default_configENS1_21merge_config_selectorINS0_5tupleIJffEEENS0_10empty_typeEEEZNS1_10merge_implIS3_NS0_12zip_iteratorINS5_IJN6thrust23THRUST_200600_302600_NS6detail15normal_iteratorINSC_10device_ptrIKfEEEESI_EEEEESK_NSA_INS5_IJNSE_INSF_IfEEEESM_EEEEEPS7_SP_SP_NSC_11hip_rocprim7__merge17predicate_wrapperIffNSC_4lessIfEEEEEE10hipError_tPvRmT0_T1_T2_T3_T4_T5_mmT6_P12ihipStream_tbEUlT_E0_NS1_11comp_targetILNS1_3genE5ELNS1_11target_archE942ELNS1_3gpuE9ELNS1_3repE0EEENS1_30default_config_static_selectorELNS0_4arch9wavefront6targetE0EEEvS10_.numbered_sgpr, 0
	.set _ZN7rocprim17ROCPRIM_400000_NS6detail17trampoline_kernelINS0_14default_configENS1_21merge_config_selectorINS0_5tupleIJffEEENS0_10empty_typeEEEZNS1_10merge_implIS3_NS0_12zip_iteratorINS5_IJN6thrust23THRUST_200600_302600_NS6detail15normal_iteratorINSC_10device_ptrIKfEEEESI_EEEEESK_NSA_INS5_IJNSE_INSF_IfEEEESM_EEEEEPS7_SP_SP_NSC_11hip_rocprim7__merge17predicate_wrapperIffNSC_4lessIfEEEEEE10hipError_tPvRmT0_T1_T2_T3_T4_T5_mmT6_P12ihipStream_tbEUlT_E0_NS1_11comp_targetILNS1_3genE5ELNS1_11target_archE942ELNS1_3gpuE9ELNS1_3repE0EEENS1_30default_config_static_selectorELNS0_4arch9wavefront6targetE0EEEvS10_.num_named_barrier, 0
	.set _ZN7rocprim17ROCPRIM_400000_NS6detail17trampoline_kernelINS0_14default_configENS1_21merge_config_selectorINS0_5tupleIJffEEENS0_10empty_typeEEEZNS1_10merge_implIS3_NS0_12zip_iteratorINS5_IJN6thrust23THRUST_200600_302600_NS6detail15normal_iteratorINSC_10device_ptrIKfEEEESI_EEEEESK_NSA_INS5_IJNSE_INSF_IfEEEESM_EEEEEPS7_SP_SP_NSC_11hip_rocprim7__merge17predicate_wrapperIffNSC_4lessIfEEEEEE10hipError_tPvRmT0_T1_T2_T3_T4_T5_mmT6_P12ihipStream_tbEUlT_E0_NS1_11comp_targetILNS1_3genE5ELNS1_11target_archE942ELNS1_3gpuE9ELNS1_3repE0EEENS1_30default_config_static_selectorELNS0_4arch9wavefront6targetE0EEEvS10_.private_seg_size, 0
	.set _ZN7rocprim17ROCPRIM_400000_NS6detail17trampoline_kernelINS0_14default_configENS1_21merge_config_selectorINS0_5tupleIJffEEENS0_10empty_typeEEEZNS1_10merge_implIS3_NS0_12zip_iteratorINS5_IJN6thrust23THRUST_200600_302600_NS6detail15normal_iteratorINSC_10device_ptrIKfEEEESI_EEEEESK_NSA_INS5_IJNSE_INSF_IfEEEESM_EEEEEPS7_SP_SP_NSC_11hip_rocprim7__merge17predicate_wrapperIffNSC_4lessIfEEEEEE10hipError_tPvRmT0_T1_T2_T3_T4_T5_mmT6_P12ihipStream_tbEUlT_E0_NS1_11comp_targetILNS1_3genE5ELNS1_11target_archE942ELNS1_3gpuE9ELNS1_3repE0EEENS1_30default_config_static_selectorELNS0_4arch9wavefront6targetE0EEEvS10_.uses_vcc, 0
	.set _ZN7rocprim17ROCPRIM_400000_NS6detail17trampoline_kernelINS0_14default_configENS1_21merge_config_selectorINS0_5tupleIJffEEENS0_10empty_typeEEEZNS1_10merge_implIS3_NS0_12zip_iteratorINS5_IJN6thrust23THRUST_200600_302600_NS6detail15normal_iteratorINSC_10device_ptrIKfEEEESI_EEEEESK_NSA_INS5_IJNSE_INSF_IfEEEESM_EEEEEPS7_SP_SP_NSC_11hip_rocprim7__merge17predicate_wrapperIffNSC_4lessIfEEEEEE10hipError_tPvRmT0_T1_T2_T3_T4_T5_mmT6_P12ihipStream_tbEUlT_E0_NS1_11comp_targetILNS1_3genE5ELNS1_11target_archE942ELNS1_3gpuE9ELNS1_3repE0EEENS1_30default_config_static_selectorELNS0_4arch9wavefront6targetE0EEEvS10_.uses_flat_scratch, 0
	.set _ZN7rocprim17ROCPRIM_400000_NS6detail17trampoline_kernelINS0_14default_configENS1_21merge_config_selectorINS0_5tupleIJffEEENS0_10empty_typeEEEZNS1_10merge_implIS3_NS0_12zip_iteratorINS5_IJN6thrust23THRUST_200600_302600_NS6detail15normal_iteratorINSC_10device_ptrIKfEEEESI_EEEEESK_NSA_INS5_IJNSE_INSF_IfEEEESM_EEEEEPS7_SP_SP_NSC_11hip_rocprim7__merge17predicate_wrapperIffNSC_4lessIfEEEEEE10hipError_tPvRmT0_T1_T2_T3_T4_T5_mmT6_P12ihipStream_tbEUlT_E0_NS1_11comp_targetILNS1_3genE5ELNS1_11target_archE942ELNS1_3gpuE9ELNS1_3repE0EEENS1_30default_config_static_selectorELNS0_4arch9wavefront6targetE0EEEvS10_.has_dyn_sized_stack, 0
	.set _ZN7rocprim17ROCPRIM_400000_NS6detail17trampoline_kernelINS0_14default_configENS1_21merge_config_selectorINS0_5tupleIJffEEENS0_10empty_typeEEEZNS1_10merge_implIS3_NS0_12zip_iteratorINS5_IJN6thrust23THRUST_200600_302600_NS6detail15normal_iteratorINSC_10device_ptrIKfEEEESI_EEEEESK_NSA_INS5_IJNSE_INSF_IfEEEESM_EEEEEPS7_SP_SP_NSC_11hip_rocprim7__merge17predicate_wrapperIffNSC_4lessIfEEEEEE10hipError_tPvRmT0_T1_T2_T3_T4_T5_mmT6_P12ihipStream_tbEUlT_E0_NS1_11comp_targetILNS1_3genE5ELNS1_11target_archE942ELNS1_3gpuE9ELNS1_3repE0EEENS1_30default_config_static_selectorELNS0_4arch9wavefront6targetE0EEEvS10_.has_recursion, 0
	.set _ZN7rocprim17ROCPRIM_400000_NS6detail17trampoline_kernelINS0_14default_configENS1_21merge_config_selectorINS0_5tupleIJffEEENS0_10empty_typeEEEZNS1_10merge_implIS3_NS0_12zip_iteratorINS5_IJN6thrust23THRUST_200600_302600_NS6detail15normal_iteratorINSC_10device_ptrIKfEEEESI_EEEEESK_NSA_INS5_IJNSE_INSF_IfEEEESM_EEEEEPS7_SP_SP_NSC_11hip_rocprim7__merge17predicate_wrapperIffNSC_4lessIfEEEEEE10hipError_tPvRmT0_T1_T2_T3_T4_T5_mmT6_P12ihipStream_tbEUlT_E0_NS1_11comp_targetILNS1_3genE5ELNS1_11target_archE942ELNS1_3gpuE9ELNS1_3repE0EEENS1_30default_config_static_selectorELNS0_4arch9wavefront6targetE0EEEvS10_.has_indirect_call, 0
	.section	.AMDGPU.csdata,"",@progbits
; Kernel info:
; codeLenInByte = 0
; TotalNumSgprs: 0
; NumVgprs: 0
; ScratchSize: 0
; MemoryBound: 0
; FloatMode: 240
; IeeeMode: 1
; LDSByteSize: 0 bytes/workgroup (compile time only)
; SGPRBlocks: 0
; VGPRBlocks: 0
; NumSGPRsForWavesPerEU: 1
; NumVGPRsForWavesPerEU: 1
; NamedBarCnt: 0
; Occupancy: 16
; WaveLimiterHint : 0
; COMPUTE_PGM_RSRC2:SCRATCH_EN: 0
; COMPUTE_PGM_RSRC2:USER_SGPR: 2
; COMPUTE_PGM_RSRC2:TRAP_HANDLER: 0
; COMPUTE_PGM_RSRC2:TGID_X_EN: 1
; COMPUTE_PGM_RSRC2:TGID_Y_EN: 0
; COMPUTE_PGM_RSRC2:TGID_Z_EN: 0
; COMPUTE_PGM_RSRC2:TIDIG_COMP_CNT: 0
	.section	.text._ZN7rocprim17ROCPRIM_400000_NS6detail17trampoline_kernelINS0_14default_configENS1_21merge_config_selectorINS0_5tupleIJffEEENS0_10empty_typeEEEZNS1_10merge_implIS3_NS0_12zip_iteratorINS5_IJN6thrust23THRUST_200600_302600_NS6detail15normal_iteratorINSC_10device_ptrIKfEEEESI_EEEEESK_NSA_INS5_IJNSE_INSF_IfEEEESM_EEEEEPS7_SP_SP_NSC_11hip_rocprim7__merge17predicate_wrapperIffNSC_4lessIfEEEEEE10hipError_tPvRmT0_T1_T2_T3_T4_T5_mmT6_P12ihipStream_tbEUlT_E0_NS1_11comp_targetILNS1_3genE4ELNS1_11target_archE910ELNS1_3gpuE8ELNS1_3repE0EEENS1_30default_config_static_selectorELNS0_4arch9wavefront6targetE0EEEvS10_,"axG",@progbits,_ZN7rocprim17ROCPRIM_400000_NS6detail17trampoline_kernelINS0_14default_configENS1_21merge_config_selectorINS0_5tupleIJffEEENS0_10empty_typeEEEZNS1_10merge_implIS3_NS0_12zip_iteratorINS5_IJN6thrust23THRUST_200600_302600_NS6detail15normal_iteratorINSC_10device_ptrIKfEEEESI_EEEEESK_NSA_INS5_IJNSE_INSF_IfEEEESM_EEEEEPS7_SP_SP_NSC_11hip_rocprim7__merge17predicate_wrapperIffNSC_4lessIfEEEEEE10hipError_tPvRmT0_T1_T2_T3_T4_T5_mmT6_P12ihipStream_tbEUlT_E0_NS1_11comp_targetILNS1_3genE4ELNS1_11target_archE910ELNS1_3gpuE8ELNS1_3repE0EEENS1_30default_config_static_selectorELNS0_4arch9wavefront6targetE0EEEvS10_,comdat
	.protected	_ZN7rocprim17ROCPRIM_400000_NS6detail17trampoline_kernelINS0_14default_configENS1_21merge_config_selectorINS0_5tupleIJffEEENS0_10empty_typeEEEZNS1_10merge_implIS3_NS0_12zip_iteratorINS5_IJN6thrust23THRUST_200600_302600_NS6detail15normal_iteratorINSC_10device_ptrIKfEEEESI_EEEEESK_NSA_INS5_IJNSE_INSF_IfEEEESM_EEEEEPS7_SP_SP_NSC_11hip_rocprim7__merge17predicate_wrapperIffNSC_4lessIfEEEEEE10hipError_tPvRmT0_T1_T2_T3_T4_T5_mmT6_P12ihipStream_tbEUlT_E0_NS1_11comp_targetILNS1_3genE4ELNS1_11target_archE910ELNS1_3gpuE8ELNS1_3repE0EEENS1_30default_config_static_selectorELNS0_4arch9wavefront6targetE0EEEvS10_ ; -- Begin function _ZN7rocprim17ROCPRIM_400000_NS6detail17trampoline_kernelINS0_14default_configENS1_21merge_config_selectorINS0_5tupleIJffEEENS0_10empty_typeEEEZNS1_10merge_implIS3_NS0_12zip_iteratorINS5_IJN6thrust23THRUST_200600_302600_NS6detail15normal_iteratorINSC_10device_ptrIKfEEEESI_EEEEESK_NSA_INS5_IJNSE_INSF_IfEEEESM_EEEEEPS7_SP_SP_NSC_11hip_rocprim7__merge17predicate_wrapperIffNSC_4lessIfEEEEEE10hipError_tPvRmT0_T1_T2_T3_T4_T5_mmT6_P12ihipStream_tbEUlT_E0_NS1_11comp_targetILNS1_3genE4ELNS1_11target_archE910ELNS1_3gpuE8ELNS1_3repE0EEENS1_30default_config_static_selectorELNS0_4arch9wavefront6targetE0EEEvS10_
	.globl	_ZN7rocprim17ROCPRIM_400000_NS6detail17trampoline_kernelINS0_14default_configENS1_21merge_config_selectorINS0_5tupleIJffEEENS0_10empty_typeEEEZNS1_10merge_implIS3_NS0_12zip_iteratorINS5_IJN6thrust23THRUST_200600_302600_NS6detail15normal_iteratorINSC_10device_ptrIKfEEEESI_EEEEESK_NSA_INS5_IJNSE_INSF_IfEEEESM_EEEEEPS7_SP_SP_NSC_11hip_rocprim7__merge17predicate_wrapperIffNSC_4lessIfEEEEEE10hipError_tPvRmT0_T1_T2_T3_T4_T5_mmT6_P12ihipStream_tbEUlT_E0_NS1_11comp_targetILNS1_3genE4ELNS1_11target_archE910ELNS1_3gpuE8ELNS1_3repE0EEENS1_30default_config_static_selectorELNS0_4arch9wavefront6targetE0EEEvS10_
	.p2align	8
	.type	_ZN7rocprim17ROCPRIM_400000_NS6detail17trampoline_kernelINS0_14default_configENS1_21merge_config_selectorINS0_5tupleIJffEEENS0_10empty_typeEEEZNS1_10merge_implIS3_NS0_12zip_iteratorINS5_IJN6thrust23THRUST_200600_302600_NS6detail15normal_iteratorINSC_10device_ptrIKfEEEESI_EEEEESK_NSA_INS5_IJNSE_INSF_IfEEEESM_EEEEEPS7_SP_SP_NSC_11hip_rocprim7__merge17predicate_wrapperIffNSC_4lessIfEEEEEE10hipError_tPvRmT0_T1_T2_T3_T4_T5_mmT6_P12ihipStream_tbEUlT_E0_NS1_11comp_targetILNS1_3genE4ELNS1_11target_archE910ELNS1_3gpuE8ELNS1_3repE0EEENS1_30default_config_static_selectorELNS0_4arch9wavefront6targetE0EEEvS10_,@function
_ZN7rocprim17ROCPRIM_400000_NS6detail17trampoline_kernelINS0_14default_configENS1_21merge_config_selectorINS0_5tupleIJffEEENS0_10empty_typeEEEZNS1_10merge_implIS3_NS0_12zip_iteratorINS5_IJN6thrust23THRUST_200600_302600_NS6detail15normal_iteratorINSC_10device_ptrIKfEEEESI_EEEEESK_NSA_INS5_IJNSE_INSF_IfEEEESM_EEEEEPS7_SP_SP_NSC_11hip_rocprim7__merge17predicate_wrapperIffNSC_4lessIfEEEEEE10hipError_tPvRmT0_T1_T2_T3_T4_T5_mmT6_P12ihipStream_tbEUlT_E0_NS1_11comp_targetILNS1_3genE4ELNS1_11target_archE910ELNS1_3gpuE8ELNS1_3repE0EEENS1_30default_config_static_selectorELNS0_4arch9wavefront6targetE0EEEvS10_: ; @_ZN7rocprim17ROCPRIM_400000_NS6detail17trampoline_kernelINS0_14default_configENS1_21merge_config_selectorINS0_5tupleIJffEEENS0_10empty_typeEEEZNS1_10merge_implIS3_NS0_12zip_iteratorINS5_IJN6thrust23THRUST_200600_302600_NS6detail15normal_iteratorINSC_10device_ptrIKfEEEESI_EEEEESK_NSA_INS5_IJNSE_INSF_IfEEEESM_EEEEEPS7_SP_SP_NSC_11hip_rocprim7__merge17predicate_wrapperIffNSC_4lessIfEEEEEE10hipError_tPvRmT0_T1_T2_T3_T4_T5_mmT6_P12ihipStream_tbEUlT_E0_NS1_11comp_targetILNS1_3genE4ELNS1_11target_archE910ELNS1_3gpuE8ELNS1_3repE0EEENS1_30default_config_static_selectorELNS0_4arch9wavefront6targetE0EEEvS10_
; %bb.0:
	.section	.rodata,"a",@progbits
	.p2align	6, 0x0
	.amdhsa_kernel _ZN7rocprim17ROCPRIM_400000_NS6detail17trampoline_kernelINS0_14default_configENS1_21merge_config_selectorINS0_5tupleIJffEEENS0_10empty_typeEEEZNS1_10merge_implIS3_NS0_12zip_iteratorINS5_IJN6thrust23THRUST_200600_302600_NS6detail15normal_iteratorINSC_10device_ptrIKfEEEESI_EEEEESK_NSA_INS5_IJNSE_INSF_IfEEEESM_EEEEEPS7_SP_SP_NSC_11hip_rocprim7__merge17predicate_wrapperIffNSC_4lessIfEEEEEE10hipError_tPvRmT0_T1_T2_T3_T4_T5_mmT6_P12ihipStream_tbEUlT_E0_NS1_11comp_targetILNS1_3genE4ELNS1_11target_archE910ELNS1_3gpuE8ELNS1_3repE0EEENS1_30default_config_static_selectorELNS0_4arch9wavefront6targetE0EEEvS10_
		.amdhsa_group_segment_fixed_size 0
		.amdhsa_private_segment_fixed_size 0
		.amdhsa_kernarg_size 112
		.amdhsa_user_sgpr_count 2
		.amdhsa_user_sgpr_dispatch_ptr 0
		.amdhsa_user_sgpr_queue_ptr 0
		.amdhsa_user_sgpr_kernarg_segment_ptr 1
		.amdhsa_user_sgpr_dispatch_id 0
		.amdhsa_user_sgpr_kernarg_preload_length 0
		.amdhsa_user_sgpr_kernarg_preload_offset 0
		.amdhsa_user_sgpr_private_segment_size 0
		.amdhsa_wavefront_size32 1
		.amdhsa_uses_dynamic_stack 0
		.amdhsa_enable_private_segment 0
		.amdhsa_system_sgpr_workgroup_id_x 1
		.amdhsa_system_sgpr_workgroup_id_y 0
		.amdhsa_system_sgpr_workgroup_id_z 0
		.amdhsa_system_sgpr_workgroup_info 0
		.amdhsa_system_vgpr_workitem_id 0
		.amdhsa_next_free_vgpr 1
		.amdhsa_next_free_sgpr 1
		.amdhsa_named_barrier_count 0
		.amdhsa_reserve_vcc 0
		.amdhsa_float_round_mode_32 0
		.amdhsa_float_round_mode_16_64 0
		.amdhsa_float_denorm_mode_32 3
		.amdhsa_float_denorm_mode_16_64 3
		.amdhsa_fp16_overflow 0
		.amdhsa_memory_ordered 1
		.amdhsa_forward_progress 1
		.amdhsa_inst_pref_size 0
		.amdhsa_round_robin_scheduling 0
		.amdhsa_exception_fp_ieee_invalid_op 0
		.amdhsa_exception_fp_denorm_src 0
		.amdhsa_exception_fp_ieee_div_zero 0
		.amdhsa_exception_fp_ieee_overflow 0
		.amdhsa_exception_fp_ieee_underflow 0
		.amdhsa_exception_fp_ieee_inexact 0
		.amdhsa_exception_int_div_zero 0
	.end_amdhsa_kernel
	.section	.text._ZN7rocprim17ROCPRIM_400000_NS6detail17trampoline_kernelINS0_14default_configENS1_21merge_config_selectorINS0_5tupleIJffEEENS0_10empty_typeEEEZNS1_10merge_implIS3_NS0_12zip_iteratorINS5_IJN6thrust23THRUST_200600_302600_NS6detail15normal_iteratorINSC_10device_ptrIKfEEEESI_EEEEESK_NSA_INS5_IJNSE_INSF_IfEEEESM_EEEEEPS7_SP_SP_NSC_11hip_rocprim7__merge17predicate_wrapperIffNSC_4lessIfEEEEEE10hipError_tPvRmT0_T1_T2_T3_T4_T5_mmT6_P12ihipStream_tbEUlT_E0_NS1_11comp_targetILNS1_3genE4ELNS1_11target_archE910ELNS1_3gpuE8ELNS1_3repE0EEENS1_30default_config_static_selectorELNS0_4arch9wavefront6targetE0EEEvS10_,"axG",@progbits,_ZN7rocprim17ROCPRIM_400000_NS6detail17trampoline_kernelINS0_14default_configENS1_21merge_config_selectorINS0_5tupleIJffEEENS0_10empty_typeEEEZNS1_10merge_implIS3_NS0_12zip_iteratorINS5_IJN6thrust23THRUST_200600_302600_NS6detail15normal_iteratorINSC_10device_ptrIKfEEEESI_EEEEESK_NSA_INS5_IJNSE_INSF_IfEEEESM_EEEEEPS7_SP_SP_NSC_11hip_rocprim7__merge17predicate_wrapperIffNSC_4lessIfEEEEEE10hipError_tPvRmT0_T1_T2_T3_T4_T5_mmT6_P12ihipStream_tbEUlT_E0_NS1_11comp_targetILNS1_3genE4ELNS1_11target_archE910ELNS1_3gpuE8ELNS1_3repE0EEENS1_30default_config_static_selectorELNS0_4arch9wavefront6targetE0EEEvS10_,comdat
.Lfunc_end70:
	.size	_ZN7rocprim17ROCPRIM_400000_NS6detail17trampoline_kernelINS0_14default_configENS1_21merge_config_selectorINS0_5tupleIJffEEENS0_10empty_typeEEEZNS1_10merge_implIS3_NS0_12zip_iteratorINS5_IJN6thrust23THRUST_200600_302600_NS6detail15normal_iteratorINSC_10device_ptrIKfEEEESI_EEEEESK_NSA_INS5_IJNSE_INSF_IfEEEESM_EEEEEPS7_SP_SP_NSC_11hip_rocprim7__merge17predicate_wrapperIffNSC_4lessIfEEEEEE10hipError_tPvRmT0_T1_T2_T3_T4_T5_mmT6_P12ihipStream_tbEUlT_E0_NS1_11comp_targetILNS1_3genE4ELNS1_11target_archE910ELNS1_3gpuE8ELNS1_3repE0EEENS1_30default_config_static_selectorELNS0_4arch9wavefront6targetE0EEEvS10_, .Lfunc_end70-_ZN7rocprim17ROCPRIM_400000_NS6detail17trampoline_kernelINS0_14default_configENS1_21merge_config_selectorINS0_5tupleIJffEEENS0_10empty_typeEEEZNS1_10merge_implIS3_NS0_12zip_iteratorINS5_IJN6thrust23THRUST_200600_302600_NS6detail15normal_iteratorINSC_10device_ptrIKfEEEESI_EEEEESK_NSA_INS5_IJNSE_INSF_IfEEEESM_EEEEEPS7_SP_SP_NSC_11hip_rocprim7__merge17predicate_wrapperIffNSC_4lessIfEEEEEE10hipError_tPvRmT0_T1_T2_T3_T4_T5_mmT6_P12ihipStream_tbEUlT_E0_NS1_11comp_targetILNS1_3genE4ELNS1_11target_archE910ELNS1_3gpuE8ELNS1_3repE0EEENS1_30default_config_static_selectorELNS0_4arch9wavefront6targetE0EEEvS10_
                                        ; -- End function
	.set _ZN7rocprim17ROCPRIM_400000_NS6detail17trampoline_kernelINS0_14default_configENS1_21merge_config_selectorINS0_5tupleIJffEEENS0_10empty_typeEEEZNS1_10merge_implIS3_NS0_12zip_iteratorINS5_IJN6thrust23THRUST_200600_302600_NS6detail15normal_iteratorINSC_10device_ptrIKfEEEESI_EEEEESK_NSA_INS5_IJNSE_INSF_IfEEEESM_EEEEEPS7_SP_SP_NSC_11hip_rocprim7__merge17predicate_wrapperIffNSC_4lessIfEEEEEE10hipError_tPvRmT0_T1_T2_T3_T4_T5_mmT6_P12ihipStream_tbEUlT_E0_NS1_11comp_targetILNS1_3genE4ELNS1_11target_archE910ELNS1_3gpuE8ELNS1_3repE0EEENS1_30default_config_static_selectorELNS0_4arch9wavefront6targetE0EEEvS10_.num_vgpr, 0
	.set _ZN7rocprim17ROCPRIM_400000_NS6detail17trampoline_kernelINS0_14default_configENS1_21merge_config_selectorINS0_5tupleIJffEEENS0_10empty_typeEEEZNS1_10merge_implIS3_NS0_12zip_iteratorINS5_IJN6thrust23THRUST_200600_302600_NS6detail15normal_iteratorINSC_10device_ptrIKfEEEESI_EEEEESK_NSA_INS5_IJNSE_INSF_IfEEEESM_EEEEEPS7_SP_SP_NSC_11hip_rocprim7__merge17predicate_wrapperIffNSC_4lessIfEEEEEE10hipError_tPvRmT0_T1_T2_T3_T4_T5_mmT6_P12ihipStream_tbEUlT_E0_NS1_11comp_targetILNS1_3genE4ELNS1_11target_archE910ELNS1_3gpuE8ELNS1_3repE0EEENS1_30default_config_static_selectorELNS0_4arch9wavefront6targetE0EEEvS10_.num_agpr, 0
	.set _ZN7rocprim17ROCPRIM_400000_NS6detail17trampoline_kernelINS0_14default_configENS1_21merge_config_selectorINS0_5tupleIJffEEENS0_10empty_typeEEEZNS1_10merge_implIS3_NS0_12zip_iteratorINS5_IJN6thrust23THRUST_200600_302600_NS6detail15normal_iteratorINSC_10device_ptrIKfEEEESI_EEEEESK_NSA_INS5_IJNSE_INSF_IfEEEESM_EEEEEPS7_SP_SP_NSC_11hip_rocprim7__merge17predicate_wrapperIffNSC_4lessIfEEEEEE10hipError_tPvRmT0_T1_T2_T3_T4_T5_mmT6_P12ihipStream_tbEUlT_E0_NS1_11comp_targetILNS1_3genE4ELNS1_11target_archE910ELNS1_3gpuE8ELNS1_3repE0EEENS1_30default_config_static_selectorELNS0_4arch9wavefront6targetE0EEEvS10_.numbered_sgpr, 0
	.set _ZN7rocprim17ROCPRIM_400000_NS6detail17trampoline_kernelINS0_14default_configENS1_21merge_config_selectorINS0_5tupleIJffEEENS0_10empty_typeEEEZNS1_10merge_implIS3_NS0_12zip_iteratorINS5_IJN6thrust23THRUST_200600_302600_NS6detail15normal_iteratorINSC_10device_ptrIKfEEEESI_EEEEESK_NSA_INS5_IJNSE_INSF_IfEEEESM_EEEEEPS7_SP_SP_NSC_11hip_rocprim7__merge17predicate_wrapperIffNSC_4lessIfEEEEEE10hipError_tPvRmT0_T1_T2_T3_T4_T5_mmT6_P12ihipStream_tbEUlT_E0_NS1_11comp_targetILNS1_3genE4ELNS1_11target_archE910ELNS1_3gpuE8ELNS1_3repE0EEENS1_30default_config_static_selectorELNS0_4arch9wavefront6targetE0EEEvS10_.num_named_barrier, 0
	.set _ZN7rocprim17ROCPRIM_400000_NS6detail17trampoline_kernelINS0_14default_configENS1_21merge_config_selectorINS0_5tupleIJffEEENS0_10empty_typeEEEZNS1_10merge_implIS3_NS0_12zip_iteratorINS5_IJN6thrust23THRUST_200600_302600_NS6detail15normal_iteratorINSC_10device_ptrIKfEEEESI_EEEEESK_NSA_INS5_IJNSE_INSF_IfEEEESM_EEEEEPS7_SP_SP_NSC_11hip_rocprim7__merge17predicate_wrapperIffNSC_4lessIfEEEEEE10hipError_tPvRmT0_T1_T2_T3_T4_T5_mmT6_P12ihipStream_tbEUlT_E0_NS1_11comp_targetILNS1_3genE4ELNS1_11target_archE910ELNS1_3gpuE8ELNS1_3repE0EEENS1_30default_config_static_selectorELNS0_4arch9wavefront6targetE0EEEvS10_.private_seg_size, 0
	.set _ZN7rocprim17ROCPRIM_400000_NS6detail17trampoline_kernelINS0_14default_configENS1_21merge_config_selectorINS0_5tupleIJffEEENS0_10empty_typeEEEZNS1_10merge_implIS3_NS0_12zip_iteratorINS5_IJN6thrust23THRUST_200600_302600_NS6detail15normal_iteratorINSC_10device_ptrIKfEEEESI_EEEEESK_NSA_INS5_IJNSE_INSF_IfEEEESM_EEEEEPS7_SP_SP_NSC_11hip_rocprim7__merge17predicate_wrapperIffNSC_4lessIfEEEEEE10hipError_tPvRmT0_T1_T2_T3_T4_T5_mmT6_P12ihipStream_tbEUlT_E0_NS1_11comp_targetILNS1_3genE4ELNS1_11target_archE910ELNS1_3gpuE8ELNS1_3repE0EEENS1_30default_config_static_selectorELNS0_4arch9wavefront6targetE0EEEvS10_.uses_vcc, 0
	.set _ZN7rocprim17ROCPRIM_400000_NS6detail17trampoline_kernelINS0_14default_configENS1_21merge_config_selectorINS0_5tupleIJffEEENS0_10empty_typeEEEZNS1_10merge_implIS3_NS0_12zip_iteratorINS5_IJN6thrust23THRUST_200600_302600_NS6detail15normal_iteratorINSC_10device_ptrIKfEEEESI_EEEEESK_NSA_INS5_IJNSE_INSF_IfEEEESM_EEEEEPS7_SP_SP_NSC_11hip_rocprim7__merge17predicate_wrapperIffNSC_4lessIfEEEEEE10hipError_tPvRmT0_T1_T2_T3_T4_T5_mmT6_P12ihipStream_tbEUlT_E0_NS1_11comp_targetILNS1_3genE4ELNS1_11target_archE910ELNS1_3gpuE8ELNS1_3repE0EEENS1_30default_config_static_selectorELNS0_4arch9wavefront6targetE0EEEvS10_.uses_flat_scratch, 0
	.set _ZN7rocprim17ROCPRIM_400000_NS6detail17trampoline_kernelINS0_14default_configENS1_21merge_config_selectorINS0_5tupleIJffEEENS0_10empty_typeEEEZNS1_10merge_implIS3_NS0_12zip_iteratorINS5_IJN6thrust23THRUST_200600_302600_NS6detail15normal_iteratorINSC_10device_ptrIKfEEEESI_EEEEESK_NSA_INS5_IJNSE_INSF_IfEEEESM_EEEEEPS7_SP_SP_NSC_11hip_rocprim7__merge17predicate_wrapperIffNSC_4lessIfEEEEEE10hipError_tPvRmT0_T1_T2_T3_T4_T5_mmT6_P12ihipStream_tbEUlT_E0_NS1_11comp_targetILNS1_3genE4ELNS1_11target_archE910ELNS1_3gpuE8ELNS1_3repE0EEENS1_30default_config_static_selectorELNS0_4arch9wavefront6targetE0EEEvS10_.has_dyn_sized_stack, 0
	.set _ZN7rocprim17ROCPRIM_400000_NS6detail17trampoline_kernelINS0_14default_configENS1_21merge_config_selectorINS0_5tupleIJffEEENS0_10empty_typeEEEZNS1_10merge_implIS3_NS0_12zip_iteratorINS5_IJN6thrust23THRUST_200600_302600_NS6detail15normal_iteratorINSC_10device_ptrIKfEEEESI_EEEEESK_NSA_INS5_IJNSE_INSF_IfEEEESM_EEEEEPS7_SP_SP_NSC_11hip_rocprim7__merge17predicate_wrapperIffNSC_4lessIfEEEEEE10hipError_tPvRmT0_T1_T2_T3_T4_T5_mmT6_P12ihipStream_tbEUlT_E0_NS1_11comp_targetILNS1_3genE4ELNS1_11target_archE910ELNS1_3gpuE8ELNS1_3repE0EEENS1_30default_config_static_selectorELNS0_4arch9wavefront6targetE0EEEvS10_.has_recursion, 0
	.set _ZN7rocprim17ROCPRIM_400000_NS6detail17trampoline_kernelINS0_14default_configENS1_21merge_config_selectorINS0_5tupleIJffEEENS0_10empty_typeEEEZNS1_10merge_implIS3_NS0_12zip_iteratorINS5_IJN6thrust23THRUST_200600_302600_NS6detail15normal_iteratorINSC_10device_ptrIKfEEEESI_EEEEESK_NSA_INS5_IJNSE_INSF_IfEEEESM_EEEEEPS7_SP_SP_NSC_11hip_rocprim7__merge17predicate_wrapperIffNSC_4lessIfEEEEEE10hipError_tPvRmT0_T1_T2_T3_T4_T5_mmT6_P12ihipStream_tbEUlT_E0_NS1_11comp_targetILNS1_3genE4ELNS1_11target_archE910ELNS1_3gpuE8ELNS1_3repE0EEENS1_30default_config_static_selectorELNS0_4arch9wavefront6targetE0EEEvS10_.has_indirect_call, 0
	.section	.AMDGPU.csdata,"",@progbits
; Kernel info:
; codeLenInByte = 0
; TotalNumSgprs: 0
; NumVgprs: 0
; ScratchSize: 0
; MemoryBound: 0
; FloatMode: 240
; IeeeMode: 1
; LDSByteSize: 0 bytes/workgroup (compile time only)
; SGPRBlocks: 0
; VGPRBlocks: 0
; NumSGPRsForWavesPerEU: 1
; NumVGPRsForWavesPerEU: 1
; NamedBarCnt: 0
; Occupancy: 16
; WaveLimiterHint : 0
; COMPUTE_PGM_RSRC2:SCRATCH_EN: 0
; COMPUTE_PGM_RSRC2:USER_SGPR: 2
; COMPUTE_PGM_RSRC2:TRAP_HANDLER: 0
; COMPUTE_PGM_RSRC2:TGID_X_EN: 1
; COMPUTE_PGM_RSRC2:TGID_Y_EN: 0
; COMPUTE_PGM_RSRC2:TGID_Z_EN: 0
; COMPUTE_PGM_RSRC2:TIDIG_COMP_CNT: 0
	.section	.text._ZN7rocprim17ROCPRIM_400000_NS6detail17trampoline_kernelINS0_14default_configENS1_21merge_config_selectorINS0_5tupleIJffEEENS0_10empty_typeEEEZNS1_10merge_implIS3_NS0_12zip_iteratorINS5_IJN6thrust23THRUST_200600_302600_NS6detail15normal_iteratorINSC_10device_ptrIKfEEEESI_EEEEESK_NSA_INS5_IJNSE_INSF_IfEEEESM_EEEEEPS7_SP_SP_NSC_11hip_rocprim7__merge17predicate_wrapperIffNSC_4lessIfEEEEEE10hipError_tPvRmT0_T1_T2_T3_T4_T5_mmT6_P12ihipStream_tbEUlT_E0_NS1_11comp_targetILNS1_3genE3ELNS1_11target_archE908ELNS1_3gpuE7ELNS1_3repE0EEENS1_30default_config_static_selectorELNS0_4arch9wavefront6targetE0EEEvS10_,"axG",@progbits,_ZN7rocprim17ROCPRIM_400000_NS6detail17trampoline_kernelINS0_14default_configENS1_21merge_config_selectorINS0_5tupleIJffEEENS0_10empty_typeEEEZNS1_10merge_implIS3_NS0_12zip_iteratorINS5_IJN6thrust23THRUST_200600_302600_NS6detail15normal_iteratorINSC_10device_ptrIKfEEEESI_EEEEESK_NSA_INS5_IJNSE_INSF_IfEEEESM_EEEEEPS7_SP_SP_NSC_11hip_rocprim7__merge17predicate_wrapperIffNSC_4lessIfEEEEEE10hipError_tPvRmT0_T1_T2_T3_T4_T5_mmT6_P12ihipStream_tbEUlT_E0_NS1_11comp_targetILNS1_3genE3ELNS1_11target_archE908ELNS1_3gpuE7ELNS1_3repE0EEENS1_30default_config_static_selectorELNS0_4arch9wavefront6targetE0EEEvS10_,comdat
	.protected	_ZN7rocprim17ROCPRIM_400000_NS6detail17trampoline_kernelINS0_14default_configENS1_21merge_config_selectorINS0_5tupleIJffEEENS0_10empty_typeEEEZNS1_10merge_implIS3_NS0_12zip_iteratorINS5_IJN6thrust23THRUST_200600_302600_NS6detail15normal_iteratorINSC_10device_ptrIKfEEEESI_EEEEESK_NSA_INS5_IJNSE_INSF_IfEEEESM_EEEEEPS7_SP_SP_NSC_11hip_rocprim7__merge17predicate_wrapperIffNSC_4lessIfEEEEEE10hipError_tPvRmT0_T1_T2_T3_T4_T5_mmT6_P12ihipStream_tbEUlT_E0_NS1_11comp_targetILNS1_3genE3ELNS1_11target_archE908ELNS1_3gpuE7ELNS1_3repE0EEENS1_30default_config_static_selectorELNS0_4arch9wavefront6targetE0EEEvS10_ ; -- Begin function _ZN7rocprim17ROCPRIM_400000_NS6detail17trampoline_kernelINS0_14default_configENS1_21merge_config_selectorINS0_5tupleIJffEEENS0_10empty_typeEEEZNS1_10merge_implIS3_NS0_12zip_iteratorINS5_IJN6thrust23THRUST_200600_302600_NS6detail15normal_iteratorINSC_10device_ptrIKfEEEESI_EEEEESK_NSA_INS5_IJNSE_INSF_IfEEEESM_EEEEEPS7_SP_SP_NSC_11hip_rocprim7__merge17predicate_wrapperIffNSC_4lessIfEEEEEE10hipError_tPvRmT0_T1_T2_T3_T4_T5_mmT6_P12ihipStream_tbEUlT_E0_NS1_11comp_targetILNS1_3genE3ELNS1_11target_archE908ELNS1_3gpuE7ELNS1_3repE0EEENS1_30default_config_static_selectorELNS0_4arch9wavefront6targetE0EEEvS10_
	.globl	_ZN7rocprim17ROCPRIM_400000_NS6detail17trampoline_kernelINS0_14default_configENS1_21merge_config_selectorINS0_5tupleIJffEEENS0_10empty_typeEEEZNS1_10merge_implIS3_NS0_12zip_iteratorINS5_IJN6thrust23THRUST_200600_302600_NS6detail15normal_iteratorINSC_10device_ptrIKfEEEESI_EEEEESK_NSA_INS5_IJNSE_INSF_IfEEEESM_EEEEEPS7_SP_SP_NSC_11hip_rocprim7__merge17predicate_wrapperIffNSC_4lessIfEEEEEE10hipError_tPvRmT0_T1_T2_T3_T4_T5_mmT6_P12ihipStream_tbEUlT_E0_NS1_11comp_targetILNS1_3genE3ELNS1_11target_archE908ELNS1_3gpuE7ELNS1_3repE0EEENS1_30default_config_static_selectorELNS0_4arch9wavefront6targetE0EEEvS10_
	.p2align	8
	.type	_ZN7rocprim17ROCPRIM_400000_NS6detail17trampoline_kernelINS0_14default_configENS1_21merge_config_selectorINS0_5tupleIJffEEENS0_10empty_typeEEEZNS1_10merge_implIS3_NS0_12zip_iteratorINS5_IJN6thrust23THRUST_200600_302600_NS6detail15normal_iteratorINSC_10device_ptrIKfEEEESI_EEEEESK_NSA_INS5_IJNSE_INSF_IfEEEESM_EEEEEPS7_SP_SP_NSC_11hip_rocprim7__merge17predicate_wrapperIffNSC_4lessIfEEEEEE10hipError_tPvRmT0_T1_T2_T3_T4_T5_mmT6_P12ihipStream_tbEUlT_E0_NS1_11comp_targetILNS1_3genE3ELNS1_11target_archE908ELNS1_3gpuE7ELNS1_3repE0EEENS1_30default_config_static_selectorELNS0_4arch9wavefront6targetE0EEEvS10_,@function
_ZN7rocprim17ROCPRIM_400000_NS6detail17trampoline_kernelINS0_14default_configENS1_21merge_config_selectorINS0_5tupleIJffEEENS0_10empty_typeEEEZNS1_10merge_implIS3_NS0_12zip_iteratorINS5_IJN6thrust23THRUST_200600_302600_NS6detail15normal_iteratorINSC_10device_ptrIKfEEEESI_EEEEESK_NSA_INS5_IJNSE_INSF_IfEEEESM_EEEEEPS7_SP_SP_NSC_11hip_rocprim7__merge17predicate_wrapperIffNSC_4lessIfEEEEEE10hipError_tPvRmT0_T1_T2_T3_T4_T5_mmT6_P12ihipStream_tbEUlT_E0_NS1_11comp_targetILNS1_3genE3ELNS1_11target_archE908ELNS1_3gpuE7ELNS1_3repE0EEENS1_30default_config_static_selectorELNS0_4arch9wavefront6targetE0EEEvS10_: ; @_ZN7rocprim17ROCPRIM_400000_NS6detail17trampoline_kernelINS0_14default_configENS1_21merge_config_selectorINS0_5tupleIJffEEENS0_10empty_typeEEEZNS1_10merge_implIS3_NS0_12zip_iteratorINS5_IJN6thrust23THRUST_200600_302600_NS6detail15normal_iteratorINSC_10device_ptrIKfEEEESI_EEEEESK_NSA_INS5_IJNSE_INSF_IfEEEESM_EEEEEPS7_SP_SP_NSC_11hip_rocprim7__merge17predicate_wrapperIffNSC_4lessIfEEEEEE10hipError_tPvRmT0_T1_T2_T3_T4_T5_mmT6_P12ihipStream_tbEUlT_E0_NS1_11comp_targetILNS1_3genE3ELNS1_11target_archE908ELNS1_3gpuE7ELNS1_3repE0EEENS1_30default_config_static_selectorELNS0_4arch9wavefront6targetE0EEEvS10_
; %bb.0:
	.section	.rodata,"a",@progbits
	.p2align	6, 0x0
	.amdhsa_kernel _ZN7rocprim17ROCPRIM_400000_NS6detail17trampoline_kernelINS0_14default_configENS1_21merge_config_selectorINS0_5tupleIJffEEENS0_10empty_typeEEEZNS1_10merge_implIS3_NS0_12zip_iteratorINS5_IJN6thrust23THRUST_200600_302600_NS6detail15normal_iteratorINSC_10device_ptrIKfEEEESI_EEEEESK_NSA_INS5_IJNSE_INSF_IfEEEESM_EEEEEPS7_SP_SP_NSC_11hip_rocprim7__merge17predicate_wrapperIffNSC_4lessIfEEEEEE10hipError_tPvRmT0_T1_T2_T3_T4_T5_mmT6_P12ihipStream_tbEUlT_E0_NS1_11comp_targetILNS1_3genE3ELNS1_11target_archE908ELNS1_3gpuE7ELNS1_3repE0EEENS1_30default_config_static_selectorELNS0_4arch9wavefront6targetE0EEEvS10_
		.amdhsa_group_segment_fixed_size 0
		.amdhsa_private_segment_fixed_size 0
		.amdhsa_kernarg_size 112
		.amdhsa_user_sgpr_count 2
		.amdhsa_user_sgpr_dispatch_ptr 0
		.amdhsa_user_sgpr_queue_ptr 0
		.amdhsa_user_sgpr_kernarg_segment_ptr 1
		.amdhsa_user_sgpr_dispatch_id 0
		.amdhsa_user_sgpr_kernarg_preload_length 0
		.amdhsa_user_sgpr_kernarg_preload_offset 0
		.amdhsa_user_sgpr_private_segment_size 0
		.amdhsa_wavefront_size32 1
		.amdhsa_uses_dynamic_stack 0
		.amdhsa_enable_private_segment 0
		.amdhsa_system_sgpr_workgroup_id_x 1
		.amdhsa_system_sgpr_workgroup_id_y 0
		.amdhsa_system_sgpr_workgroup_id_z 0
		.amdhsa_system_sgpr_workgroup_info 0
		.amdhsa_system_vgpr_workitem_id 0
		.amdhsa_next_free_vgpr 1
		.amdhsa_next_free_sgpr 1
		.amdhsa_named_barrier_count 0
		.amdhsa_reserve_vcc 0
		.amdhsa_float_round_mode_32 0
		.amdhsa_float_round_mode_16_64 0
		.amdhsa_float_denorm_mode_32 3
		.amdhsa_float_denorm_mode_16_64 3
		.amdhsa_fp16_overflow 0
		.amdhsa_memory_ordered 1
		.amdhsa_forward_progress 1
		.amdhsa_inst_pref_size 0
		.amdhsa_round_robin_scheduling 0
		.amdhsa_exception_fp_ieee_invalid_op 0
		.amdhsa_exception_fp_denorm_src 0
		.amdhsa_exception_fp_ieee_div_zero 0
		.amdhsa_exception_fp_ieee_overflow 0
		.amdhsa_exception_fp_ieee_underflow 0
		.amdhsa_exception_fp_ieee_inexact 0
		.amdhsa_exception_int_div_zero 0
	.end_amdhsa_kernel
	.section	.text._ZN7rocprim17ROCPRIM_400000_NS6detail17trampoline_kernelINS0_14default_configENS1_21merge_config_selectorINS0_5tupleIJffEEENS0_10empty_typeEEEZNS1_10merge_implIS3_NS0_12zip_iteratorINS5_IJN6thrust23THRUST_200600_302600_NS6detail15normal_iteratorINSC_10device_ptrIKfEEEESI_EEEEESK_NSA_INS5_IJNSE_INSF_IfEEEESM_EEEEEPS7_SP_SP_NSC_11hip_rocprim7__merge17predicate_wrapperIffNSC_4lessIfEEEEEE10hipError_tPvRmT0_T1_T2_T3_T4_T5_mmT6_P12ihipStream_tbEUlT_E0_NS1_11comp_targetILNS1_3genE3ELNS1_11target_archE908ELNS1_3gpuE7ELNS1_3repE0EEENS1_30default_config_static_selectorELNS0_4arch9wavefront6targetE0EEEvS10_,"axG",@progbits,_ZN7rocprim17ROCPRIM_400000_NS6detail17trampoline_kernelINS0_14default_configENS1_21merge_config_selectorINS0_5tupleIJffEEENS0_10empty_typeEEEZNS1_10merge_implIS3_NS0_12zip_iteratorINS5_IJN6thrust23THRUST_200600_302600_NS6detail15normal_iteratorINSC_10device_ptrIKfEEEESI_EEEEESK_NSA_INS5_IJNSE_INSF_IfEEEESM_EEEEEPS7_SP_SP_NSC_11hip_rocprim7__merge17predicate_wrapperIffNSC_4lessIfEEEEEE10hipError_tPvRmT0_T1_T2_T3_T4_T5_mmT6_P12ihipStream_tbEUlT_E0_NS1_11comp_targetILNS1_3genE3ELNS1_11target_archE908ELNS1_3gpuE7ELNS1_3repE0EEENS1_30default_config_static_selectorELNS0_4arch9wavefront6targetE0EEEvS10_,comdat
.Lfunc_end71:
	.size	_ZN7rocprim17ROCPRIM_400000_NS6detail17trampoline_kernelINS0_14default_configENS1_21merge_config_selectorINS0_5tupleIJffEEENS0_10empty_typeEEEZNS1_10merge_implIS3_NS0_12zip_iteratorINS5_IJN6thrust23THRUST_200600_302600_NS6detail15normal_iteratorINSC_10device_ptrIKfEEEESI_EEEEESK_NSA_INS5_IJNSE_INSF_IfEEEESM_EEEEEPS7_SP_SP_NSC_11hip_rocprim7__merge17predicate_wrapperIffNSC_4lessIfEEEEEE10hipError_tPvRmT0_T1_T2_T3_T4_T5_mmT6_P12ihipStream_tbEUlT_E0_NS1_11comp_targetILNS1_3genE3ELNS1_11target_archE908ELNS1_3gpuE7ELNS1_3repE0EEENS1_30default_config_static_selectorELNS0_4arch9wavefront6targetE0EEEvS10_, .Lfunc_end71-_ZN7rocprim17ROCPRIM_400000_NS6detail17trampoline_kernelINS0_14default_configENS1_21merge_config_selectorINS0_5tupleIJffEEENS0_10empty_typeEEEZNS1_10merge_implIS3_NS0_12zip_iteratorINS5_IJN6thrust23THRUST_200600_302600_NS6detail15normal_iteratorINSC_10device_ptrIKfEEEESI_EEEEESK_NSA_INS5_IJNSE_INSF_IfEEEESM_EEEEEPS7_SP_SP_NSC_11hip_rocprim7__merge17predicate_wrapperIffNSC_4lessIfEEEEEE10hipError_tPvRmT0_T1_T2_T3_T4_T5_mmT6_P12ihipStream_tbEUlT_E0_NS1_11comp_targetILNS1_3genE3ELNS1_11target_archE908ELNS1_3gpuE7ELNS1_3repE0EEENS1_30default_config_static_selectorELNS0_4arch9wavefront6targetE0EEEvS10_
                                        ; -- End function
	.set _ZN7rocprim17ROCPRIM_400000_NS6detail17trampoline_kernelINS0_14default_configENS1_21merge_config_selectorINS0_5tupleIJffEEENS0_10empty_typeEEEZNS1_10merge_implIS3_NS0_12zip_iteratorINS5_IJN6thrust23THRUST_200600_302600_NS6detail15normal_iteratorINSC_10device_ptrIKfEEEESI_EEEEESK_NSA_INS5_IJNSE_INSF_IfEEEESM_EEEEEPS7_SP_SP_NSC_11hip_rocprim7__merge17predicate_wrapperIffNSC_4lessIfEEEEEE10hipError_tPvRmT0_T1_T2_T3_T4_T5_mmT6_P12ihipStream_tbEUlT_E0_NS1_11comp_targetILNS1_3genE3ELNS1_11target_archE908ELNS1_3gpuE7ELNS1_3repE0EEENS1_30default_config_static_selectorELNS0_4arch9wavefront6targetE0EEEvS10_.num_vgpr, 0
	.set _ZN7rocprim17ROCPRIM_400000_NS6detail17trampoline_kernelINS0_14default_configENS1_21merge_config_selectorINS0_5tupleIJffEEENS0_10empty_typeEEEZNS1_10merge_implIS3_NS0_12zip_iteratorINS5_IJN6thrust23THRUST_200600_302600_NS6detail15normal_iteratorINSC_10device_ptrIKfEEEESI_EEEEESK_NSA_INS5_IJNSE_INSF_IfEEEESM_EEEEEPS7_SP_SP_NSC_11hip_rocprim7__merge17predicate_wrapperIffNSC_4lessIfEEEEEE10hipError_tPvRmT0_T1_T2_T3_T4_T5_mmT6_P12ihipStream_tbEUlT_E0_NS1_11comp_targetILNS1_3genE3ELNS1_11target_archE908ELNS1_3gpuE7ELNS1_3repE0EEENS1_30default_config_static_selectorELNS0_4arch9wavefront6targetE0EEEvS10_.num_agpr, 0
	.set _ZN7rocprim17ROCPRIM_400000_NS6detail17trampoline_kernelINS0_14default_configENS1_21merge_config_selectorINS0_5tupleIJffEEENS0_10empty_typeEEEZNS1_10merge_implIS3_NS0_12zip_iteratorINS5_IJN6thrust23THRUST_200600_302600_NS6detail15normal_iteratorINSC_10device_ptrIKfEEEESI_EEEEESK_NSA_INS5_IJNSE_INSF_IfEEEESM_EEEEEPS7_SP_SP_NSC_11hip_rocprim7__merge17predicate_wrapperIffNSC_4lessIfEEEEEE10hipError_tPvRmT0_T1_T2_T3_T4_T5_mmT6_P12ihipStream_tbEUlT_E0_NS1_11comp_targetILNS1_3genE3ELNS1_11target_archE908ELNS1_3gpuE7ELNS1_3repE0EEENS1_30default_config_static_selectorELNS0_4arch9wavefront6targetE0EEEvS10_.numbered_sgpr, 0
	.set _ZN7rocprim17ROCPRIM_400000_NS6detail17trampoline_kernelINS0_14default_configENS1_21merge_config_selectorINS0_5tupleIJffEEENS0_10empty_typeEEEZNS1_10merge_implIS3_NS0_12zip_iteratorINS5_IJN6thrust23THRUST_200600_302600_NS6detail15normal_iteratorINSC_10device_ptrIKfEEEESI_EEEEESK_NSA_INS5_IJNSE_INSF_IfEEEESM_EEEEEPS7_SP_SP_NSC_11hip_rocprim7__merge17predicate_wrapperIffNSC_4lessIfEEEEEE10hipError_tPvRmT0_T1_T2_T3_T4_T5_mmT6_P12ihipStream_tbEUlT_E0_NS1_11comp_targetILNS1_3genE3ELNS1_11target_archE908ELNS1_3gpuE7ELNS1_3repE0EEENS1_30default_config_static_selectorELNS0_4arch9wavefront6targetE0EEEvS10_.num_named_barrier, 0
	.set _ZN7rocprim17ROCPRIM_400000_NS6detail17trampoline_kernelINS0_14default_configENS1_21merge_config_selectorINS0_5tupleIJffEEENS0_10empty_typeEEEZNS1_10merge_implIS3_NS0_12zip_iteratorINS5_IJN6thrust23THRUST_200600_302600_NS6detail15normal_iteratorINSC_10device_ptrIKfEEEESI_EEEEESK_NSA_INS5_IJNSE_INSF_IfEEEESM_EEEEEPS7_SP_SP_NSC_11hip_rocprim7__merge17predicate_wrapperIffNSC_4lessIfEEEEEE10hipError_tPvRmT0_T1_T2_T3_T4_T5_mmT6_P12ihipStream_tbEUlT_E0_NS1_11comp_targetILNS1_3genE3ELNS1_11target_archE908ELNS1_3gpuE7ELNS1_3repE0EEENS1_30default_config_static_selectorELNS0_4arch9wavefront6targetE0EEEvS10_.private_seg_size, 0
	.set _ZN7rocprim17ROCPRIM_400000_NS6detail17trampoline_kernelINS0_14default_configENS1_21merge_config_selectorINS0_5tupleIJffEEENS0_10empty_typeEEEZNS1_10merge_implIS3_NS0_12zip_iteratorINS5_IJN6thrust23THRUST_200600_302600_NS6detail15normal_iteratorINSC_10device_ptrIKfEEEESI_EEEEESK_NSA_INS5_IJNSE_INSF_IfEEEESM_EEEEEPS7_SP_SP_NSC_11hip_rocprim7__merge17predicate_wrapperIffNSC_4lessIfEEEEEE10hipError_tPvRmT0_T1_T2_T3_T4_T5_mmT6_P12ihipStream_tbEUlT_E0_NS1_11comp_targetILNS1_3genE3ELNS1_11target_archE908ELNS1_3gpuE7ELNS1_3repE0EEENS1_30default_config_static_selectorELNS0_4arch9wavefront6targetE0EEEvS10_.uses_vcc, 0
	.set _ZN7rocprim17ROCPRIM_400000_NS6detail17trampoline_kernelINS0_14default_configENS1_21merge_config_selectorINS0_5tupleIJffEEENS0_10empty_typeEEEZNS1_10merge_implIS3_NS0_12zip_iteratorINS5_IJN6thrust23THRUST_200600_302600_NS6detail15normal_iteratorINSC_10device_ptrIKfEEEESI_EEEEESK_NSA_INS5_IJNSE_INSF_IfEEEESM_EEEEEPS7_SP_SP_NSC_11hip_rocprim7__merge17predicate_wrapperIffNSC_4lessIfEEEEEE10hipError_tPvRmT0_T1_T2_T3_T4_T5_mmT6_P12ihipStream_tbEUlT_E0_NS1_11comp_targetILNS1_3genE3ELNS1_11target_archE908ELNS1_3gpuE7ELNS1_3repE0EEENS1_30default_config_static_selectorELNS0_4arch9wavefront6targetE0EEEvS10_.uses_flat_scratch, 0
	.set _ZN7rocprim17ROCPRIM_400000_NS6detail17trampoline_kernelINS0_14default_configENS1_21merge_config_selectorINS0_5tupleIJffEEENS0_10empty_typeEEEZNS1_10merge_implIS3_NS0_12zip_iteratorINS5_IJN6thrust23THRUST_200600_302600_NS6detail15normal_iteratorINSC_10device_ptrIKfEEEESI_EEEEESK_NSA_INS5_IJNSE_INSF_IfEEEESM_EEEEEPS7_SP_SP_NSC_11hip_rocprim7__merge17predicate_wrapperIffNSC_4lessIfEEEEEE10hipError_tPvRmT0_T1_T2_T3_T4_T5_mmT6_P12ihipStream_tbEUlT_E0_NS1_11comp_targetILNS1_3genE3ELNS1_11target_archE908ELNS1_3gpuE7ELNS1_3repE0EEENS1_30default_config_static_selectorELNS0_4arch9wavefront6targetE0EEEvS10_.has_dyn_sized_stack, 0
	.set _ZN7rocprim17ROCPRIM_400000_NS6detail17trampoline_kernelINS0_14default_configENS1_21merge_config_selectorINS0_5tupleIJffEEENS0_10empty_typeEEEZNS1_10merge_implIS3_NS0_12zip_iteratorINS5_IJN6thrust23THRUST_200600_302600_NS6detail15normal_iteratorINSC_10device_ptrIKfEEEESI_EEEEESK_NSA_INS5_IJNSE_INSF_IfEEEESM_EEEEEPS7_SP_SP_NSC_11hip_rocprim7__merge17predicate_wrapperIffNSC_4lessIfEEEEEE10hipError_tPvRmT0_T1_T2_T3_T4_T5_mmT6_P12ihipStream_tbEUlT_E0_NS1_11comp_targetILNS1_3genE3ELNS1_11target_archE908ELNS1_3gpuE7ELNS1_3repE0EEENS1_30default_config_static_selectorELNS0_4arch9wavefront6targetE0EEEvS10_.has_recursion, 0
	.set _ZN7rocprim17ROCPRIM_400000_NS6detail17trampoline_kernelINS0_14default_configENS1_21merge_config_selectorINS0_5tupleIJffEEENS0_10empty_typeEEEZNS1_10merge_implIS3_NS0_12zip_iteratorINS5_IJN6thrust23THRUST_200600_302600_NS6detail15normal_iteratorINSC_10device_ptrIKfEEEESI_EEEEESK_NSA_INS5_IJNSE_INSF_IfEEEESM_EEEEEPS7_SP_SP_NSC_11hip_rocprim7__merge17predicate_wrapperIffNSC_4lessIfEEEEEE10hipError_tPvRmT0_T1_T2_T3_T4_T5_mmT6_P12ihipStream_tbEUlT_E0_NS1_11comp_targetILNS1_3genE3ELNS1_11target_archE908ELNS1_3gpuE7ELNS1_3repE0EEENS1_30default_config_static_selectorELNS0_4arch9wavefront6targetE0EEEvS10_.has_indirect_call, 0
	.section	.AMDGPU.csdata,"",@progbits
; Kernel info:
; codeLenInByte = 0
; TotalNumSgprs: 0
; NumVgprs: 0
; ScratchSize: 0
; MemoryBound: 0
; FloatMode: 240
; IeeeMode: 1
; LDSByteSize: 0 bytes/workgroup (compile time only)
; SGPRBlocks: 0
; VGPRBlocks: 0
; NumSGPRsForWavesPerEU: 1
; NumVGPRsForWavesPerEU: 1
; NamedBarCnt: 0
; Occupancy: 16
; WaveLimiterHint : 0
; COMPUTE_PGM_RSRC2:SCRATCH_EN: 0
; COMPUTE_PGM_RSRC2:USER_SGPR: 2
; COMPUTE_PGM_RSRC2:TRAP_HANDLER: 0
; COMPUTE_PGM_RSRC2:TGID_X_EN: 1
; COMPUTE_PGM_RSRC2:TGID_Y_EN: 0
; COMPUTE_PGM_RSRC2:TGID_Z_EN: 0
; COMPUTE_PGM_RSRC2:TIDIG_COMP_CNT: 0
	.section	.text._ZN7rocprim17ROCPRIM_400000_NS6detail17trampoline_kernelINS0_14default_configENS1_21merge_config_selectorINS0_5tupleIJffEEENS0_10empty_typeEEEZNS1_10merge_implIS3_NS0_12zip_iteratorINS5_IJN6thrust23THRUST_200600_302600_NS6detail15normal_iteratorINSC_10device_ptrIKfEEEESI_EEEEESK_NSA_INS5_IJNSE_INSF_IfEEEESM_EEEEEPS7_SP_SP_NSC_11hip_rocprim7__merge17predicate_wrapperIffNSC_4lessIfEEEEEE10hipError_tPvRmT0_T1_T2_T3_T4_T5_mmT6_P12ihipStream_tbEUlT_E0_NS1_11comp_targetILNS1_3genE2ELNS1_11target_archE906ELNS1_3gpuE6ELNS1_3repE0EEENS1_30default_config_static_selectorELNS0_4arch9wavefront6targetE0EEEvS10_,"axG",@progbits,_ZN7rocprim17ROCPRIM_400000_NS6detail17trampoline_kernelINS0_14default_configENS1_21merge_config_selectorINS0_5tupleIJffEEENS0_10empty_typeEEEZNS1_10merge_implIS3_NS0_12zip_iteratorINS5_IJN6thrust23THRUST_200600_302600_NS6detail15normal_iteratorINSC_10device_ptrIKfEEEESI_EEEEESK_NSA_INS5_IJNSE_INSF_IfEEEESM_EEEEEPS7_SP_SP_NSC_11hip_rocprim7__merge17predicate_wrapperIffNSC_4lessIfEEEEEE10hipError_tPvRmT0_T1_T2_T3_T4_T5_mmT6_P12ihipStream_tbEUlT_E0_NS1_11comp_targetILNS1_3genE2ELNS1_11target_archE906ELNS1_3gpuE6ELNS1_3repE0EEENS1_30default_config_static_selectorELNS0_4arch9wavefront6targetE0EEEvS10_,comdat
	.protected	_ZN7rocprim17ROCPRIM_400000_NS6detail17trampoline_kernelINS0_14default_configENS1_21merge_config_selectorINS0_5tupleIJffEEENS0_10empty_typeEEEZNS1_10merge_implIS3_NS0_12zip_iteratorINS5_IJN6thrust23THRUST_200600_302600_NS6detail15normal_iteratorINSC_10device_ptrIKfEEEESI_EEEEESK_NSA_INS5_IJNSE_INSF_IfEEEESM_EEEEEPS7_SP_SP_NSC_11hip_rocprim7__merge17predicate_wrapperIffNSC_4lessIfEEEEEE10hipError_tPvRmT0_T1_T2_T3_T4_T5_mmT6_P12ihipStream_tbEUlT_E0_NS1_11comp_targetILNS1_3genE2ELNS1_11target_archE906ELNS1_3gpuE6ELNS1_3repE0EEENS1_30default_config_static_selectorELNS0_4arch9wavefront6targetE0EEEvS10_ ; -- Begin function _ZN7rocprim17ROCPRIM_400000_NS6detail17trampoline_kernelINS0_14default_configENS1_21merge_config_selectorINS0_5tupleIJffEEENS0_10empty_typeEEEZNS1_10merge_implIS3_NS0_12zip_iteratorINS5_IJN6thrust23THRUST_200600_302600_NS6detail15normal_iteratorINSC_10device_ptrIKfEEEESI_EEEEESK_NSA_INS5_IJNSE_INSF_IfEEEESM_EEEEEPS7_SP_SP_NSC_11hip_rocprim7__merge17predicate_wrapperIffNSC_4lessIfEEEEEE10hipError_tPvRmT0_T1_T2_T3_T4_T5_mmT6_P12ihipStream_tbEUlT_E0_NS1_11comp_targetILNS1_3genE2ELNS1_11target_archE906ELNS1_3gpuE6ELNS1_3repE0EEENS1_30default_config_static_selectorELNS0_4arch9wavefront6targetE0EEEvS10_
	.globl	_ZN7rocprim17ROCPRIM_400000_NS6detail17trampoline_kernelINS0_14default_configENS1_21merge_config_selectorINS0_5tupleIJffEEENS0_10empty_typeEEEZNS1_10merge_implIS3_NS0_12zip_iteratorINS5_IJN6thrust23THRUST_200600_302600_NS6detail15normal_iteratorINSC_10device_ptrIKfEEEESI_EEEEESK_NSA_INS5_IJNSE_INSF_IfEEEESM_EEEEEPS7_SP_SP_NSC_11hip_rocprim7__merge17predicate_wrapperIffNSC_4lessIfEEEEEE10hipError_tPvRmT0_T1_T2_T3_T4_T5_mmT6_P12ihipStream_tbEUlT_E0_NS1_11comp_targetILNS1_3genE2ELNS1_11target_archE906ELNS1_3gpuE6ELNS1_3repE0EEENS1_30default_config_static_selectorELNS0_4arch9wavefront6targetE0EEEvS10_
	.p2align	8
	.type	_ZN7rocprim17ROCPRIM_400000_NS6detail17trampoline_kernelINS0_14default_configENS1_21merge_config_selectorINS0_5tupleIJffEEENS0_10empty_typeEEEZNS1_10merge_implIS3_NS0_12zip_iteratorINS5_IJN6thrust23THRUST_200600_302600_NS6detail15normal_iteratorINSC_10device_ptrIKfEEEESI_EEEEESK_NSA_INS5_IJNSE_INSF_IfEEEESM_EEEEEPS7_SP_SP_NSC_11hip_rocprim7__merge17predicate_wrapperIffNSC_4lessIfEEEEEE10hipError_tPvRmT0_T1_T2_T3_T4_T5_mmT6_P12ihipStream_tbEUlT_E0_NS1_11comp_targetILNS1_3genE2ELNS1_11target_archE906ELNS1_3gpuE6ELNS1_3repE0EEENS1_30default_config_static_selectorELNS0_4arch9wavefront6targetE0EEEvS10_,@function
_ZN7rocprim17ROCPRIM_400000_NS6detail17trampoline_kernelINS0_14default_configENS1_21merge_config_selectorINS0_5tupleIJffEEENS0_10empty_typeEEEZNS1_10merge_implIS3_NS0_12zip_iteratorINS5_IJN6thrust23THRUST_200600_302600_NS6detail15normal_iteratorINSC_10device_ptrIKfEEEESI_EEEEESK_NSA_INS5_IJNSE_INSF_IfEEEESM_EEEEEPS7_SP_SP_NSC_11hip_rocprim7__merge17predicate_wrapperIffNSC_4lessIfEEEEEE10hipError_tPvRmT0_T1_T2_T3_T4_T5_mmT6_P12ihipStream_tbEUlT_E0_NS1_11comp_targetILNS1_3genE2ELNS1_11target_archE906ELNS1_3gpuE6ELNS1_3repE0EEENS1_30default_config_static_selectorELNS0_4arch9wavefront6targetE0EEEvS10_: ; @_ZN7rocprim17ROCPRIM_400000_NS6detail17trampoline_kernelINS0_14default_configENS1_21merge_config_selectorINS0_5tupleIJffEEENS0_10empty_typeEEEZNS1_10merge_implIS3_NS0_12zip_iteratorINS5_IJN6thrust23THRUST_200600_302600_NS6detail15normal_iteratorINSC_10device_ptrIKfEEEESI_EEEEESK_NSA_INS5_IJNSE_INSF_IfEEEESM_EEEEEPS7_SP_SP_NSC_11hip_rocprim7__merge17predicate_wrapperIffNSC_4lessIfEEEEEE10hipError_tPvRmT0_T1_T2_T3_T4_T5_mmT6_P12ihipStream_tbEUlT_E0_NS1_11comp_targetILNS1_3genE2ELNS1_11target_archE906ELNS1_3gpuE6ELNS1_3repE0EEENS1_30default_config_static_selectorELNS0_4arch9wavefront6targetE0EEEvS10_
; %bb.0:
	.section	.rodata,"a",@progbits
	.p2align	6, 0x0
	.amdhsa_kernel _ZN7rocprim17ROCPRIM_400000_NS6detail17trampoline_kernelINS0_14default_configENS1_21merge_config_selectorINS0_5tupleIJffEEENS0_10empty_typeEEEZNS1_10merge_implIS3_NS0_12zip_iteratorINS5_IJN6thrust23THRUST_200600_302600_NS6detail15normal_iteratorINSC_10device_ptrIKfEEEESI_EEEEESK_NSA_INS5_IJNSE_INSF_IfEEEESM_EEEEEPS7_SP_SP_NSC_11hip_rocprim7__merge17predicate_wrapperIffNSC_4lessIfEEEEEE10hipError_tPvRmT0_T1_T2_T3_T4_T5_mmT6_P12ihipStream_tbEUlT_E0_NS1_11comp_targetILNS1_3genE2ELNS1_11target_archE906ELNS1_3gpuE6ELNS1_3repE0EEENS1_30default_config_static_selectorELNS0_4arch9wavefront6targetE0EEEvS10_
		.amdhsa_group_segment_fixed_size 0
		.amdhsa_private_segment_fixed_size 0
		.amdhsa_kernarg_size 112
		.amdhsa_user_sgpr_count 2
		.amdhsa_user_sgpr_dispatch_ptr 0
		.amdhsa_user_sgpr_queue_ptr 0
		.amdhsa_user_sgpr_kernarg_segment_ptr 1
		.amdhsa_user_sgpr_dispatch_id 0
		.amdhsa_user_sgpr_kernarg_preload_length 0
		.amdhsa_user_sgpr_kernarg_preload_offset 0
		.amdhsa_user_sgpr_private_segment_size 0
		.amdhsa_wavefront_size32 1
		.amdhsa_uses_dynamic_stack 0
		.amdhsa_enable_private_segment 0
		.amdhsa_system_sgpr_workgroup_id_x 1
		.amdhsa_system_sgpr_workgroup_id_y 0
		.amdhsa_system_sgpr_workgroup_id_z 0
		.amdhsa_system_sgpr_workgroup_info 0
		.amdhsa_system_vgpr_workitem_id 0
		.amdhsa_next_free_vgpr 1
		.amdhsa_next_free_sgpr 1
		.amdhsa_named_barrier_count 0
		.amdhsa_reserve_vcc 0
		.amdhsa_float_round_mode_32 0
		.amdhsa_float_round_mode_16_64 0
		.amdhsa_float_denorm_mode_32 3
		.amdhsa_float_denorm_mode_16_64 3
		.amdhsa_fp16_overflow 0
		.amdhsa_memory_ordered 1
		.amdhsa_forward_progress 1
		.amdhsa_inst_pref_size 0
		.amdhsa_round_robin_scheduling 0
		.amdhsa_exception_fp_ieee_invalid_op 0
		.amdhsa_exception_fp_denorm_src 0
		.amdhsa_exception_fp_ieee_div_zero 0
		.amdhsa_exception_fp_ieee_overflow 0
		.amdhsa_exception_fp_ieee_underflow 0
		.amdhsa_exception_fp_ieee_inexact 0
		.amdhsa_exception_int_div_zero 0
	.end_amdhsa_kernel
	.section	.text._ZN7rocprim17ROCPRIM_400000_NS6detail17trampoline_kernelINS0_14default_configENS1_21merge_config_selectorINS0_5tupleIJffEEENS0_10empty_typeEEEZNS1_10merge_implIS3_NS0_12zip_iteratorINS5_IJN6thrust23THRUST_200600_302600_NS6detail15normal_iteratorINSC_10device_ptrIKfEEEESI_EEEEESK_NSA_INS5_IJNSE_INSF_IfEEEESM_EEEEEPS7_SP_SP_NSC_11hip_rocprim7__merge17predicate_wrapperIffNSC_4lessIfEEEEEE10hipError_tPvRmT0_T1_T2_T3_T4_T5_mmT6_P12ihipStream_tbEUlT_E0_NS1_11comp_targetILNS1_3genE2ELNS1_11target_archE906ELNS1_3gpuE6ELNS1_3repE0EEENS1_30default_config_static_selectorELNS0_4arch9wavefront6targetE0EEEvS10_,"axG",@progbits,_ZN7rocprim17ROCPRIM_400000_NS6detail17trampoline_kernelINS0_14default_configENS1_21merge_config_selectorINS0_5tupleIJffEEENS0_10empty_typeEEEZNS1_10merge_implIS3_NS0_12zip_iteratorINS5_IJN6thrust23THRUST_200600_302600_NS6detail15normal_iteratorINSC_10device_ptrIKfEEEESI_EEEEESK_NSA_INS5_IJNSE_INSF_IfEEEESM_EEEEEPS7_SP_SP_NSC_11hip_rocprim7__merge17predicate_wrapperIffNSC_4lessIfEEEEEE10hipError_tPvRmT0_T1_T2_T3_T4_T5_mmT6_P12ihipStream_tbEUlT_E0_NS1_11comp_targetILNS1_3genE2ELNS1_11target_archE906ELNS1_3gpuE6ELNS1_3repE0EEENS1_30default_config_static_selectorELNS0_4arch9wavefront6targetE0EEEvS10_,comdat
.Lfunc_end72:
	.size	_ZN7rocprim17ROCPRIM_400000_NS6detail17trampoline_kernelINS0_14default_configENS1_21merge_config_selectorINS0_5tupleIJffEEENS0_10empty_typeEEEZNS1_10merge_implIS3_NS0_12zip_iteratorINS5_IJN6thrust23THRUST_200600_302600_NS6detail15normal_iteratorINSC_10device_ptrIKfEEEESI_EEEEESK_NSA_INS5_IJNSE_INSF_IfEEEESM_EEEEEPS7_SP_SP_NSC_11hip_rocprim7__merge17predicate_wrapperIffNSC_4lessIfEEEEEE10hipError_tPvRmT0_T1_T2_T3_T4_T5_mmT6_P12ihipStream_tbEUlT_E0_NS1_11comp_targetILNS1_3genE2ELNS1_11target_archE906ELNS1_3gpuE6ELNS1_3repE0EEENS1_30default_config_static_selectorELNS0_4arch9wavefront6targetE0EEEvS10_, .Lfunc_end72-_ZN7rocprim17ROCPRIM_400000_NS6detail17trampoline_kernelINS0_14default_configENS1_21merge_config_selectorINS0_5tupleIJffEEENS0_10empty_typeEEEZNS1_10merge_implIS3_NS0_12zip_iteratorINS5_IJN6thrust23THRUST_200600_302600_NS6detail15normal_iteratorINSC_10device_ptrIKfEEEESI_EEEEESK_NSA_INS5_IJNSE_INSF_IfEEEESM_EEEEEPS7_SP_SP_NSC_11hip_rocprim7__merge17predicate_wrapperIffNSC_4lessIfEEEEEE10hipError_tPvRmT0_T1_T2_T3_T4_T5_mmT6_P12ihipStream_tbEUlT_E0_NS1_11comp_targetILNS1_3genE2ELNS1_11target_archE906ELNS1_3gpuE6ELNS1_3repE0EEENS1_30default_config_static_selectorELNS0_4arch9wavefront6targetE0EEEvS10_
                                        ; -- End function
	.set _ZN7rocprim17ROCPRIM_400000_NS6detail17trampoline_kernelINS0_14default_configENS1_21merge_config_selectorINS0_5tupleIJffEEENS0_10empty_typeEEEZNS1_10merge_implIS3_NS0_12zip_iteratorINS5_IJN6thrust23THRUST_200600_302600_NS6detail15normal_iteratorINSC_10device_ptrIKfEEEESI_EEEEESK_NSA_INS5_IJNSE_INSF_IfEEEESM_EEEEEPS7_SP_SP_NSC_11hip_rocprim7__merge17predicate_wrapperIffNSC_4lessIfEEEEEE10hipError_tPvRmT0_T1_T2_T3_T4_T5_mmT6_P12ihipStream_tbEUlT_E0_NS1_11comp_targetILNS1_3genE2ELNS1_11target_archE906ELNS1_3gpuE6ELNS1_3repE0EEENS1_30default_config_static_selectorELNS0_4arch9wavefront6targetE0EEEvS10_.num_vgpr, 0
	.set _ZN7rocprim17ROCPRIM_400000_NS6detail17trampoline_kernelINS0_14default_configENS1_21merge_config_selectorINS0_5tupleIJffEEENS0_10empty_typeEEEZNS1_10merge_implIS3_NS0_12zip_iteratorINS5_IJN6thrust23THRUST_200600_302600_NS6detail15normal_iteratorINSC_10device_ptrIKfEEEESI_EEEEESK_NSA_INS5_IJNSE_INSF_IfEEEESM_EEEEEPS7_SP_SP_NSC_11hip_rocprim7__merge17predicate_wrapperIffNSC_4lessIfEEEEEE10hipError_tPvRmT0_T1_T2_T3_T4_T5_mmT6_P12ihipStream_tbEUlT_E0_NS1_11comp_targetILNS1_3genE2ELNS1_11target_archE906ELNS1_3gpuE6ELNS1_3repE0EEENS1_30default_config_static_selectorELNS0_4arch9wavefront6targetE0EEEvS10_.num_agpr, 0
	.set _ZN7rocprim17ROCPRIM_400000_NS6detail17trampoline_kernelINS0_14default_configENS1_21merge_config_selectorINS0_5tupleIJffEEENS0_10empty_typeEEEZNS1_10merge_implIS3_NS0_12zip_iteratorINS5_IJN6thrust23THRUST_200600_302600_NS6detail15normal_iteratorINSC_10device_ptrIKfEEEESI_EEEEESK_NSA_INS5_IJNSE_INSF_IfEEEESM_EEEEEPS7_SP_SP_NSC_11hip_rocprim7__merge17predicate_wrapperIffNSC_4lessIfEEEEEE10hipError_tPvRmT0_T1_T2_T3_T4_T5_mmT6_P12ihipStream_tbEUlT_E0_NS1_11comp_targetILNS1_3genE2ELNS1_11target_archE906ELNS1_3gpuE6ELNS1_3repE0EEENS1_30default_config_static_selectorELNS0_4arch9wavefront6targetE0EEEvS10_.numbered_sgpr, 0
	.set _ZN7rocprim17ROCPRIM_400000_NS6detail17trampoline_kernelINS0_14default_configENS1_21merge_config_selectorINS0_5tupleIJffEEENS0_10empty_typeEEEZNS1_10merge_implIS3_NS0_12zip_iteratorINS5_IJN6thrust23THRUST_200600_302600_NS6detail15normal_iteratorINSC_10device_ptrIKfEEEESI_EEEEESK_NSA_INS5_IJNSE_INSF_IfEEEESM_EEEEEPS7_SP_SP_NSC_11hip_rocprim7__merge17predicate_wrapperIffNSC_4lessIfEEEEEE10hipError_tPvRmT0_T1_T2_T3_T4_T5_mmT6_P12ihipStream_tbEUlT_E0_NS1_11comp_targetILNS1_3genE2ELNS1_11target_archE906ELNS1_3gpuE6ELNS1_3repE0EEENS1_30default_config_static_selectorELNS0_4arch9wavefront6targetE0EEEvS10_.num_named_barrier, 0
	.set _ZN7rocprim17ROCPRIM_400000_NS6detail17trampoline_kernelINS0_14default_configENS1_21merge_config_selectorINS0_5tupleIJffEEENS0_10empty_typeEEEZNS1_10merge_implIS3_NS0_12zip_iteratorINS5_IJN6thrust23THRUST_200600_302600_NS6detail15normal_iteratorINSC_10device_ptrIKfEEEESI_EEEEESK_NSA_INS5_IJNSE_INSF_IfEEEESM_EEEEEPS7_SP_SP_NSC_11hip_rocprim7__merge17predicate_wrapperIffNSC_4lessIfEEEEEE10hipError_tPvRmT0_T1_T2_T3_T4_T5_mmT6_P12ihipStream_tbEUlT_E0_NS1_11comp_targetILNS1_3genE2ELNS1_11target_archE906ELNS1_3gpuE6ELNS1_3repE0EEENS1_30default_config_static_selectorELNS0_4arch9wavefront6targetE0EEEvS10_.private_seg_size, 0
	.set _ZN7rocprim17ROCPRIM_400000_NS6detail17trampoline_kernelINS0_14default_configENS1_21merge_config_selectorINS0_5tupleIJffEEENS0_10empty_typeEEEZNS1_10merge_implIS3_NS0_12zip_iteratorINS5_IJN6thrust23THRUST_200600_302600_NS6detail15normal_iteratorINSC_10device_ptrIKfEEEESI_EEEEESK_NSA_INS5_IJNSE_INSF_IfEEEESM_EEEEEPS7_SP_SP_NSC_11hip_rocprim7__merge17predicate_wrapperIffNSC_4lessIfEEEEEE10hipError_tPvRmT0_T1_T2_T3_T4_T5_mmT6_P12ihipStream_tbEUlT_E0_NS1_11comp_targetILNS1_3genE2ELNS1_11target_archE906ELNS1_3gpuE6ELNS1_3repE0EEENS1_30default_config_static_selectorELNS0_4arch9wavefront6targetE0EEEvS10_.uses_vcc, 0
	.set _ZN7rocprim17ROCPRIM_400000_NS6detail17trampoline_kernelINS0_14default_configENS1_21merge_config_selectorINS0_5tupleIJffEEENS0_10empty_typeEEEZNS1_10merge_implIS3_NS0_12zip_iteratorINS5_IJN6thrust23THRUST_200600_302600_NS6detail15normal_iteratorINSC_10device_ptrIKfEEEESI_EEEEESK_NSA_INS5_IJNSE_INSF_IfEEEESM_EEEEEPS7_SP_SP_NSC_11hip_rocprim7__merge17predicate_wrapperIffNSC_4lessIfEEEEEE10hipError_tPvRmT0_T1_T2_T3_T4_T5_mmT6_P12ihipStream_tbEUlT_E0_NS1_11comp_targetILNS1_3genE2ELNS1_11target_archE906ELNS1_3gpuE6ELNS1_3repE0EEENS1_30default_config_static_selectorELNS0_4arch9wavefront6targetE0EEEvS10_.uses_flat_scratch, 0
	.set _ZN7rocprim17ROCPRIM_400000_NS6detail17trampoline_kernelINS0_14default_configENS1_21merge_config_selectorINS0_5tupleIJffEEENS0_10empty_typeEEEZNS1_10merge_implIS3_NS0_12zip_iteratorINS5_IJN6thrust23THRUST_200600_302600_NS6detail15normal_iteratorINSC_10device_ptrIKfEEEESI_EEEEESK_NSA_INS5_IJNSE_INSF_IfEEEESM_EEEEEPS7_SP_SP_NSC_11hip_rocprim7__merge17predicate_wrapperIffNSC_4lessIfEEEEEE10hipError_tPvRmT0_T1_T2_T3_T4_T5_mmT6_P12ihipStream_tbEUlT_E0_NS1_11comp_targetILNS1_3genE2ELNS1_11target_archE906ELNS1_3gpuE6ELNS1_3repE0EEENS1_30default_config_static_selectorELNS0_4arch9wavefront6targetE0EEEvS10_.has_dyn_sized_stack, 0
	.set _ZN7rocprim17ROCPRIM_400000_NS6detail17trampoline_kernelINS0_14default_configENS1_21merge_config_selectorINS0_5tupleIJffEEENS0_10empty_typeEEEZNS1_10merge_implIS3_NS0_12zip_iteratorINS5_IJN6thrust23THRUST_200600_302600_NS6detail15normal_iteratorINSC_10device_ptrIKfEEEESI_EEEEESK_NSA_INS5_IJNSE_INSF_IfEEEESM_EEEEEPS7_SP_SP_NSC_11hip_rocprim7__merge17predicate_wrapperIffNSC_4lessIfEEEEEE10hipError_tPvRmT0_T1_T2_T3_T4_T5_mmT6_P12ihipStream_tbEUlT_E0_NS1_11comp_targetILNS1_3genE2ELNS1_11target_archE906ELNS1_3gpuE6ELNS1_3repE0EEENS1_30default_config_static_selectorELNS0_4arch9wavefront6targetE0EEEvS10_.has_recursion, 0
	.set _ZN7rocprim17ROCPRIM_400000_NS6detail17trampoline_kernelINS0_14default_configENS1_21merge_config_selectorINS0_5tupleIJffEEENS0_10empty_typeEEEZNS1_10merge_implIS3_NS0_12zip_iteratorINS5_IJN6thrust23THRUST_200600_302600_NS6detail15normal_iteratorINSC_10device_ptrIKfEEEESI_EEEEESK_NSA_INS5_IJNSE_INSF_IfEEEESM_EEEEEPS7_SP_SP_NSC_11hip_rocprim7__merge17predicate_wrapperIffNSC_4lessIfEEEEEE10hipError_tPvRmT0_T1_T2_T3_T4_T5_mmT6_P12ihipStream_tbEUlT_E0_NS1_11comp_targetILNS1_3genE2ELNS1_11target_archE906ELNS1_3gpuE6ELNS1_3repE0EEENS1_30default_config_static_selectorELNS0_4arch9wavefront6targetE0EEEvS10_.has_indirect_call, 0
	.section	.AMDGPU.csdata,"",@progbits
; Kernel info:
; codeLenInByte = 0
; TotalNumSgprs: 0
; NumVgprs: 0
; ScratchSize: 0
; MemoryBound: 0
; FloatMode: 240
; IeeeMode: 1
; LDSByteSize: 0 bytes/workgroup (compile time only)
; SGPRBlocks: 0
; VGPRBlocks: 0
; NumSGPRsForWavesPerEU: 1
; NumVGPRsForWavesPerEU: 1
; NamedBarCnt: 0
; Occupancy: 16
; WaveLimiterHint : 0
; COMPUTE_PGM_RSRC2:SCRATCH_EN: 0
; COMPUTE_PGM_RSRC2:USER_SGPR: 2
; COMPUTE_PGM_RSRC2:TRAP_HANDLER: 0
; COMPUTE_PGM_RSRC2:TGID_X_EN: 1
; COMPUTE_PGM_RSRC2:TGID_Y_EN: 0
; COMPUTE_PGM_RSRC2:TGID_Z_EN: 0
; COMPUTE_PGM_RSRC2:TIDIG_COMP_CNT: 0
	.section	.text._ZN7rocprim17ROCPRIM_400000_NS6detail17trampoline_kernelINS0_14default_configENS1_21merge_config_selectorINS0_5tupleIJffEEENS0_10empty_typeEEEZNS1_10merge_implIS3_NS0_12zip_iteratorINS5_IJN6thrust23THRUST_200600_302600_NS6detail15normal_iteratorINSC_10device_ptrIKfEEEESI_EEEEESK_NSA_INS5_IJNSE_INSF_IfEEEESM_EEEEEPS7_SP_SP_NSC_11hip_rocprim7__merge17predicate_wrapperIffNSC_4lessIfEEEEEE10hipError_tPvRmT0_T1_T2_T3_T4_T5_mmT6_P12ihipStream_tbEUlT_E0_NS1_11comp_targetILNS1_3genE10ELNS1_11target_archE1201ELNS1_3gpuE5ELNS1_3repE0EEENS1_30default_config_static_selectorELNS0_4arch9wavefront6targetE0EEEvS10_,"axG",@progbits,_ZN7rocprim17ROCPRIM_400000_NS6detail17trampoline_kernelINS0_14default_configENS1_21merge_config_selectorINS0_5tupleIJffEEENS0_10empty_typeEEEZNS1_10merge_implIS3_NS0_12zip_iteratorINS5_IJN6thrust23THRUST_200600_302600_NS6detail15normal_iteratorINSC_10device_ptrIKfEEEESI_EEEEESK_NSA_INS5_IJNSE_INSF_IfEEEESM_EEEEEPS7_SP_SP_NSC_11hip_rocprim7__merge17predicate_wrapperIffNSC_4lessIfEEEEEE10hipError_tPvRmT0_T1_T2_T3_T4_T5_mmT6_P12ihipStream_tbEUlT_E0_NS1_11comp_targetILNS1_3genE10ELNS1_11target_archE1201ELNS1_3gpuE5ELNS1_3repE0EEENS1_30default_config_static_selectorELNS0_4arch9wavefront6targetE0EEEvS10_,comdat
	.protected	_ZN7rocprim17ROCPRIM_400000_NS6detail17trampoline_kernelINS0_14default_configENS1_21merge_config_selectorINS0_5tupleIJffEEENS0_10empty_typeEEEZNS1_10merge_implIS3_NS0_12zip_iteratorINS5_IJN6thrust23THRUST_200600_302600_NS6detail15normal_iteratorINSC_10device_ptrIKfEEEESI_EEEEESK_NSA_INS5_IJNSE_INSF_IfEEEESM_EEEEEPS7_SP_SP_NSC_11hip_rocprim7__merge17predicate_wrapperIffNSC_4lessIfEEEEEE10hipError_tPvRmT0_T1_T2_T3_T4_T5_mmT6_P12ihipStream_tbEUlT_E0_NS1_11comp_targetILNS1_3genE10ELNS1_11target_archE1201ELNS1_3gpuE5ELNS1_3repE0EEENS1_30default_config_static_selectorELNS0_4arch9wavefront6targetE0EEEvS10_ ; -- Begin function _ZN7rocprim17ROCPRIM_400000_NS6detail17trampoline_kernelINS0_14default_configENS1_21merge_config_selectorINS0_5tupleIJffEEENS0_10empty_typeEEEZNS1_10merge_implIS3_NS0_12zip_iteratorINS5_IJN6thrust23THRUST_200600_302600_NS6detail15normal_iteratorINSC_10device_ptrIKfEEEESI_EEEEESK_NSA_INS5_IJNSE_INSF_IfEEEESM_EEEEEPS7_SP_SP_NSC_11hip_rocprim7__merge17predicate_wrapperIffNSC_4lessIfEEEEEE10hipError_tPvRmT0_T1_T2_T3_T4_T5_mmT6_P12ihipStream_tbEUlT_E0_NS1_11comp_targetILNS1_3genE10ELNS1_11target_archE1201ELNS1_3gpuE5ELNS1_3repE0EEENS1_30default_config_static_selectorELNS0_4arch9wavefront6targetE0EEEvS10_
	.globl	_ZN7rocprim17ROCPRIM_400000_NS6detail17trampoline_kernelINS0_14default_configENS1_21merge_config_selectorINS0_5tupleIJffEEENS0_10empty_typeEEEZNS1_10merge_implIS3_NS0_12zip_iteratorINS5_IJN6thrust23THRUST_200600_302600_NS6detail15normal_iteratorINSC_10device_ptrIKfEEEESI_EEEEESK_NSA_INS5_IJNSE_INSF_IfEEEESM_EEEEEPS7_SP_SP_NSC_11hip_rocprim7__merge17predicate_wrapperIffNSC_4lessIfEEEEEE10hipError_tPvRmT0_T1_T2_T3_T4_T5_mmT6_P12ihipStream_tbEUlT_E0_NS1_11comp_targetILNS1_3genE10ELNS1_11target_archE1201ELNS1_3gpuE5ELNS1_3repE0EEENS1_30default_config_static_selectorELNS0_4arch9wavefront6targetE0EEEvS10_
	.p2align	8
	.type	_ZN7rocprim17ROCPRIM_400000_NS6detail17trampoline_kernelINS0_14default_configENS1_21merge_config_selectorINS0_5tupleIJffEEENS0_10empty_typeEEEZNS1_10merge_implIS3_NS0_12zip_iteratorINS5_IJN6thrust23THRUST_200600_302600_NS6detail15normal_iteratorINSC_10device_ptrIKfEEEESI_EEEEESK_NSA_INS5_IJNSE_INSF_IfEEEESM_EEEEEPS7_SP_SP_NSC_11hip_rocprim7__merge17predicate_wrapperIffNSC_4lessIfEEEEEE10hipError_tPvRmT0_T1_T2_T3_T4_T5_mmT6_P12ihipStream_tbEUlT_E0_NS1_11comp_targetILNS1_3genE10ELNS1_11target_archE1201ELNS1_3gpuE5ELNS1_3repE0EEENS1_30default_config_static_selectorELNS0_4arch9wavefront6targetE0EEEvS10_,@function
_ZN7rocprim17ROCPRIM_400000_NS6detail17trampoline_kernelINS0_14default_configENS1_21merge_config_selectorINS0_5tupleIJffEEENS0_10empty_typeEEEZNS1_10merge_implIS3_NS0_12zip_iteratorINS5_IJN6thrust23THRUST_200600_302600_NS6detail15normal_iteratorINSC_10device_ptrIKfEEEESI_EEEEESK_NSA_INS5_IJNSE_INSF_IfEEEESM_EEEEEPS7_SP_SP_NSC_11hip_rocprim7__merge17predicate_wrapperIffNSC_4lessIfEEEEEE10hipError_tPvRmT0_T1_T2_T3_T4_T5_mmT6_P12ihipStream_tbEUlT_E0_NS1_11comp_targetILNS1_3genE10ELNS1_11target_archE1201ELNS1_3gpuE5ELNS1_3repE0EEENS1_30default_config_static_selectorELNS0_4arch9wavefront6targetE0EEEvS10_: ; @_ZN7rocprim17ROCPRIM_400000_NS6detail17trampoline_kernelINS0_14default_configENS1_21merge_config_selectorINS0_5tupleIJffEEENS0_10empty_typeEEEZNS1_10merge_implIS3_NS0_12zip_iteratorINS5_IJN6thrust23THRUST_200600_302600_NS6detail15normal_iteratorINSC_10device_ptrIKfEEEESI_EEEEESK_NSA_INS5_IJNSE_INSF_IfEEEESM_EEEEEPS7_SP_SP_NSC_11hip_rocprim7__merge17predicate_wrapperIffNSC_4lessIfEEEEEE10hipError_tPvRmT0_T1_T2_T3_T4_T5_mmT6_P12ihipStream_tbEUlT_E0_NS1_11comp_targetILNS1_3genE10ELNS1_11target_archE1201ELNS1_3gpuE5ELNS1_3repE0EEENS1_30default_config_static_selectorELNS0_4arch9wavefront6targetE0EEEvS10_
; %bb.0:
	.section	.rodata,"a",@progbits
	.p2align	6, 0x0
	.amdhsa_kernel _ZN7rocprim17ROCPRIM_400000_NS6detail17trampoline_kernelINS0_14default_configENS1_21merge_config_selectorINS0_5tupleIJffEEENS0_10empty_typeEEEZNS1_10merge_implIS3_NS0_12zip_iteratorINS5_IJN6thrust23THRUST_200600_302600_NS6detail15normal_iteratorINSC_10device_ptrIKfEEEESI_EEEEESK_NSA_INS5_IJNSE_INSF_IfEEEESM_EEEEEPS7_SP_SP_NSC_11hip_rocprim7__merge17predicate_wrapperIffNSC_4lessIfEEEEEE10hipError_tPvRmT0_T1_T2_T3_T4_T5_mmT6_P12ihipStream_tbEUlT_E0_NS1_11comp_targetILNS1_3genE10ELNS1_11target_archE1201ELNS1_3gpuE5ELNS1_3repE0EEENS1_30default_config_static_selectorELNS0_4arch9wavefront6targetE0EEEvS10_
		.amdhsa_group_segment_fixed_size 0
		.amdhsa_private_segment_fixed_size 0
		.amdhsa_kernarg_size 112
		.amdhsa_user_sgpr_count 2
		.amdhsa_user_sgpr_dispatch_ptr 0
		.amdhsa_user_sgpr_queue_ptr 0
		.amdhsa_user_sgpr_kernarg_segment_ptr 1
		.amdhsa_user_sgpr_dispatch_id 0
		.amdhsa_user_sgpr_kernarg_preload_length 0
		.amdhsa_user_sgpr_kernarg_preload_offset 0
		.amdhsa_user_sgpr_private_segment_size 0
		.amdhsa_wavefront_size32 1
		.amdhsa_uses_dynamic_stack 0
		.amdhsa_enable_private_segment 0
		.amdhsa_system_sgpr_workgroup_id_x 1
		.amdhsa_system_sgpr_workgroup_id_y 0
		.amdhsa_system_sgpr_workgroup_id_z 0
		.amdhsa_system_sgpr_workgroup_info 0
		.amdhsa_system_vgpr_workitem_id 0
		.amdhsa_next_free_vgpr 1
		.amdhsa_next_free_sgpr 1
		.amdhsa_named_barrier_count 0
		.amdhsa_reserve_vcc 0
		.amdhsa_float_round_mode_32 0
		.amdhsa_float_round_mode_16_64 0
		.amdhsa_float_denorm_mode_32 3
		.amdhsa_float_denorm_mode_16_64 3
		.amdhsa_fp16_overflow 0
		.amdhsa_memory_ordered 1
		.amdhsa_forward_progress 1
		.amdhsa_inst_pref_size 0
		.amdhsa_round_robin_scheduling 0
		.amdhsa_exception_fp_ieee_invalid_op 0
		.amdhsa_exception_fp_denorm_src 0
		.amdhsa_exception_fp_ieee_div_zero 0
		.amdhsa_exception_fp_ieee_overflow 0
		.amdhsa_exception_fp_ieee_underflow 0
		.amdhsa_exception_fp_ieee_inexact 0
		.amdhsa_exception_int_div_zero 0
	.end_amdhsa_kernel
	.section	.text._ZN7rocprim17ROCPRIM_400000_NS6detail17trampoline_kernelINS0_14default_configENS1_21merge_config_selectorINS0_5tupleIJffEEENS0_10empty_typeEEEZNS1_10merge_implIS3_NS0_12zip_iteratorINS5_IJN6thrust23THRUST_200600_302600_NS6detail15normal_iteratorINSC_10device_ptrIKfEEEESI_EEEEESK_NSA_INS5_IJNSE_INSF_IfEEEESM_EEEEEPS7_SP_SP_NSC_11hip_rocprim7__merge17predicate_wrapperIffNSC_4lessIfEEEEEE10hipError_tPvRmT0_T1_T2_T3_T4_T5_mmT6_P12ihipStream_tbEUlT_E0_NS1_11comp_targetILNS1_3genE10ELNS1_11target_archE1201ELNS1_3gpuE5ELNS1_3repE0EEENS1_30default_config_static_selectorELNS0_4arch9wavefront6targetE0EEEvS10_,"axG",@progbits,_ZN7rocprim17ROCPRIM_400000_NS6detail17trampoline_kernelINS0_14default_configENS1_21merge_config_selectorINS0_5tupleIJffEEENS0_10empty_typeEEEZNS1_10merge_implIS3_NS0_12zip_iteratorINS5_IJN6thrust23THRUST_200600_302600_NS6detail15normal_iteratorINSC_10device_ptrIKfEEEESI_EEEEESK_NSA_INS5_IJNSE_INSF_IfEEEESM_EEEEEPS7_SP_SP_NSC_11hip_rocprim7__merge17predicate_wrapperIffNSC_4lessIfEEEEEE10hipError_tPvRmT0_T1_T2_T3_T4_T5_mmT6_P12ihipStream_tbEUlT_E0_NS1_11comp_targetILNS1_3genE10ELNS1_11target_archE1201ELNS1_3gpuE5ELNS1_3repE0EEENS1_30default_config_static_selectorELNS0_4arch9wavefront6targetE0EEEvS10_,comdat
.Lfunc_end73:
	.size	_ZN7rocprim17ROCPRIM_400000_NS6detail17trampoline_kernelINS0_14default_configENS1_21merge_config_selectorINS0_5tupleIJffEEENS0_10empty_typeEEEZNS1_10merge_implIS3_NS0_12zip_iteratorINS5_IJN6thrust23THRUST_200600_302600_NS6detail15normal_iteratorINSC_10device_ptrIKfEEEESI_EEEEESK_NSA_INS5_IJNSE_INSF_IfEEEESM_EEEEEPS7_SP_SP_NSC_11hip_rocprim7__merge17predicate_wrapperIffNSC_4lessIfEEEEEE10hipError_tPvRmT0_T1_T2_T3_T4_T5_mmT6_P12ihipStream_tbEUlT_E0_NS1_11comp_targetILNS1_3genE10ELNS1_11target_archE1201ELNS1_3gpuE5ELNS1_3repE0EEENS1_30default_config_static_selectorELNS0_4arch9wavefront6targetE0EEEvS10_, .Lfunc_end73-_ZN7rocprim17ROCPRIM_400000_NS6detail17trampoline_kernelINS0_14default_configENS1_21merge_config_selectorINS0_5tupleIJffEEENS0_10empty_typeEEEZNS1_10merge_implIS3_NS0_12zip_iteratorINS5_IJN6thrust23THRUST_200600_302600_NS6detail15normal_iteratorINSC_10device_ptrIKfEEEESI_EEEEESK_NSA_INS5_IJNSE_INSF_IfEEEESM_EEEEEPS7_SP_SP_NSC_11hip_rocprim7__merge17predicate_wrapperIffNSC_4lessIfEEEEEE10hipError_tPvRmT0_T1_T2_T3_T4_T5_mmT6_P12ihipStream_tbEUlT_E0_NS1_11comp_targetILNS1_3genE10ELNS1_11target_archE1201ELNS1_3gpuE5ELNS1_3repE0EEENS1_30default_config_static_selectorELNS0_4arch9wavefront6targetE0EEEvS10_
                                        ; -- End function
	.set _ZN7rocprim17ROCPRIM_400000_NS6detail17trampoline_kernelINS0_14default_configENS1_21merge_config_selectorINS0_5tupleIJffEEENS0_10empty_typeEEEZNS1_10merge_implIS3_NS0_12zip_iteratorINS5_IJN6thrust23THRUST_200600_302600_NS6detail15normal_iteratorINSC_10device_ptrIKfEEEESI_EEEEESK_NSA_INS5_IJNSE_INSF_IfEEEESM_EEEEEPS7_SP_SP_NSC_11hip_rocprim7__merge17predicate_wrapperIffNSC_4lessIfEEEEEE10hipError_tPvRmT0_T1_T2_T3_T4_T5_mmT6_P12ihipStream_tbEUlT_E0_NS1_11comp_targetILNS1_3genE10ELNS1_11target_archE1201ELNS1_3gpuE5ELNS1_3repE0EEENS1_30default_config_static_selectorELNS0_4arch9wavefront6targetE0EEEvS10_.num_vgpr, 0
	.set _ZN7rocprim17ROCPRIM_400000_NS6detail17trampoline_kernelINS0_14default_configENS1_21merge_config_selectorINS0_5tupleIJffEEENS0_10empty_typeEEEZNS1_10merge_implIS3_NS0_12zip_iteratorINS5_IJN6thrust23THRUST_200600_302600_NS6detail15normal_iteratorINSC_10device_ptrIKfEEEESI_EEEEESK_NSA_INS5_IJNSE_INSF_IfEEEESM_EEEEEPS7_SP_SP_NSC_11hip_rocprim7__merge17predicate_wrapperIffNSC_4lessIfEEEEEE10hipError_tPvRmT0_T1_T2_T3_T4_T5_mmT6_P12ihipStream_tbEUlT_E0_NS1_11comp_targetILNS1_3genE10ELNS1_11target_archE1201ELNS1_3gpuE5ELNS1_3repE0EEENS1_30default_config_static_selectorELNS0_4arch9wavefront6targetE0EEEvS10_.num_agpr, 0
	.set _ZN7rocprim17ROCPRIM_400000_NS6detail17trampoline_kernelINS0_14default_configENS1_21merge_config_selectorINS0_5tupleIJffEEENS0_10empty_typeEEEZNS1_10merge_implIS3_NS0_12zip_iteratorINS5_IJN6thrust23THRUST_200600_302600_NS6detail15normal_iteratorINSC_10device_ptrIKfEEEESI_EEEEESK_NSA_INS5_IJNSE_INSF_IfEEEESM_EEEEEPS7_SP_SP_NSC_11hip_rocprim7__merge17predicate_wrapperIffNSC_4lessIfEEEEEE10hipError_tPvRmT0_T1_T2_T3_T4_T5_mmT6_P12ihipStream_tbEUlT_E0_NS1_11comp_targetILNS1_3genE10ELNS1_11target_archE1201ELNS1_3gpuE5ELNS1_3repE0EEENS1_30default_config_static_selectorELNS0_4arch9wavefront6targetE0EEEvS10_.numbered_sgpr, 0
	.set _ZN7rocprim17ROCPRIM_400000_NS6detail17trampoline_kernelINS0_14default_configENS1_21merge_config_selectorINS0_5tupleIJffEEENS0_10empty_typeEEEZNS1_10merge_implIS3_NS0_12zip_iteratorINS5_IJN6thrust23THRUST_200600_302600_NS6detail15normal_iteratorINSC_10device_ptrIKfEEEESI_EEEEESK_NSA_INS5_IJNSE_INSF_IfEEEESM_EEEEEPS7_SP_SP_NSC_11hip_rocprim7__merge17predicate_wrapperIffNSC_4lessIfEEEEEE10hipError_tPvRmT0_T1_T2_T3_T4_T5_mmT6_P12ihipStream_tbEUlT_E0_NS1_11comp_targetILNS1_3genE10ELNS1_11target_archE1201ELNS1_3gpuE5ELNS1_3repE0EEENS1_30default_config_static_selectorELNS0_4arch9wavefront6targetE0EEEvS10_.num_named_barrier, 0
	.set _ZN7rocprim17ROCPRIM_400000_NS6detail17trampoline_kernelINS0_14default_configENS1_21merge_config_selectorINS0_5tupleIJffEEENS0_10empty_typeEEEZNS1_10merge_implIS3_NS0_12zip_iteratorINS5_IJN6thrust23THRUST_200600_302600_NS6detail15normal_iteratorINSC_10device_ptrIKfEEEESI_EEEEESK_NSA_INS5_IJNSE_INSF_IfEEEESM_EEEEEPS7_SP_SP_NSC_11hip_rocprim7__merge17predicate_wrapperIffNSC_4lessIfEEEEEE10hipError_tPvRmT0_T1_T2_T3_T4_T5_mmT6_P12ihipStream_tbEUlT_E0_NS1_11comp_targetILNS1_3genE10ELNS1_11target_archE1201ELNS1_3gpuE5ELNS1_3repE0EEENS1_30default_config_static_selectorELNS0_4arch9wavefront6targetE0EEEvS10_.private_seg_size, 0
	.set _ZN7rocprim17ROCPRIM_400000_NS6detail17trampoline_kernelINS0_14default_configENS1_21merge_config_selectorINS0_5tupleIJffEEENS0_10empty_typeEEEZNS1_10merge_implIS3_NS0_12zip_iteratorINS5_IJN6thrust23THRUST_200600_302600_NS6detail15normal_iteratorINSC_10device_ptrIKfEEEESI_EEEEESK_NSA_INS5_IJNSE_INSF_IfEEEESM_EEEEEPS7_SP_SP_NSC_11hip_rocprim7__merge17predicate_wrapperIffNSC_4lessIfEEEEEE10hipError_tPvRmT0_T1_T2_T3_T4_T5_mmT6_P12ihipStream_tbEUlT_E0_NS1_11comp_targetILNS1_3genE10ELNS1_11target_archE1201ELNS1_3gpuE5ELNS1_3repE0EEENS1_30default_config_static_selectorELNS0_4arch9wavefront6targetE0EEEvS10_.uses_vcc, 0
	.set _ZN7rocprim17ROCPRIM_400000_NS6detail17trampoline_kernelINS0_14default_configENS1_21merge_config_selectorINS0_5tupleIJffEEENS0_10empty_typeEEEZNS1_10merge_implIS3_NS0_12zip_iteratorINS5_IJN6thrust23THRUST_200600_302600_NS6detail15normal_iteratorINSC_10device_ptrIKfEEEESI_EEEEESK_NSA_INS5_IJNSE_INSF_IfEEEESM_EEEEEPS7_SP_SP_NSC_11hip_rocprim7__merge17predicate_wrapperIffNSC_4lessIfEEEEEE10hipError_tPvRmT0_T1_T2_T3_T4_T5_mmT6_P12ihipStream_tbEUlT_E0_NS1_11comp_targetILNS1_3genE10ELNS1_11target_archE1201ELNS1_3gpuE5ELNS1_3repE0EEENS1_30default_config_static_selectorELNS0_4arch9wavefront6targetE0EEEvS10_.uses_flat_scratch, 0
	.set _ZN7rocprim17ROCPRIM_400000_NS6detail17trampoline_kernelINS0_14default_configENS1_21merge_config_selectorINS0_5tupleIJffEEENS0_10empty_typeEEEZNS1_10merge_implIS3_NS0_12zip_iteratorINS5_IJN6thrust23THRUST_200600_302600_NS6detail15normal_iteratorINSC_10device_ptrIKfEEEESI_EEEEESK_NSA_INS5_IJNSE_INSF_IfEEEESM_EEEEEPS7_SP_SP_NSC_11hip_rocprim7__merge17predicate_wrapperIffNSC_4lessIfEEEEEE10hipError_tPvRmT0_T1_T2_T3_T4_T5_mmT6_P12ihipStream_tbEUlT_E0_NS1_11comp_targetILNS1_3genE10ELNS1_11target_archE1201ELNS1_3gpuE5ELNS1_3repE0EEENS1_30default_config_static_selectorELNS0_4arch9wavefront6targetE0EEEvS10_.has_dyn_sized_stack, 0
	.set _ZN7rocprim17ROCPRIM_400000_NS6detail17trampoline_kernelINS0_14default_configENS1_21merge_config_selectorINS0_5tupleIJffEEENS0_10empty_typeEEEZNS1_10merge_implIS3_NS0_12zip_iteratorINS5_IJN6thrust23THRUST_200600_302600_NS6detail15normal_iteratorINSC_10device_ptrIKfEEEESI_EEEEESK_NSA_INS5_IJNSE_INSF_IfEEEESM_EEEEEPS7_SP_SP_NSC_11hip_rocprim7__merge17predicate_wrapperIffNSC_4lessIfEEEEEE10hipError_tPvRmT0_T1_T2_T3_T4_T5_mmT6_P12ihipStream_tbEUlT_E0_NS1_11comp_targetILNS1_3genE10ELNS1_11target_archE1201ELNS1_3gpuE5ELNS1_3repE0EEENS1_30default_config_static_selectorELNS0_4arch9wavefront6targetE0EEEvS10_.has_recursion, 0
	.set _ZN7rocprim17ROCPRIM_400000_NS6detail17trampoline_kernelINS0_14default_configENS1_21merge_config_selectorINS0_5tupleIJffEEENS0_10empty_typeEEEZNS1_10merge_implIS3_NS0_12zip_iteratorINS5_IJN6thrust23THRUST_200600_302600_NS6detail15normal_iteratorINSC_10device_ptrIKfEEEESI_EEEEESK_NSA_INS5_IJNSE_INSF_IfEEEESM_EEEEEPS7_SP_SP_NSC_11hip_rocprim7__merge17predicate_wrapperIffNSC_4lessIfEEEEEE10hipError_tPvRmT0_T1_T2_T3_T4_T5_mmT6_P12ihipStream_tbEUlT_E0_NS1_11comp_targetILNS1_3genE10ELNS1_11target_archE1201ELNS1_3gpuE5ELNS1_3repE0EEENS1_30default_config_static_selectorELNS0_4arch9wavefront6targetE0EEEvS10_.has_indirect_call, 0
	.section	.AMDGPU.csdata,"",@progbits
; Kernel info:
; codeLenInByte = 0
; TotalNumSgprs: 0
; NumVgprs: 0
; ScratchSize: 0
; MemoryBound: 0
; FloatMode: 240
; IeeeMode: 1
; LDSByteSize: 0 bytes/workgroup (compile time only)
; SGPRBlocks: 0
; VGPRBlocks: 0
; NumSGPRsForWavesPerEU: 1
; NumVGPRsForWavesPerEU: 1
; NamedBarCnt: 0
; Occupancy: 16
; WaveLimiterHint : 0
; COMPUTE_PGM_RSRC2:SCRATCH_EN: 0
; COMPUTE_PGM_RSRC2:USER_SGPR: 2
; COMPUTE_PGM_RSRC2:TRAP_HANDLER: 0
; COMPUTE_PGM_RSRC2:TGID_X_EN: 1
; COMPUTE_PGM_RSRC2:TGID_Y_EN: 0
; COMPUTE_PGM_RSRC2:TGID_Z_EN: 0
; COMPUTE_PGM_RSRC2:TIDIG_COMP_CNT: 0
	.section	.text._ZN7rocprim17ROCPRIM_400000_NS6detail17trampoline_kernelINS0_14default_configENS1_21merge_config_selectorINS0_5tupleIJffEEENS0_10empty_typeEEEZNS1_10merge_implIS3_NS0_12zip_iteratorINS5_IJN6thrust23THRUST_200600_302600_NS6detail15normal_iteratorINSC_10device_ptrIKfEEEESI_EEEEESK_NSA_INS5_IJNSE_INSF_IfEEEESM_EEEEEPS7_SP_SP_NSC_11hip_rocprim7__merge17predicate_wrapperIffNSC_4lessIfEEEEEE10hipError_tPvRmT0_T1_T2_T3_T4_T5_mmT6_P12ihipStream_tbEUlT_E0_NS1_11comp_targetILNS1_3genE10ELNS1_11target_archE1200ELNS1_3gpuE4ELNS1_3repE0EEENS1_30default_config_static_selectorELNS0_4arch9wavefront6targetE0EEEvS10_,"axG",@progbits,_ZN7rocprim17ROCPRIM_400000_NS6detail17trampoline_kernelINS0_14default_configENS1_21merge_config_selectorINS0_5tupleIJffEEENS0_10empty_typeEEEZNS1_10merge_implIS3_NS0_12zip_iteratorINS5_IJN6thrust23THRUST_200600_302600_NS6detail15normal_iteratorINSC_10device_ptrIKfEEEESI_EEEEESK_NSA_INS5_IJNSE_INSF_IfEEEESM_EEEEEPS7_SP_SP_NSC_11hip_rocprim7__merge17predicate_wrapperIffNSC_4lessIfEEEEEE10hipError_tPvRmT0_T1_T2_T3_T4_T5_mmT6_P12ihipStream_tbEUlT_E0_NS1_11comp_targetILNS1_3genE10ELNS1_11target_archE1200ELNS1_3gpuE4ELNS1_3repE0EEENS1_30default_config_static_selectorELNS0_4arch9wavefront6targetE0EEEvS10_,comdat
	.protected	_ZN7rocprim17ROCPRIM_400000_NS6detail17trampoline_kernelINS0_14default_configENS1_21merge_config_selectorINS0_5tupleIJffEEENS0_10empty_typeEEEZNS1_10merge_implIS3_NS0_12zip_iteratorINS5_IJN6thrust23THRUST_200600_302600_NS6detail15normal_iteratorINSC_10device_ptrIKfEEEESI_EEEEESK_NSA_INS5_IJNSE_INSF_IfEEEESM_EEEEEPS7_SP_SP_NSC_11hip_rocprim7__merge17predicate_wrapperIffNSC_4lessIfEEEEEE10hipError_tPvRmT0_T1_T2_T3_T4_T5_mmT6_P12ihipStream_tbEUlT_E0_NS1_11comp_targetILNS1_3genE10ELNS1_11target_archE1200ELNS1_3gpuE4ELNS1_3repE0EEENS1_30default_config_static_selectorELNS0_4arch9wavefront6targetE0EEEvS10_ ; -- Begin function _ZN7rocprim17ROCPRIM_400000_NS6detail17trampoline_kernelINS0_14default_configENS1_21merge_config_selectorINS0_5tupleIJffEEENS0_10empty_typeEEEZNS1_10merge_implIS3_NS0_12zip_iteratorINS5_IJN6thrust23THRUST_200600_302600_NS6detail15normal_iteratorINSC_10device_ptrIKfEEEESI_EEEEESK_NSA_INS5_IJNSE_INSF_IfEEEESM_EEEEEPS7_SP_SP_NSC_11hip_rocprim7__merge17predicate_wrapperIffNSC_4lessIfEEEEEE10hipError_tPvRmT0_T1_T2_T3_T4_T5_mmT6_P12ihipStream_tbEUlT_E0_NS1_11comp_targetILNS1_3genE10ELNS1_11target_archE1200ELNS1_3gpuE4ELNS1_3repE0EEENS1_30default_config_static_selectorELNS0_4arch9wavefront6targetE0EEEvS10_
	.globl	_ZN7rocprim17ROCPRIM_400000_NS6detail17trampoline_kernelINS0_14default_configENS1_21merge_config_selectorINS0_5tupleIJffEEENS0_10empty_typeEEEZNS1_10merge_implIS3_NS0_12zip_iteratorINS5_IJN6thrust23THRUST_200600_302600_NS6detail15normal_iteratorINSC_10device_ptrIKfEEEESI_EEEEESK_NSA_INS5_IJNSE_INSF_IfEEEESM_EEEEEPS7_SP_SP_NSC_11hip_rocprim7__merge17predicate_wrapperIffNSC_4lessIfEEEEEE10hipError_tPvRmT0_T1_T2_T3_T4_T5_mmT6_P12ihipStream_tbEUlT_E0_NS1_11comp_targetILNS1_3genE10ELNS1_11target_archE1200ELNS1_3gpuE4ELNS1_3repE0EEENS1_30default_config_static_selectorELNS0_4arch9wavefront6targetE0EEEvS10_
	.p2align	8
	.type	_ZN7rocprim17ROCPRIM_400000_NS6detail17trampoline_kernelINS0_14default_configENS1_21merge_config_selectorINS0_5tupleIJffEEENS0_10empty_typeEEEZNS1_10merge_implIS3_NS0_12zip_iteratorINS5_IJN6thrust23THRUST_200600_302600_NS6detail15normal_iteratorINSC_10device_ptrIKfEEEESI_EEEEESK_NSA_INS5_IJNSE_INSF_IfEEEESM_EEEEEPS7_SP_SP_NSC_11hip_rocprim7__merge17predicate_wrapperIffNSC_4lessIfEEEEEE10hipError_tPvRmT0_T1_T2_T3_T4_T5_mmT6_P12ihipStream_tbEUlT_E0_NS1_11comp_targetILNS1_3genE10ELNS1_11target_archE1200ELNS1_3gpuE4ELNS1_3repE0EEENS1_30default_config_static_selectorELNS0_4arch9wavefront6targetE0EEEvS10_,@function
_ZN7rocprim17ROCPRIM_400000_NS6detail17trampoline_kernelINS0_14default_configENS1_21merge_config_selectorINS0_5tupleIJffEEENS0_10empty_typeEEEZNS1_10merge_implIS3_NS0_12zip_iteratorINS5_IJN6thrust23THRUST_200600_302600_NS6detail15normal_iteratorINSC_10device_ptrIKfEEEESI_EEEEESK_NSA_INS5_IJNSE_INSF_IfEEEESM_EEEEEPS7_SP_SP_NSC_11hip_rocprim7__merge17predicate_wrapperIffNSC_4lessIfEEEEEE10hipError_tPvRmT0_T1_T2_T3_T4_T5_mmT6_P12ihipStream_tbEUlT_E0_NS1_11comp_targetILNS1_3genE10ELNS1_11target_archE1200ELNS1_3gpuE4ELNS1_3repE0EEENS1_30default_config_static_selectorELNS0_4arch9wavefront6targetE0EEEvS10_: ; @_ZN7rocprim17ROCPRIM_400000_NS6detail17trampoline_kernelINS0_14default_configENS1_21merge_config_selectorINS0_5tupleIJffEEENS0_10empty_typeEEEZNS1_10merge_implIS3_NS0_12zip_iteratorINS5_IJN6thrust23THRUST_200600_302600_NS6detail15normal_iteratorINSC_10device_ptrIKfEEEESI_EEEEESK_NSA_INS5_IJNSE_INSF_IfEEEESM_EEEEEPS7_SP_SP_NSC_11hip_rocprim7__merge17predicate_wrapperIffNSC_4lessIfEEEEEE10hipError_tPvRmT0_T1_T2_T3_T4_T5_mmT6_P12ihipStream_tbEUlT_E0_NS1_11comp_targetILNS1_3genE10ELNS1_11target_archE1200ELNS1_3gpuE4ELNS1_3repE0EEENS1_30default_config_static_selectorELNS0_4arch9wavefront6targetE0EEEvS10_
; %bb.0:
	.section	.rodata,"a",@progbits
	.p2align	6, 0x0
	.amdhsa_kernel _ZN7rocprim17ROCPRIM_400000_NS6detail17trampoline_kernelINS0_14default_configENS1_21merge_config_selectorINS0_5tupleIJffEEENS0_10empty_typeEEEZNS1_10merge_implIS3_NS0_12zip_iteratorINS5_IJN6thrust23THRUST_200600_302600_NS6detail15normal_iteratorINSC_10device_ptrIKfEEEESI_EEEEESK_NSA_INS5_IJNSE_INSF_IfEEEESM_EEEEEPS7_SP_SP_NSC_11hip_rocprim7__merge17predicate_wrapperIffNSC_4lessIfEEEEEE10hipError_tPvRmT0_T1_T2_T3_T4_T5_mmT6_P12ihipStream_tbEUlT_E0_NS1_11comp_targetILNS1_3genE10ELNS1_11target_archE1200ELNS1_3gpuE4ELNS1_3repE0EEENS1_30default_config_static_selectorELNS0_4arch9wavefront6targetE0EEEvS10_
		.amdhsa_group_segment_fixed_size 0
		.amdhsa_private_segment_fixed_size 0
		.amdhsa_kernarg_size 112
		.amdhsa_user_sgpr_count 2
		.amdhsa_user_sgpr_dispatch_ptr 0
		.amdhsa_user_sgpr_queue_ptr 0
		.amdhsa_user_sgpr_kernarg_segment_ptr 1
		.amdhsa_user_sgpr_dispatch_id 0
		.amdhsa_user_sgpr_kernarg_preload_length 0
		.amdhsa_user_sgpr_kernarg_preload_offset 0
		.amdhsa_user_sgpr_private_segment_size 0
		.amdhsa_wavefront_size32 1
		.amdhsa_uses_dynamic_stack 0
		.amdhsa_enable_private_segment 0
		.amdhsa_system_sgpr_workgroup_id_x 1
		.amdhsa_system_sgpr_workgroup_id_y 0
		.amdhsa_system_sgpr_workgroup_id_z 0
		.amdhsa_system_sgpr_workgroup_info 0
		.amdhsa_system_vgpr_workitem_id 0
		.amdhsa_next_free_vgpr 1
		.amdhsa_next_free_sgpr 1
		.amdhsa_named_barrier_count 0
		.amdhsa_reserve_vcc 0
		.amdhsa_float_round_mode_32 0
		.amdhsa_float_round_mode_16_64 0
		.amdhsa_float_denorm_mode_32 3
		.amdhsa_float_denorm_mode_16_64 3
		.amdhsa_fp16_overflow 0
		.amdhsa_memory_ordered 1
		.amdhsa_forward_progress 1
		.amdhsa_inst_pref_size 0
		.amdhsa_round_robin_scheduling 0
		.amdhsa_exception_fp_ieee_invalid_op 0
		.amdhsa_exception_fp_denorm_src 0
		.amdhsa_exception_fp_ieee_div_zero 0
		.amdhsa_exception_fp_ieee_overflow 0
		.amdhsa_exception_fp_ieee_underflow 0
		.amdhsa_exception_fp_ieee_inexact 0
		.amdhsa_exception_int_div_zero 0
	.end_amdhsa_kernel
	.section	.text._ZN7rocprim17ROCPRIM_400000_NS6detail17trampoline_kernelINS0_14default_configENS1_21merge_config_selectorINS0_5tupleIJffEEENS0_10empty_typeEEEZNS1_10merge_implIS3_NS0_12zip_iteratorINS5_IJN6thrust23THRUST_200600_302600_NS6detail15normal_iteratorINSC_10device_ptrIKfEEEESI_EEEEESK_NSA_INS5_IJNSE_INSF_IfEEEESM_EEEEEPS7_SP_SP_NSC_11hip_rocprim7__merge17predicate_wrapperIffNSC_4lessIfEEEEEE10hipError_tPvRmT0_T1_T2_T3_T4_T5_mmT6_P12ihipStream_tbEUlT_E0_NS1_11comp_targetILNS1_3genE10ELNS1_11target_archE1200ELNS1_3gpuE4ELNS1_3repE0EEENS1_30default_config_static_selectorELNS0_4arch9wavefront6targetE0EEEvS10_,"axG",@progbits,_ZN7rocprim17ROCPRIM_400000_NS6detail17trampoline_kernelINS0_14default_configENS1_21merge_config_selectorINS0_5tupleIJffEEENS0_10empty_typeEEEZNS1_10merge_implIS3_NS0_12zip_iteratorINS5_IJN6thrust23THRUST_200600_302600_NS6detail15normal_iteratorINSC_10device_ptrIKfEEEESI_EEEEESK_NSA_INS5_IJNSE_INSF_IfEEEESM_EEEEEPS7_SP_SP_NSC_11hip_rocprim7__merge17predicate_wrapperIffNSC_4lessIfEEEEEE10hipError_tPvRmT0_T1_T2_T3_T4_T5_mmT6_P12ihipStream_tbEUlT_E0_NS1_11comp_targetILNS1_3genE10ELNS1_11target_archE1200ELNS1_3gpuE4ELNS1_3repE0EEENS1_30default_config_static_selectorELNS0_4arch9wavefront6targetE0EEEvS10_,comdat
.Lfunc_end74:
	.size	_ZN7rocprim17ROCPRIM_400000_NS6detail17trampoline_kernelINS0_14default_configENS1_21merge_config_selectorINS0_5tupleIJffEEENS0_10empty_typeEEEZNS1_10merge_implIS3_NS0_12zip_iteratorINS5_IJN6thrust23THRUST_200600_302600_NS6detail15normal_iteratorINSC_10device_ptrIKfEEEESI_EEEEESK_NSA_INS5_IJNSE_INSF_IfEEEESM_EEEEEPS7_SP_SP_NSC_11hip_rocprim7__merge17predicate_wrapperIffNSC_4lessIfEEEEEE10hipError_tPvRmT0_T1_T2_T3_T4_T5_mmT6_P12ihipStream_tbEUlT_E0_NS1_11comp_targetILNS1_3genE10ELNS1_11target_archE1200ELNS1_3gpuE4ELNS1_3repE0EEENS1_30default_config_static_selectorELNS0_4arch9wavefront6targetE0EEEvS10_, .Lfunc_end74-_ZN7rocprim17ROCPRIM_400000_NS6detail17trampoline_kernelINS0_14default_configENS1_21merge_config_selectorINS0_5tupleIJffEEENS0_10empty_typeEEEZNS1_10merge_implIS3_NS0_12zip_iteratorINS5_IJN6thrust23THRUST_200600_302600_NS6detail15normal_iteratorINSC_10device_ptrIKfEEEESI_EEEEESK_NSA_INS5_IJNSE_INSF_IfEEEESM_EEEEEPS7_SP_SP_NSC_11hip_rocprim7__merge17predicate_wrapperIffNSC_4lessIfEEEEEE10hipError_tPvRmT0_T1_T2_T3_T4_T5_mmT6_P12ihipStream_tbEUlT_E0_NS1_11comp_targetILNS1_3genE10ELNS1_11target_archE1200ELNS1_3gpuE4ELNS1_3repE0EEENS1_30default_config_static_selectorELNS0_4arch9wavefront6targetE0EEEvS10_
                                        ; -- End function
	.set _ZN7rocprim17ROCPRIM_400000_NS6detail17trampoline_kernelINS0_14default_configENS1_21merge_config_selectorINS0_5tupleIJffEEENS0_10empty_typeEEEZNS1_10merge_implIS3_NS0_12zip_iteratorINS5_IJN6thrust23THRUST_200600_302600_NS6detail15normal_iteratorINSC_10device_ptrIKfEEEESI_EEEEESK_NSA_INS5_IJNSE_INSF_IfEEEESM_EEEEEPS7_SP_SP_NSC_11hip_rocprim7__merge17predicate_wrapperIffNSC_4lessIfEEEEEE10hipError_tPvRmT0_T1_T2_T3_T4_T5_mmT6_P12ihipStream_tbEUlT_E0_NS1_11comp_targetILNS1_3genE10ELNS1_11target_archE1200ELNS1_3gpuE4ELNS1_3repE0EEENS1_30default_config_static_selectorELNS0_4arch9wavefront6targetE0EEEvS10_.num_vgpr, 0
	.set _ZN7rocprim17ROCPRIM_400000_NS6detail17trampoline_kernelINS0_14default_configENS1_21merge_config_selectorINS0_5tupleIJffEEENS0_10empty_typeEEEZNS1_10merge_implIS3_NS0_12zip_iteratorINS5_IJN6thrust23THRUST_200600_302600_NS6detail15normal_iteratorINSC_10device_ptrIKfEEEESI_EEEEESK_NSA_INS5_IJNSE_INSF_IfEEEESM_EEEEEPS7_SP_SP_NSC_11hip_rocprim7__merge17predicate_wrapperIffNSC_4lessIfEEEEEE10hipError_tPvRmT0_T1_T2_T3_T4_T5_mmT6_P12ihipStream_tbEUlT_E0_NS1_11comp_targetILNS1_3genE10ELNS1_11target_archE1200ELNS1_3gpuE4ELNS1_3repE0EEENS1_30default_config_static_selectorELNS0_4arch9wavefront6targetE0EEEvS10_.num_agpr, 0
	.set _ZN7rocprim17ROCPRIM_400000_NS6detail17trampoline_kernelINS0_14default_configENS1_21merge_config_selectorINS0_5tupleIJffEEENS0_10empty_typeEEEZNS1_10merge_implIS3_NS0_12zip_iteratorINS5_IJN6thrust23THRUST_200600_302600_NS6detail15normal_iteratorINSC_10device_ptrIKfEEEESI_EEEEESK_NSA_INS5_IJNSE_INSF_IfEEEESM_EEEEEPS7_SP_SP_NSC_11hip_rocprim7__merge17predicate_wrapperIffNSC_4lessIfEEEEEE10hipError_tPvRmT0_T1_T2_T3_T4_T5_mmT6_P12ihipStream_tbEUlT_E0_NS1_11comp_targetILNS1_3genE10ELNS1_11target_archE1200ELNS1_3gpuE4ELNS1_3repE0EEENS1_30default_config_static_selectorELNS0_4arch9wavefront6targetE0EEEvS10_.numbered_sgpr, 0
	.set _ZN7rocprim17ROCPRIM_400000_NS6detail17trampoline_kernelINS0_14default_configENS1_21merge_config_selectorINS0_5tupleIJffEEENS0_10empty_typeEEEZNS1_10merge_implIS3_NS0_12zip_iteratorINS5_IJN6thrust23THRUST_200600_302600_NS6detail15normal_iteratorINSC_10device_ptrIKfEEEESI_EEEEESK_NSA_INS5_IJNSE_INSF_IfEEEESM_EEEEEPS7_SP_SP_NSC_11hip_rocprim7__merge17predicate_wrapperIffNSC_4lessIfEEEEEE10hipError_tPvRmT0_T1_T2_T3_T4_T5_mmT6_P12ihipStream_tbEUlT_E0_NS1_11comp_targetILNS1_3genE10ELNS1_11target_archE1200ELNS1_3gpuE4ELNS1_3repE0EEENS1_30default_config_static_selectorELNS0_4arch9wavefront6targetE0EEEvS10_.num_named_barrier, 0
	.set _ZN7rocprim17ROCPRIM_400000_NS6detail17trampoline_kernelINS0_14default_configENS1_21merge_config_selectorINS0_5tupleIJffEEENS0_10empty_typeEEEZNS1_10merge_implIS3_NS0_12zip_iteratorINS5_IJN6thrust23THRUST_200600_302600_NS6detail15normal_iteratorINSC_10device_ptrIKfEEEESI_EEEEESK_NSA_INS5_IJNSE_INSF_IfEEEESM_EEEEEPS7_SP_SP_NSC_11hip_rocprim7__merge17predicate_wrapperIffNSC_4lessIfEEEEEE10hipError_tPvRmT0_T1_T2_T3_T4_T5_mmT6_P12ihipStream_tbEUlT_E0_NS1_11comp_targetILNS1_3genE10ELNS1_11target_archE1200ELNS1_3gpuE4ELNS1_3repE0EEENS1_30default_config_static_selectorELNS0_4arch9wavefront6targetE0EEEvS10_.private_seg_size, 0
	.set _ZN7rocprim17ROCPRIM_400000_NS6detail17trampoline_kernelINS0_14default_configENS1_21merge_config_selectorINS0_5tupleIJffEEENS0_10empty_typeEEEZNS1_10merge_implIS3_NS0_12zip_iteratorINS5_IJN6thrust23THRUST_200600_302600_NS6detail15normal_iteratorINSC_10device_ptrIKfEEEESI_EEEEESK_NSA_INS5_IJNSE_INSF_IfEEEESM_EEEEEPS7_SP_SP_NSC_11hip_rocprim7__merge17predicate_wrapperIffNSC_4lessIfEEEEEE10hipError_tPvRmT0_T1_T2_T3_T4_T5_mmT6_P12ihipStream_tbEUlT_E0_NS1_11comp_targetILNS1_3genE10ELNS1_11target_archE1200ELNS1_3gpuE4ELNS1_3repE0EEENS1_30default_config_static_selectorELNS0_4arch9wavefront6targetE0EEEvS10_.uses_vcc, 0
	.set _ZN7rocprim17ROCPRIM_400000_NS6detail17trampoline_kernelINS0_14default_configENS1_21merge_config_selectorINS0_5tupleIJffEEENS0_10empty_typeEEEZNS1_10merge_implIS3_NS0_12zip_iteratorINS5_IJN6thrust23THRUST_200600_302600_NS6detail15normal_iteratorINSC_10device_ptrIKfEEEESI_EEEEESK_NSA_INS5_IJNSE_INSF_IfEEEESM_EEEEEPS7_SP_SP_NSC_11hip_rocprim7__merge17predicate_wrapperIffNSC_4lessIfEEEEEE10hipError_tPvRmT0_T1_T2_T3_T4_T5_mmT6_P12ihipStream_tbEUlT_E0_NS1_11comp_targetILNS1_3genE10ELNS1_11target_archE1200ELNS1_3gpuE4ELNS1_3repE0EEENS1_30default_config_static_selectorELNS0_4arch9wavefront6targetE0EEEvS10_.uses_flat_scratch, 0
	.set _ZN7rocprim17ROCPRIM_400000_NS6detail17trampoline_kernelINS0_14default_configENS1_21merge_config_selectorINS0_5tupleIJffEEENS0_10empty_typeEEEZNS1_10merge_implIS3_NS0_12zip_iteratorINS5_IJN6thrust23THRUST_200600_302600_NS6detail15normal_iteratorINSC_10device_ptrIKfEEEESI_EEEEESK_NSA_INS5_IJNSE_INSF_IfEEEESM_EEEEEPS7_SP_SP_NSC_11hip_rocprim7__merge17predicate_wrapperIffNSC_4lessIfEEEEEE10hipError_tPvRmT0_T1_T2_T3_T4_T5_mmT6_P12ihipStream_tbEUlT_E0_NS1_11comp_targetILNS1_3genE10ELNS1_11target_archE1200ELNS1_3gpuE4ELNS1_3repE0EEENS1_30default_config_static_selectorELNS0_4arch9wavefront6targetE0EEEvS10_.has_dyn_sized_stack, 0
	.set _ZN7rocprim17ROCPRIM_400000_NS6detail17trampoline_kernelINS0_14default_configENS1_21merge_config_selectorINS0_5tupleIJffEEENS0_10empty_typeEEEZNS1_10merge_implIS3_NS0_12zip_iteratorINS5_IJN6thrust23THRUST_200600_302600_NS6detail15normal_iteratorINSC_10device_ptrIKfEEEESI_EEEEESK_NSA_INS5_IJNSE_INSF_IfEEEESM_EEEEEPS7_SP_SP_NSC_11hip_rocprim7__merge17predicate_wrapperIffNSC_4lessIfEEEEEE10hipError_tPvRmT0_T1_T2_T3_T4_T5_mmT6_P12ihipStream_tbEUlT_E0_NS1_11comp_targetILNS1_3genE10ELNS1_11target_archE1200ELNS1_3gpuE4ELNS1_3repE0EEENS1_30default_config_static_selectorELNS0_4arch9wavefront6targetE0EEEvS10_.has_recursion, 0
	.set _ZN7rocprim17ROCPRIM_400000_NS6detail17trampoline_kernelINS0_14default_configENS1_21merge_config_selectorINS0_5tupleIJffEEENS0_10empty_typeEEEZNS1_10merge_implIS3_NS0_12zip_iteratorINS5_IJN6thrust23THRUST_200600_302600_NS6detail15normal_iteratorINSC_10device_ptrIKfEEEESI_EEEEESK_NSA_INS5_IJNSE_INSF_IfEEEESM_EEEEEPS7_SP_SP_NSC_11hip_rocprim7__merge17predicate_wrapperIffNSC_4lessIfEEEEEE10hipError_tPvRmT0_T1_T2_T3_T4_T5_mmT6_P12ihipStream_tbEUlT_E0_NS1_11comp_targetILNS1_3genE10ELNS1_11target_archE1200ELNS1_3gpuE4ELNS1_3repE0EEENS1_30default_config_static_selectorELNS0_4arch9wavefront6targetE0EEEvS10_.has_indirect_call, 0
	.section	.AMDGPU.csdata,"",@progbits
; Kernel info:
; codeLenInByte = 0
; TotalNumSgprs: 0
; NumVgprs: 0
; ScratchSize: 0
; MemoryBound: 0
; FloatMode: 240
; IeeeMode: 1
; LDSByteSize: 0 bytes/workgroup (compile time only)
; SGPRBlocks: 0
; VGPRBlocks: 0
; NumSGPRsForWavesPerEU: 1
; NumVGPRsForWavesPerEU: 1
; NamedBarCnt: 0
; Occupancy: 16
; WaveLimiterHint : 0
; COMPUTE_PGM_RSRC2:SCRATCH_EN: 0
; COMPUTE_PGM_RSRC2:USER_SGPR: 2
; COMPUTE_PGM_RSRC2:TRAP_HANDLER: 0
; COMPUTE_PGM_RSRC2:TGID_X_EN: 1
; COMPUTE_PGM_RSRC2:TGID_Y_EN: 0
; COMPUTE_PGM_RSRC2:TGID_Z_EN: 0
; COMPUTE_PGM_RSRC2:TIDIG_COMP_CNT: 0
	.section	.text._ZN7rocprim17ROCPRIM_400000_NS6detail17trampoline_kernelINS0_14default_configENS1_21merge_config_selectorINS0_5tupleIJffEEENS0_10empty_typeEEEZNS1_10merge_implIS3_NS0_12zip_iteratorINS5_IJN6thrust23THRUST_200600_302600_NS6detail15normal_iteratorINSC_10device_ptrIKfEEEESI_EEEEESK_NSA_INS5_IJNSE_INSF_IfEEEESM_EEEEEPS7_SP_SP_NSC_11hip_rocprim7__merge17predicate_wrapperIffNSC_4lessIfEEEEEE10hipError_tPvRmT0_T1_T2_T3_T4_T5_mmT6_P12ihipStream_tbEUlT_E0_NS1_11comp_targetILNS1_3genE9ELNS1_11target_archE1100ELNS1_3gpuE3ELNS1_3repE0EEENS1_30default_config_static_selectorELNS0_4arch9wavefront6targetE0EEEvS10_,"axG",@progbits,_ZN7rocprim17ROCPRIM_400000_NS6detail17trampoline_kernelINS0_14default_configENS1_21merge_config_selectorINS0_5tupleIJffEEENS0_10empty_typeEEEZNS1_10merge_implIS3_NS0_12zip_iteratorINS5_IJN6thrust23THRUST_200600_302600_NS6detail15normal_iteratorINSC_10device_ptrIKfEEEESI_EEEEESK_NSA_INS5_IJNSE_INSF_IfEEEESM_EEEEEPS7_SP_SP_NSC_11hip_rocprim7__merge17predicate_wrapperIffNSC_4lessIfEEEEEE10hipError_tPvRmT0_T1_T2_T3_T4_T5_mmT6_P12ihipStream_tbEUlT_E0_NS1_11comp_targetILNS1_3genE9ELNS1_11target_archE1100ELNS1_3gpuE3ELNS1_3repE0EEENS1_30default_config_static_selectorELNS0_4arch9wavefront6targetE0EEEvS10_,comdat
	.protected	_ZN7rocprim17ROCPRIM_400000_NS6detail17trampoline_kernelINS0_14default_configENS1_21merge_config_selectorINS0_5tupleIJffEEENS0_10empty_typeEEEZNS1_10merge_implIS3_NS0_12zip_iteratorINS5_IJN6thrust23THRUST_200600_302600_NS6detail15normal_iteratorINSC_10device_ptrIKfEEEESI_EEEEESK_NSA_INS5_IJNSE_INSF_IfEEEESM_EEEEEPS7_SP_SP_NSC_11hip_rocprim7__merge17predicate_wrapperIffNSC_4lessIfEEEEEE10hipError_tPvRmT0_T1_T2_T3_T4_T5_mmT6_P12ihipStream_tbEUlT_E0_NS1_11comp_targetILNS1_3genE9ELNS1_11target_archE1100ELNS1_3gpuE3ELNS1_3repE0EEENS1_30default_config_static_selectorELNS0_4arch9wavefront6targetE0EEEvS10_ ; -- Begin function _ZN7rocprim17ROCPRIM_400000_NS6detail17trampoline_kernelINS0_14default_configENS1_21merge_config_selectorINS0_5tupleIJffEEENS0_10empty_typeEEEZNS1_10merge_implIS3_NS0_12zip_iteratorINS5_IJN6thrust23THRUST_200600_302600_NS6detail15normal_iteratorINSC_10device_ptrIKfEEEESI_EEEEESK_NSA_INS5_IJNSE_INSF_IfEEEESM_EEEEEPS7_SP_SP_NSC_11hip_rocprim7__merge17predicate_wrapperIffNSC_4lessIfEEEEEE10hipError_tPvRmT0_T1_T2_T3_T4_T5_mmT6_P12ihipStream_tbEUlT_E0_NS1_11comp_targetILNS1_3genE9ELNS1_11target_archE1100ELNS1_3gpuE3ELNS1_3repE0EEENS1_30default_config_static_selectorELNS0_4arch9wavefront6targetE0EEEvS10_
	.globl	_ZN7rocprim17ROCPRIM_400000_NS6detail17trampoline_kernelINS0_14default_configENS1_21merge_config_selectorINS0_5tupleIJffEEENS0_10empty_typeEEEZNS1_10merge_implIS3_NS0_12zip_iteratorINS5_IJN6thrust23THRUST_200600_302600_NS6detail15normal_iteratorINSC_10device_ptrIKfEEEESI_EEEEESK_NSA_INS5_IJNSE_INSF_IfEEEESM_EEEEEPS7_SP_SP_NSC_11hip_rocprim7__merge17predicate_wrapperIffNSC_4lessIfEEEEEE10hipError_tPvRmT0_T1_T2_T3_T4_T5_mmT6_P12ihipStream_tbEUlT_E0_NS1_11comp_targetILNS1_3genE9ELNS1_11target_archE1100ELNS1_3gpuE3ELNS1_3repE0EEENS1_30default_config_static_selectorELNS0_4arch9wavefront6targetE0EEEvS10_
	.p2align	8
	.type	_ZN7rocprim17ROCPRIM_400000_NS6detail17trampoline_kernelINS0_14default_configENS1_21merge_config_selectorINS0_5tupleIJffEEENS0_10empty_typeEEEZNS1_10merge_implIS3_NS0_12zip_iteratorINS5_IJN6thrust23THRUST_200600_302600_NS6detail15normal_iteratorINSC_10device_ptrIKfEEEESI_EEEEESK_NSA_INS5_IJNSE_INSF_IfEEEESM_EEEEEPS7_SP_SP_NSC_11hip_rocprim7__merge17predicate_wrapperIffNSC_4lessIfEEEEEE10hipError_tPvRmT0_T1_T2_T3_T4_T5_mmT6_P12ihipStream_tbEUlT_E0_NS1_11comp_targetILNS1_3genE9ELNS1_11target_archE1100ELNS1_3gpuE3ELNS1_3repE0EEENS1_30default_config_static_selectorELNS0_4arch9wavefront6targetE0EEEvS10_,@function
_ZN7rocprim17ROCPRIM_400000_NS6detail17trampoline_kernelINS0_14default_configENS1_21merge_config_selectorINS0_5tupleIJffEEENS0_10empty_typeEEEZNS1_10merge_implIS3_NS0_12zip_iteratorINS5_IJN6thrust23THRUST_200600_302600_NS6detail15normal_iteratorINSC_10device_ptrIKfEEEESI_EEEEESK_NSA_INS5_IJNSE_INSF_IfEEEESM_EEEEEPS7_SP_SP_NSC_11hip_rocprim7__merge17predicate_wrapperIffNSC_4lessIfEEEEEE10hipError_tPvRmT0_T1_T2_T3_T4_T5_mmT6_P12ihipStream_tbEUlT_E0_NS1_11comp_targetILNS1_3genE9ELNS1_11target_archE1100ELNS1_3gpuE3ELNS1_3repE0EEENS1_30default_config_static_selectorELNS0_4arch9wavefront6targetE0EEEvS10_: ; @_ZN7rocprim17ROCPRIM_400000_NS6detail17trampoline_kernelINS0_14default_configENS1_21merge_config_selectorINS0_5tupleIJffEEENS0_10empty_typeEEEZNS1_10merge_implIS3_NS0_12zip_iteratorINS5_IJN6thrust23THRUST_200600_302600_NS6detail15normal_iteratorINSC_10device_ptrIKfEEEESI_EEEEESK_NSA_INS5_IJNSE_INSF_IfEEEESM_EEEEEPS7_SP_SP_NSC_11hip_rocprim7__merge17predicate_wrapperIffNSC_4lessIfEEEEEE10hipError_tPvRmT0_T1_T2_T3_T4_T5_mmT6_P12ihipStream_tbEUlT_E0_NS1_11comp_targetILNS1_3genE9ELNS1_11target_archE1100ELNS1_3gpuE3ELNS1_3repE0EEENS1_30default_config_static_selectorELNS0_4arch9wavefront6targetE0EEEvS10_
; %bb.0:
	.section	.rodata,"a",@progbits
	.p2align	6, 0x0
	.amdhsa_kernel _ZN7rocprim17ROCPRIM_400000_NS6detail17trampoline_kernelINS0_14default_configENS1_21merge_config_selectorINS0_5tupleIJffEEENS0_10empty_typeEEEZNS1_10merge_implIS3_NS0_12zip_iteratorINS5_IJN6thrust23THRUST_200600_302600_NS6detail15normal_iteratorINSC_10device_ptrIKfEEEESI_EEEEESK_NSA_INS5_IJNSE_INSF_IfEEEESM_EEEEEPS7_SP_SP_NSC_11hip_rocprim7__merge17predicate_wrapperIffNSC_4lessIfEEEEEE10hipError_tPvRmT0_T1_T2_T3_T4_T5_mmT6_P12ihipStream_tbEUlT_E0_NS1_11comp_targetILNS1_3genE9ELNS1_11target_archE1100ELNS1_3gpuE3ELNS1_3repE0EEENS1_30default_config_static_selectorELNS0_4arch9wavefront6targetE0EEEvS10_
		.amdhsa_group_segment_fixed_size 0
		.amdhsa_private_segment_fixed_size 0
		.amdhsa_kernarg_size 112
		.amdhsa_user_sgpr_count 2
		.amdhsa_user_sgpr_dispatch_ptr 0
		.amdhsa_user_sgpr_queue_ptr 0
		.amdhsa_user_sgpr_kernarg_segment_ptr 1
		.amdhsa_user_sgpr_dispatch_id 0
		.amdhsa_user_sgpr_kernarg_preload_length 0
		.amdhsa_user_sgpr_kernarg_preload_offset 0
		.amdhsa_user_sgpr_private_segment_size 0
		.amdhsa_wavefront_size32 1
		.amdhsa_uses_dynamic_stack 0
		.amdhsa_enable_private_segment 0
		.amdhsa_system_sgpr_workgroup_id_x 1
		.amdhsa_system_sgpr_workgroup_id_y 0
		.amdhsa_system_sgpr_workgroup_id_z 0
		.amdhsa_system_sgpr_workgroup_info 0
		.amdhsa_system_vgpr_workitem_id 0
		.amdhsa_next_free_vgpr 1
		.amdhsa_next_free_sgpr 1
		.amdhsa_named_barrier_count 0
		.amdhsa_reserve_vcc 0
		.amdhsa_float_round_mode_32 0
		.amdhsa_float_round_mode_16_64 0
		.amdhsa_float_denorm_mode_32 3
		.amdhsa_float_denorm_mode_16_64 3
		.amdhsa_fp16_overflow 0
		.amdhsa_memory_ordered 1
		.amdhsa_forward_progress 1
		.amdhsa_inst_pref_size 0
		.amdhsa_round_robin_scheduling 0
		.amdhsa_exception_fp_ieee_invalid_op 0
		.amdhsa_exception_fp_denorm_src 0
		.amdhsa_exception_fp_ieee_div_zero 0
		.amdhsa_exception_fp_ieee_overflow 0
		.amdhsa_exception_fp_ieee_underflow 0
		.amdhsa_exception_fp_ieee_inexact 0
		.amdhsa_exception_int_div_zero 0
	.end_amdhsa_kernel
	.section	.text._ZN7rocprim17ROCPRIM_400000_NS6detail17trampoline_kernelINS0_14default_configENS1_21merge_config_selectorINS0_5tupleIJffEEENS0_10empty_typeEEEZNS1_10merge_implIS3_NS0_12zip_iteratorINS5_IJN6thrust23THRUST_200600_302600_NS6detail15normal_iteratorINSC_10device_ptrIKfEEEESI_EEEEESK_NSA_INS5_IJNSE_INSF_IfEEEESM_EEEEEPS7_SP_SP_NSC_11hip_rocprim7__merge17predicate_wrapperIffNSC_4lessIfEEEEEE10hipError_tPvRmT0_T1_T2_T3_T4_T5_mmT6_P12ihipStream_tbEUlT_E0_NS1_11comp_targetILNS1_3genE9ELNS1_11target_archE1100ELNS1_3gpuE3ELNS1_3repE0EEENS1_30default_config_static_selectorELNS0_4arch9wavefront6targetE0EEEvS10_,"axG",@progbits,_ZN7rocprim17ROCPRIM_400000_NS6detail17trampoline_kernelINS0_14default_configENS1_21merge_config_selectorINS0_5tupleIJffEEENS0_10empty_typeEEEZNS1_10merge_implIS3_NS0_12zip_iteratorINS5_IJN6thrust23THRUST_200600_302600_NS6detail15normal_iteratorINSC_10device_ptrIKfEEEESI_EEEEESK_NSA_INS5_IJNSE_INSF_IfEEEESM_EEEEEPS7_SP_SP_NSC_11hip_rocprim7__merge17predicate_wrapperIffNSC_4lessIfEEEEEE10hipError_tPvRmT0_T1_T2_T3_T4_T5_mmT6_P12ihipStream_tbEUlT_E0_NS1_11comp_targetILNS1_3genE9ELNS1_11target_archE1100ELNS1_3gpuE3ELNS1_3repE0EEENS1_30default_config_static_selectorELNS0_4arch9wavefront6targetE0EEEvS10_,comdat
.Lfunc_end75:
	.size	_ZN7rocprim17ROCPRIM_400000_NS6detail17trampoline_kernelINS0_14default_configENS1_21merge_config_selectorINS0_5tupleIJffEEENS0_10empty_typeEEEZNS1_10merge_implIS3_NS0_12zip_iteratorINS5_IJN6thrust23THRUST_200600_302600_NS6detail15normal_iteratorINSC_10device_ptrIKfEEEESI_EEEEESK_NSA_INS5_IJNSE_INSF_IfEEEESM_EEEEEPS7_SP_SP_NSC_11hip_rocprim7__merge17predicate_wrapperIffNSC_4lessIfEEEEEE10hipError_tPvRmT0_T1_T2_T3_T4_T5_mmT6_P12ihipStream_tbEUlT_E0_NS1_11comp_targetILNS1_3genE9ELNS1_11target_archE1100ELNS1_3gpuE3ELNS1_3repE0EEENS1_30default_config_static_selectorELNS0_4arch9wavefront6targetE0EEEvS10_, .Lfunc_end75-_ZN7rocprim17ROCPRIM_400000_NS6detail17trampoline_kernelINS0_14default_configENS1_21merge_config_selectorINS0_5tupleIJffEEENS0_10empty_typeEEEZNS1_10merge_implIS3_NS0_12zip_iteratorINS5_IJN6thrust23THRUST_200600_302600_NS6detail15normal_iteratorINSC_10device_ptrIKfEEEESI_EEEEESK_NSA_INS5_IJNSE_INSF_IfEEEESM_EEEEEPS7_SP_SP_NSC_11hip_rocprim7__merge17predicate_wrapperIffNSC_4lessIfEEEEEE10hipError_tPvRmT0_T1_T2_T3_T4_T5_mmT6_P12ihipStream_tbEUlT_E0_NS1_11comp_targetILNS1_3genE9ELNS1_11target_archE1100ELNS1_3gpuE3ELNS1_3repE0EEENS1_30default_config_static_selectorELNS0_4arch9wavefront6targetE0EEEvS10_
                                        ; -- End function
	.set _ZN7rocprim17ROCPRIM_400000_NS6detail17trampoline_kernelINS0_14default_configENS1_21merge_config_selectorINS0_5tupleIJffEEENS0_10empty_typeEEEZNS1_10merge_implIS3_NS0_12zip_iteratorINS5_IJN6thrust23THRUST_200600_302600_NS6detail15normal_iteratorINSC_10device_ptrIKfEEEESI_EEEEESK_NSA_INS5_IJNSE_INSF_IfEEEESM_EEEEEPS7_SP_SP_NSC_11hip_rocprim7__merge17predicate_wrapperIffNSC_4lessIfEEEEEE10hipError_tPvRmT0_T1_T2_T3_T4_T5_mmT6_P12ihipStream_tbEUlT_E0_NS1_11comp_targetILNS1_3genE9ELNS1_11target_archE1100ELNS1_3gpuE3ELNS1_3repE0EEENS1_30default_config_static_selectorELNS0_4arch9wavefront6targetE0EEEvS10_.num_vgpr, 0
	.set _ZN7rocprim17ROCPRIM_400000_NS6detail17trampoline_kernelINS0_14default_configENS1_21merge_config_selectorINS0_5tupleIJffEEENS0_10empty_typeEEEZNS1_10merge_implIS3_NS0_12zip_iteratorINS5_IJN6thrust23THRUST_200600_302600_NS6detail15normal_iteratorINSC_10device_ptrIKfEEEESI_EEEEESK_NSA_INS5_IJNSE_INSF_IfEEEESM_EEEEEPS7_SP_SP_NSC_11hip_rocprim7__merge17predicate_wrapperIffNSC_4lessIfEEEEEE10hipError_tPvRmT0_T1_T2_T3_T4_T5_mmT6_P12ihipStream_tbEUlT_E0_NS1_11comp_targetILNS1_3genE9ELNS1_11target_archE1100ELNS1_3gpuE3ELNS1_3repE0EEENS1_30default_config_static_selectorELNS0_4arch9wavefront6targetE0EEEvS10_.num_agpr, 0
	.set _ZN7rocprim17ROCPRIM_400000_NS6detail17trampoline_kernelINS0_14default_configENS1_21merge_config_selectorINS0_5tupleIJffEEENS0_10empty_typeEEEZNS1_10merge_implIS3_NS0_12zip_iteratorINS5_IJN6thrust23THRUST_200600_302600_NS6detail15normal_iteratorINSC_10device_ptrIKfEEEESI_EEEEESK_NSA_INS5_IJNSE_INSF_IfEEEESM_EEEEEPS7_SP_SP_NSC_11hip_rocprim7__merge17predicate_wrapperIffNSC_4lessIfEEEEEE10hipError_tPvRmT0_T1_T2_T3_T4_T5_mmT6_P12ihipStream_tbEUlT_E0_NS1_11comp_targetILNS1_3genE9ELNS1_11target_archE1100ELNS1_3gpuE3ELNS1_3repE0EEENS1_30default_config_static_selectorELNS0_4arch9wavefront6targetE0EEEvS10_.numbered_sgpr, 0
	.set _ZN7rocprim17ROCPRIM_400000_NS6detail17trampoline_kernelINS0_14default_configENS1_21merge_config_selectorINS0_5tupleIJffEEENS0_10empty_typeEEEZNS1_10merge_implIS3_NS0_12zip_iteratorINS5_IJN6thrust23THRUST_200600_302600_NS6detail15normal_iteratorINSC_10device_ptrIKfEEEESI_EEEEESK_NSA_INS5_IJNSE_INSF_IfEEEESM_EEEEEPS7_SP_SP_NSC_11hip_rocprim7__merge17predicate_wrapperIffNSC_4lessIfEEEEEE10hipError_tPvRmT0_T1_T2_T3_T4_T5_mmT6_P12ihipStream_tbEUlT_E0_NS1_11comp_targetILNS1_3genE9ELNS1_11target_archE1100ELNS1_3gpuE3ELNS1_3repE0EEENS1_30default_config_static_selectorELNS0_4arch9wavefront6targetE0EEEvS10_.num_named_barrier, 0
	.set _ZN7rocprim17ROCPRIM_400000_NS6detail17trampoline_kernelINS0_14default_configENS1_21merge_config_selectorINS0_5tupleIJffEEENS0_10empty_typeEEEZNS1_10merge_implIS3_NS0_12zip_iteratorINS5_IJN6thrust23THRUST_200600_302600_NS6detail15normal_iteratorINSC_10device_ptrIKfEEEESI_EEEEESK_NSA_INS5_IJNSE_INSF_IfEEEESM_EEEEEPS7_SP_SP_NSC_11hip_rocprim7__merge17predicate_wrapperIffNSC_4lessIfEEEEEE10hipError_tPvRmT0_T1_T2_T3_T4_T5_mmT6_P12ihipStream_tbEUlT_E0_NS1_11comp_targetILNS1_3genE9ELNS1_11target_archE1100ELNS1_3gpuE3ELNS1_3repE0EEENS1_30default_config_static_selectorELNS0_4arch9wavefront6targetE0EEEvS10_.private_seg_size, 0
	.set _ZN7rocprim17ROCPRIM_400000_NS6detail17trampoline_kernelINS0_14default_configENS1_21merge_config_selectorINS0_5tupleIJffEEENS0_10empty_typeEEEZNS1_10merge_implIS3_NS0_12zip_iteratorINS5_IJN6thrust23THRUST_200600_302600_NS6detail15normal_iteratorINSC_10device_ptrIKfEEEESI_EEEEESK_NSA_INS5_IJNSE_INSF_IfEEEESM_EEEEEPS7_SP_SP_NSC_11hip_rocprim7__merge17predicate_wrapperIffNSC_4lessIfEEEEEE10hipError_tPvRmT0_T1_T2_T3_T4_T5_mmT6_P12ihipStream_tbEUlT_E0_NS1_11comp_targetILNS1_3genE9ELNS1_11target_archE1100ELNS1_3gpuE3ELNS1_3repE0EEENS1_30default_config_static_selectorELNS0_4arch9wavefront6targetE0EEEvS10_.uses_vcc, 0
	.set _ZN7rocprim17ROCPRIM_400000_NS6detail17trampoline_kernelINS0_14default_configENS1_21merge_config_selectorINS0_5tupleIJffEEENS0_10empty_typeEEEZNS1_10merge_implIS3_NS0_12zip_iteratorINS5_IJN6thrust23THRUST_200600_302600_NS6detail15normal_iteratorINSC_10device_ptrIKfEEEESI_EEEEESK_NSA_INS5_IJNSE_INSF_IfEEEESM_EEEEEPS7_SP_SP_NSC_11hip_rocprim7__merge17predicate_wrapperIffNSC_4lessIfEEEEEE10hipError_tPvRmT0_T1_T2_T3_T4_T5_mmT6_P12ihipStream_tbEUlT_E0_NS1_11comp_targetILNS1_3genE9ELNS1_11target_archE1100ELNS1_3gpuE3ELNS1_3repE0EEENS1_30default_config_static_selectorELNS0_4arch9wavefront6targetE0EEEvS10_.uses_flat_scratch, 0
	.set _ZN7rocprim17ROCPRIM_400000_NS6detail17trampoline_kernelINS0_14default_configENS1_21merge_config_selectorINS0_5tupleIJffEEENS0_10empty_typeEEEZNS1_10merge_implIS3_NS0_12zip_iteratorINS5_IJN6thrust23THRUST_200600_302600_NS6detail15normal_iteratorINSC_10device_ptrIKfEEEESI_EEEEESK_NSA_INS5_IJNSE_INSF_IfEEEESM_EEEEEPS7_SP_SP_NSC_11hip_rocprim7__merge17predicate_wrapperIffNSC_4lessIfEEEEEE10hipError_tPvRmT0_T1_T2_T3_T4_T5_mmT6_P12ihipStream_tbEUlT_E0_NS1_11comp_targetILNS1_3genE9ELNS1_11target_archE1100ELNS1_3gpuE3ELNS1_3repE0EEENS1_30default_config_static_selectorELNS0_4arch9wavefront6targetE0EEEvS10_.has_dyn_sized_stack, 0
	.set _ZN7rocprim17ROCPRIM_400000_NS6detail17trampoline_kernelINS0_14default_configENS1_21merge_config_selectorINS0_5tupleIJffEEENS0_10empty_typeEEEZNS1_10merge_implIS3_NS0_12zip_iteratorINS5_IJN6thrust23THRUST_200600_302600_NS6detail15normal_iteratorINSC_10device_ptrIKfEEEESI_EEEEESK_NSA_INS5_IJNSE_INSF_IfEEEESM_EEEEEPS7_SP_SP_NSC_11hip_rocprim7__merge17predicate_wrapperIffNSC_4lessIfEEEEEE10hipError_tPvRmT0_T1_T2_T3_T4_T5_mmT6_P12ihipStream_tbEUlT_E0_NS1_11comp_targetILNS1_3genE9ELNS1_11target_archE1100ELNS1_3gpuE3ELNS1_3repE0EEENS1_30default_config_static_selectorELNS0_4arch9wavefront6targetE0EEEvS10_.has_recursion, 0
	.set _ZN7rocprim17ROCPRIM_400000_NS6detail17trampoline_kernelINS0_14default_configENS1_21merge_config_selectorINS0_5tupleIJffEEENS0_10empty_typeEEEZNS1_10merge_implIS3_NS0_12zip_iteratorINS5_IJN6thrust23THRUST_200600_302600_NS6detail15normal_iteratorINSC_10device_ptrIKfEEEESI_EEEEESK_NSA_INS5_IJNSE_INSF_IfEEEESM_EEEEEPS7_SP_SP_NSC_11hip_rocprim7__merge17predicate_wrapperIffNSC_4lessIfEEEEEE10hipError_tPvRmT0_T1_T2_T3_T4_T5_mmT6_P12ihipStream_tbEUlT_E0_NS1_11comp_targetILNS1_3genE9ELNS1_11target_archE1100ELNS1_3gpuE3ELNS1_3repE0EEENS1_30default_config_static_selectorELNS0_4arch9wavefront6targetE0EEEvS10_.has_indirect_call, 0
	.section	.AMDGPU.csdata,"",@progbits
; Kernel info:
; codeLenInByte = 0
; TotalNumSgprs: 0
; NumVgprs: 0
; ScratchSize: 0
; MemoryBound: 0
; FloatMode: 240
; IeeeMode: 1
; LDSByteSize: 0 bytes/workgroup (compile time only)
; SGPRBlocks: 0
; VGPRBlocks: 0
; NumSGPRsForWavesPerEU: 1
; NumVGPRsForWavesPerEU: 1
; NamedBarCnt: 0
; Occupancy: 16
; WaveLimiterHint : 0
; COMPUTE_PGM_RSRC2:SCRATCH_EN: 0
; COMPUTE_PGM_RSRC2:USER_SGPR: 2
; COMPUTE_PGM_RSRC2:TRAP_HANDLER: 0
; COMPUTE_PGM_RSRC2:TGID_X_EN: 1
; COMPUTE_PGM_RSRC2:TGID_Y_EN: 0
; COMPUTE_PGM_RSRC2:TGID_Z_EN: 0
; COMPUTE_PGM_RSRC2:TIDIG_COMP_CNT: 0
	.section	.text._ZN7rocprim17ROCPRIM_400000_NS6detail17trampoline_kernelINS0_14default_configENS1_21merge_config_selectorINS0_5tupleIJffEEENS0_10empty_typeEEEZNS1_10merge_implIS3_NS0_12zip_iteratorINS5_IJN6thrust23THRUST_200600_302600_NS6detail15normal_iteratorINSC_10device_ptrIKfEEEESI_EEEEESK_NSA_INS5_IJNSE_INSF_IfEEEESM_EEEEEPS7_SP_SP_NSC_11hip_rocprim7__merge17predicate_wrapperIffNSC_4lessIfEEEEEE10hipError_tPvRmT0_T1_T2_T3_T4_T5_mmT6_P12ihipStream_tbEUlT_E0_NS1_11comp_targetILNS1_3genE8ELNS1_11target_archE1030ELNS1_3gpuE2ELNS1_3repE0EEENS1_30default_config_static_selectorELNS0_4arch9wavefront6targetE0EEEvS10_,"axG",@progbits,_ZN7rocprim17ROCPRIM_400000_NS6detail17trampoline_kernelINS0_14default_configENS1_21merge_config_selectorINS0_5tupleIJffEEENS0_10empty_typeEEEZNS1_10merge_implIS3_NS0_12zip_iteratorINS5_IJN6thrust23THRUST_200600_302600_NS6detail15normal_iteratorINSC_10device_ptrIKfEEEESI_EEEEESK_NSA_INS5_IJNSE_INSF_IfEEEESM_EEEEEPS7_SP_SP_NSC_11hip_rocprim7__merge17predicate_wrapperIffNSC_4lessIfEEEEEE10hipError_tPvRmT0_T1_T2_T3_T4_T5_mmT6_P12ihipStream_tbEUlT_E0_NS1_11comp_targetILNS1_3genE8ELNS1_11target_archE1030ELNS1_3gpuE2ELNS1_3repE0EEENS1_30default_config_static_selectorELNS0_4arch9wavefront6targetE0EEEvS10_,comdat
	.protected	_ZN7rocprim17ROCPRIM_400000_NS6detail17trampoline_kernelINS0_14default_configENS1_21merge_config_selectorINS0_5tupleIJffEEENS0_10empty_typeEEEZNS1_10merge_implIS3_NS0_12zip_iteratorINS5_IJN6thrust23THRUST_200600_302600_NS6detail15normal_iteratorINSC_10device_ptrIKfEEEESI_EEEEESK_NSA_INS5_IJNSE_INSF_IfEEEESM_EEEEEPS7_SP_SP_NSC_11hip_rocprim7__merge17predicate_wrapperIffNSC_4lessIfEEEEEE10hipError_tPvRmT0_T1_T2_T3_T4_T5_mmT6_P12ihipStream_tbEUlT_E0_NS1_11comp_targetILNS1_3genE8ELNS1_11target_archE1030ELNS1_3gpuE2ELNS1_3repE0EEENS1_30default_config_static_selectorELNS0_4arch9wavefront6targetE0EEEvS10_ ; -- Begin function _ZN7rocprim17ROCPRIM_400000_NS6detail17trampoline_kernelINS0_14default_configENS1_21merge_config_selectorINS0_5tupleIJffEEENS0_10empty_typeEEEZNS1_10merge_implIS3_NS0_12zip_iteratorINS5_IJN6thrust23THRUST_200600_302600_NS6detail15normal_iteratorINSC_10device_ptrIKfEEEESI_EEEEESK_NSA_INS5_IJNSE_INSF_IfEEEESM_EEEEEPS7_SP_SP_NSC_11hip_rocprim7__merge17predicate_wrapperIffNSC_4lessIfEEEEEE10hipError_tPvRmT0_T1_T2_T3_T4_T5_mmT6_P12ihipStream_tbEUlT_E0_NS1_11comp_targetILNS1_3genE8ELNS1_11target_archE1030ELNS1_3gpuE2ELNS1_3repE0EEENS1_30default_config_static_selectorELNS0_4arch9wavefront6targetE0EEEvS10_
	.globl	_ZN7rocprim17ROCPRIM_400000_NS6detail17trampoline_kernelINS0_14default_configENS1_21merge_config_selectorINS0_5tupleIJffEEENS0_10empty_typeEEEZNS1_10merge_implIS3_NS0_12zip_iteratorINS5_IJN6thrust23THRUST_200600_302600_NS6detail15normal_iteratorINSC_10device_ptrIKfEEEESI_EEEEESK_NSA_INS5_IJNSE_INSF_IfEEEESM_EEEEEPS7_SP_SP_NSC_11hip_rocprim7__merge17predicate_wrapperIffNSC_4lessIfEEEEEE10hipError_tPvRmT0_T1_T2_T3_T4_T5_mmT6_P12ihipStream_tbEUlT_E0_NS1_11comp_targetILNS1_3genE8ELNS1_11target_archE1030ELNS1_3gpuE2ELNS1_3repE0EEENS1_30default_config_static_selectorELNS0_4arch9wavefront6targetE0EEEvS10_
	.p2align	8
	.type	_ZN7rocprim17ROCPRIM_400000_NS6detail17trampoline_kernelINS0_14default_configENS1_21merge_config_selectorINS0_5tupleIJffEEENS0_10empty_typeEEEZNS1_10merge_implIS3_NS0_12zip_iteratorINS5_IJN6thrust23THRUST_200600_302600_NS6detail15normal_iteratorINSC_10device_ptrIKfEEEESI_EEEEESK_NSA_INS5_IJNSE_INSF_IfEEEESM_EEEEEPS7_SP_SP_NSC_11hip_rocprim7__merge17predicate_wrapperIffNSC_4lessIfEEEEEE10hipError_tPvRmT0_T1_T2_T3_T4_T5_mmT6_P12ihipStream_tbEUlT_E0_NS1_11comp_targetILNS1_3genE8ELNS1_11target_archE1030ELNS1_3gpuE2ELNS1_3repE0EEENS1_30default_config_static_selectorELNS0_4arch9wavefront6targetE0EEEvS10_,@function
_ZN7rocprim17ROCPRIM_400000_NS6detail17trampoline_kernelINS0_14default_configENS1_21merge_config_selectorINS0_5tupleIJffEEENS0_10empty_typeEEEZNS1_10merge_implIS3_NS0_12zip_iteratorINS5_IJN6thrust23THRUST_200600_302600_NS6detail15normal_iteratorINSC_10device_ptrIKfEEEESI_EEEEESK_NSA_INS5_IJNSE_INSF_IfEEEESM_EEEEEPS7_SP_SP_NSC_11hip_rocprim7__merge17predicate_wrapperIffNSC_4lessIfEEEEEE10hipError_tPvRmT0_T1_T2_T3_T4_T5_mmT6_P12ihipStream_tbEUlT_E0_NS1_11comp_targetILNS1_3genE8ELNS1_11target_archE1030ELNS1_3gpuE2ELNS1_3repE0EEENS1_30default_config_static_selectorELNS0_4arch9wavefront6targetE0EEEvS10_: ; @_ZN7rocprim17ROCPRIM_400000_NS6detail17trampoline_kernelINS0_14default_configENS1_21merge_config_selectorINS0_5tupleIJffEEENS0_10empty_typeEEEZNS1_10merge_implIS3_NS0_12zip_iteratorINS5_IJN6thrust23THRUST_200600_302600_NS6detail15normal_iteratorINSC_10device_ptrIKfEEEESI_EEEEESK_NSA_INS5_IJNSE_INSF_IfEEEESM_EEEEEPS7_SP_SP_NSC_11hip_rocprim7__merge17predicate_wrapperIffNSC_4lessIfEEEEEE10hipError_tPvRmT0_T1_T2_T3_T4_T5_mmT6_P12ihipStream_tbEUlT_E0_NS1_11comp_targetILNS1_3genE8ELNS1_11target_archE1030ELNS1_3gpuE2ELNS1_3repE0EEENS1_30default_config_static_selectorELNS0_4arch9wavefront6targetE0EEEvS10_
; %bb.0:
	.section	.rodata,"a",@progbits
	.p2align	6, 0x0
	.amdhsa_kernel _ZN7rocprim17ROCPRIM_400000_NS6detail17trampoline_kernelINS0_14default_configENS1_21merge_config_selectorINS0_5tupleIJffEEENS0_10empty_typeEEEZNS1_10merge_implIS3_NS0_12zip_iteratorINS5_IJN6thrust23THRUST_200600_302600_NS6detail15normal_iteratorINSC_10device_ptrIKfEEEESI_EEEEESK_NSA_INS5_IJNSE_INSF_IfEEEESM_EEEEEPS7_SP_SP_NSC_11hip_rocprim7__merge17predicate_wrapperIffNSC_4lessIfEEEEEE10hipError_tPvRmT0_T1_T2_T3_T4_T5_mmT6_P12ihipStream_tbEUlT_E0_NS1_11comp_targetILNS1_3genE8ELNS1_11target_archE1030ELNS1_3gpuE2ELNS1_3repE0EEENS1_30default_config_static_selectorELNS0_4arch9wavefront6targetE0EEEvS10_
		.amdhsa_group_segment_fixed_size 0
		.amdhsa_private_segment_fixed_size 0
		.amdhsa_kernarg_size 112
		.amdhsa_user_sgpr_count 2
		.amdhsa_user_sgpr_dispatch_ptr 0
		.amdhsa_user_sgpr_queue_ptr 0
		.amdhsa_user_sgpr_kernarg_segment_ptr 1
		.amdhsa_user_sgpr_dispatch_id 0
		.amdhsa_user_sgpr_kernarg_preload_length 0
		.amdhsa_user_sgpr_kernarg_preload_offset 0
		.amdhsa_user_sgpr_private_segment_size 0
		.amdhsa_wavefront_size32 1
		.amdhsa_uses_dynamic_stack 0
		.amdhsa_enable_private_segment 0
		.amdhsa_system_sgpr_workgroup_id_x 1
		.amdhsa_system_sgpr_workgroup_id_y 0
		.amdhsa_system_sgpr_workgroup_id_z 0
		.amdhsa_system_sgpr_workgroup_info 0
		.amdhsa_system_vgpr_workitem_id 0
		.amdhsa_next_free_vgpr 1
		.amdhsa_next_free_sgpr 1
		.amdhsa_named_barrier_count 0
		.amdhsa_reserve_vcc 0
		.amdhsa_float_round_mode_32 0
		.amdhsa_float_round_mode_16_64 0
		.amdhsa_float_denorm_mode_32 3
		.amdhsa_float_denorm_mode_16_64 3
		.amdhsa_fp16_overflow 0
		.amdhsa_memory_ordered 1
		.amdhsa_forward_progress 1
		.amdhsa_inst_pref_size 0
		.amdhsa_round_robin_scheduling 0
		.amdhsa_exception_fp_ieee_invalid_op 0
		.amdhsa_exception_fp_denorm_src 0
		.amdhsa_exception_fp_ieee_div_zero 0
		.amdhsa_exception_fp_ieee_overflow 0
		.amdhsa_exception_fp_ieee_underflow 0
		.amdhsa_exception_fp_ieee_inexact 0
		.amdhsa_exception_int_div_zero 0
	.end_amdhsa_kernel
	.section	.text._ZN7rocprim17ROCPRIM_400000_NS6detail17trampoline_kernelINS0_14default_configENS1_21merge_config_selectorINS0_5tupleIJffEEENS0_10empty_typeEEEZNS1_10merge_implIS3_NS0_12zip_iteratorINS5_IJN6thrust23THRUST_200600_302600_NS6detail15normal_iteratorINSC_10device_ptrIKfEEEESI_EEEEESK_NSA_INS5_IJNSE_INSF_IfEEEESM_EEEEEPS7_SP_SP_NSC_11hip_rocprim7__merge17predicate_wrapperIffNSC_4lessIfEEEEEE10hipError_tPvRmT0_T1_T2_T3_T4_T5_mmT6_P12ihipStream_tbEUlT_E0_NS1_11comp_targetILNS1_3genE8ELNS1_11target_archE1030ELNS1_3gpuE2ELNS1_3repE0EEENS1_30default_config_static_selectorELNS0_4arch9wavefront6targetE0EEEvS10_,"axG",@progbits,_ZN7rocprim17ROCPRIM_400000_NS6detail17trampoline_kernelINS0_14default_configENS1_21merge_config_selectorINS0_5tupleIJffEEENS0_10empty_typeEEEZNS1_10merge_implIS3_NS0_12zip_iteratorINS5_IJN6thrust23THRUST_200600_302600_NS6detail15normal_iteratorINSC_10device_ptrIKfEEEESI_EEEEESK_NSA_INS5_IJNSE_INSF_IfEEEESM_EEEEEPS7_SP_SP_NSC_11hip_rocprim7__merge17predicate_wrapperIffNSC_4lessIfEEEEEE10hipError_tPvRmT0_T1_T2_T3_T4_T5_mmT6_P12ihipStream_tbEUlT_E0_NS1_11comp_targetILNS1_3genE8ELNS1_11target_archE1030ELNS1_3gpuE2ELNS1_3repE0EEENS1_30default_config_static_selectorELNS0_4arch9wavefront6targetE0EEEvS10_,comdat
.Lfunc_end76:
	.size	_ZN7rocprim17ROCPRIM_400000_NS6detail17trampoline_kernelINS0_14default_configENS1_21merge_config_selectorINS0_5tupleIJffEEENS0_10empty_typeEEEZNS1_10merge_implIS3_NS0_12zip_iteratorINS5_IJN6thrust23THRUST_200600_302600_NS6detail15normal_iteratorINSC_10device_ptrIKfEEEESI_EEEEESK_NSA_INS5_IJNSE_INSF_IfEEEESM_EEEEEPS7_SP_SP_NSC_11hip_rocprim7__merge17predicate_wrapperIffNSC_4lessIfEEEEEE10hipError_tPvRmT0_T1_T2_T3_T4_T5_mmT6_P12ihipStream_tbEUlT_E0_NS1_11comp_targetILNS1_3genE8ELNS1_11target_archE1030ELNS1_3gpuE2ELNS1_3repE0EEENS1_30default_config_static_selectorELNS0_4arch9wavefront6targetE0EEEvS10_, .Lfunc_end76-_ZN7rocprim17ROCPRIM_400000_NS6detail17trampoline_kernelINS0_14default_configENS1_21merge_config_selectorINS0_5tupleIJffEEENS0_10empty_typeEEEZNS1_10merge_implIS3_NS0_12zip_iteratorINS5_IJN6thrust23THRUST_200600_302600_NS6detail15normal_iteratorINSC_10device_ptrIKfEEEESI_EEEEESK_NSA_INS5_IJNSE_INSF_IfEEEESM_EEEEEPS7_SP_SP_NSC_11hip_rocprim7__merge17predicate_wrapperIffNSC_4lessIfEEEEEE10hipError_tPvRmT0_T1_T2_T3_T4_T5_mmT6_P12ihipStream_tbEUlT_E0_NS1_11comp_targetILNS1_3genE8ELNS1_11target_archE1030ELNS1_3gpuE2ELNS1_3repE0EEENS1_30default_config_static_selectorELNS0_4arch9wavefront6targetE0EEEvS10_
                                        ; -- End function
	.set _ZN7rocprim17ROCPRIM_400000_NS6detail17trampoline_kernelINS0_14default_configENS1_21merge_config_selectorINS0_5tupleIJffEEENS0_10empty_typeEEEZNS1_10merge_implIS3_NS0_12zip_iteratorINS5_IJN6thrust23THRUST_200600_302600_NS6detail15normal_iteratorINSC_10device_ptrIKfEEEESI_EEEEESK_NSA_INS5_IJNSE_INSF_IfEEEESM_EEEEEPS7_SP_SP_NSC_11hip_rocprim7__merge17predicate_wrapperIffNSC_4lessIfEEEEEE10hipError_tPvRmT0_T1_T2_T3_T4_T5_mmT6_P12ihipStream_tbEUlT_E0_NS1_11comp_targetILNS1_3genE8ELNS1_11target_archE1030ELNS1_3gpuE2ELNS1_3repE0EEENS1_30default_config_static_selectorELNS0_4arch9wavefront6targetE0EEEvS10_.num_vgpr, 0
	.set _ZN7rocprim17ROCPRIM_400000_NS6detail17trampoline_kernelINS0_14default_configENS1_21merge_config_selectorINS0_5tupleIJffEEENS0_10empty_typeEEEZNS1_10merge_implIS3_NS0_12zip_iteratorINS5_IJN6thrust23THRUST_200600_302600_NS6detail15normal_iteratorINSC_10device_ptrIKfEEEESI_EEEEESK_NSA_INS5_IJNSE_INSF_IfEEEESM_EEEEEPS7_SP_SP_NSC_11hip_rocprim7__merge17predicate_wrapperIffNSC_4lessIfEEEEEE10hipError_tPvRmT0_T1_T2_T3_T4_T5_mmT6_P12ihipStream_tbEUlT_E0_NS1_11comp_targetILNS1_3genE8ELNS1_11target_archE1030ELNS1_3gpuE2ELNS1_3repE0EEENS1_30default_config_static_selectorELNS0_4arch9wavefront6targetE0EEEvS10_.num_agpr, 0
	.set _ZN7rocprim17ROCPRIM_400000_NS6detail17trampoline_kernelINS0_14default_configENS1_21merge_config_selectorINS0_5tupleIJffEEENS0_10empty_typeEEEZNS1_10merge_implIS3_NS0_12zip_iteratorINS5_IJN6thrust23THRUST_200600_302600_NS6detail15normal_iteratorINSC_10device_ptrIKfEEEESI_EEEEESK_NSA_INS5_IJNSE_INSF_IfEEEESM_EEEEEPS7_SP_SP_NSC_11hip_rocprim7__merge17predicate_wrapperIffNSC_4lessIfEEEEEE10hipError_tPvRmT0_T1_T2_T3_T4_T5_mmT6_P12ihipStream_tbEUlT_E0_NS1_11comp_targetILNS1_3genE8ELNS1_11target_archE1030ELNS1_3gpuE2ELNS1_3repE0EEENS1_30default_config_static_selectorELNS0_4arch9wavefront6targetE0EEEvS10_.numbered_sgpr, 0
	.set _ZN7rocprim17ROCPRIM_400000_NS6detail17trampoline_kernelINS0_14default_configENS1_21merge_config_selectorINS0_5tupleIJffEEENS0_10empty_typeEEEZNS1_10merge_implIS3_NS0_12zip_iteratorINS5_IJN6thrust23THRUST_200600_302600_NS6detail15normal_iteratorINSC_10device_ptrIKfEEEESI_EEEEESK_NSA_INS5_IJNSE_INSF_IfEEEESM_EEEEEPS7_SP_SP_NSC_11hip_rocprim7__merge17predicate_wrapperIffNSC_4lessIfEEEEEE10hipError_tPvRmT0_T1_T2_T3_T4_T5_mmT6_P12ihipStream_tbEUlT_E0_NS1_11comp_targetILNS1_3genE8ELNS1_11target_archE1030ELNS1_3gpuE2ELNS1_3repE0EEENS1_30default_config_static_selectorELNS0_4arch9wavefront6targetE0EEEvS10_.num_named_barrier, 0
	.set _ZN7rocprim17ROCPRIM_400000_NS6detail17trampoline_kernelINS0_14default_configENS1_21merge_config_selectorINS0_5tupleIJffEEENS0_10empty_typeEEEZNS1_10merge_implIS3_NS0_12zip_iteratorINS5_IJN6thrust23THRUST_200600_302600_NS6detail15normal_iteratorINSC_10device_ptrIKfEEEESI_EEEEESK_NSA_INS5_IJNSE_INSF_IfEEEESM_EEEEEPS7_SP_SP_NSC_11hip_rocprim7__merge17predicate_wrapperIffNSC_4lessIfEEEEEE10hipError_tPvRmT0_T1_T2_T3_T4_T5_mmT6_P12ihipStream_tbEUlT_E0_NS1_11comp_targetILNS1_3genE8ELNS1_11target_archE1030ELNS1_3gpuE2ELNS1_3repE0EEENS1_30default_config_static_selectorELNS0_4arch9wavefront6targetE0EEEvS10_.private_seg_size, 0
	.set _ZN7rocprim17ROCPRIM_400000_NS6detail17trampoline_kernelINS0_14default_configENS1_21merge_config_selectorINS0_5tupleIJffEEENS0_10empty_typeEEEZNS1_10merge_implIS3_NS0_12zip_iteratorINS5_IJN6thrust23THRUST_200600_302600_NS6detail15normal_iteratorINSC_10device_ptrIKfEEEESI_EEEEESK_NSA_INS5_IJNSE_INSF_IfEEEESM_EEEEEPS7_SP_SP_NSC_11hip_rocprim7__merge17predicate_wrapperIffNSC_4lessIfEEEEEE10hipError_tPvRmT0_T1_T2_T3_T4_T5_mmT6_P12ihipStream_tbEUlT_E0_NS1_11comp_targetILNS1_3genE8ELNS1_11target_archE1030ELNS1_3gpuE2ELNS1_3repE0EEENS1_30default_config_static_selectorELNS0_4arch9wavefront6targetE0EEEvS10_.uses_vcc, 0
	.set _ZN7rocprim17ROCPRIM_400000_NS6detail17trampoline_kernelINS0_14default_configENS1_21merge_config_selectorINS0_5tupleIJffEEENS0_10empty_typeEEEZNS1_10merge_implIS3_NS0_12zip_iteratorINS5_IJN6thrust23THRUST_200600_302600_NS6detail15normal_iteratorINSC_10device_ptrIKfEEEESI_EEEEESK_NSA_INS5_IJNSE_INSF_IfEEEESM_EEEEEPS7_SP_SP_NSC_11hip_rocprim7__merge17predicate_wrapperIffNSC_4lessIfEEEEEE10hipError_tPvRmT0_T1_T2_T3_T4_T5_mmT6_P12ihipStream_tbEUlT_E0_NS1_11comp_targetILNS1_3genE8ELNS1_11target_archE1030ELNS1_3gpuE2ELNS1_3repE0EEENS1_30default_config_static_selectorELNS0_4arch9wavefront6targetE0EEEvS10_.uses_flat_scratch, 0
	.set _ZN7rocprim17ROCPRIM_400000_NS6detail17trampoline_kernelINS0_14default_configENS1_21merge_config_selectorINS0_5tupleIJffEEENS0_10empty_typeEEEZNS1_10merge_implIS3_NS0_12zip_iteratorINS5_IJN6thrust23THRUST_200600_302600_NS6detail15normal_iteratorINSC_10device_ptrIKfEEEESI_EEEEESK_NSA_INS5_IJNSE_INSF_IfEEEESM_EEEEEPS7_SP_SP_NSC_11hip_rocprim7__merge17predicate_wrapperIffNSC_4lessIfEEEEEE10hipError_tPvRmT0_T1_T2_T3_T4_T5_mmT6_P12ihipStream_tbEUlT_E0_NS1_11comp_targetILNS1_3genE8ELNS1_11target_archE1030ELNS1_3gpuE2ELNS1_3repE0EEENS1_30default_config_static_selectorELNS0_4arch9wavefront6targetE0EEEvS10_.has_dyn_sized_stack, 0
	.set _ZN7rocprim17ROCPRIM_400000_NS6detail17trampoline_kernelINS0_14default_configENS1_21merge_config_selectorINS0_5tupleIJffEEENS0_10empty_typeEEEZNS1_10merge_implIS3_NS0_12zip_iteratorINS5_IJN6thrust23THRUST_200600_302600_NS6detail15normal_iteratorINSC_10device_ptrIKfEEEESI_EEEEESK_NSA_INS5_IJNSE_INSF_IfEEEESM_EEEEEPS7_SP_SP_NSC_11hip_rocprim7__merge17predicate_wrapperIffNSC_4lessIfEEEEEE10hipError_tPvRmT0_T1_T2_T3_T4_T5_mmT6_P12ihipStream_tbEUlT_E0_NS1_11comp_targetILNS1_3genE8ELNS1_11target_archE1030ELNS1_3gpuE2ELNS1_3repE0EEENS1_30default_config_static_selectorELNS0_4arch9wavefront6targetE0EEEvS10_.has_recursion, 0
	.set _ZN7rocprim17ROCPRIM_400000_NS6detail17trampoline_kernelINS0_14default_configENS1_21merge_config_selectorINS0_5tupleIJffEEENS0_10empty_typeEEEZNS1_10merge_implIS3_NS0_12zip_iteratorINS5_IJN6thrust23THRUST_200600_302600_NS6detail15normal_iteratorINSC_10device_ptrIKfEEEESI_EEEEESK_NSA_INS5_IJNSE_INSF_IfEEEESM_EEEEEPS7_SP_SP_NSC_11hip_rocprim7__merge17predicate_wrapperIffNSC_4lessIfEEEEEE10hipError_tPvRmT0_T1_T2_T3_T4_T5_mmT6_P12ihipStream_tbEUlT_E0_NS1_11comp_targetILNS1_3genE8ELNS1_11target_archE1030ELNS1_3gpuE2ELNS1_3repE0EEENS1_30default_config_static_selectorELNS0_4arch9wavefront6targetE0EEEvS10_.has_indirect_call, 0
	.section	.AMDGPU.csdata,"",@progbits
; Kernel info:
; codeLenInByte = 0
; TotalNumSgprs: 0
; NumVgprs: 0
; ScratchSize: 0
; MemoryBound: 0
; FloatMode: 240
; IeeeMode: 1
; LDSByteSize: 0 bytes/workgroup (compile time only)
; SGPRBlocks: 0
; VGPRBlocks: 0
; NumSGPRsForWavesPerEU: 1
; NumVGPRsForWavesPerEU: 1
; NamedBarCnt: 0
; Occupancy: 16
; WaveLimiterHint : 0
; COMPUTE_PGM_RSRC2:SCRATCH_EN: 0
; COMPUTE_PGM_RSRC2:USER_SGPR: 2
; COMPUTE_PGM_RSRC2:TRAP_HANDLER: 0
; COMPUTE_PGM_RSRC2:TGID_X_EN: 1
; COMPUTE_PGM_RSRC2:TGID_Y_EN: 0
; COMPUTE_PGM_RSRC2:TGID_Z_EN: 0
; COMPUTE_PGM_RSRC2:TIDIG_COMP_CNT: 0
	.section	.text._ZN7rocprim17ROCPRIM_400000_NS6detail17trampoline_kernelINS0_14default_configENS1_22reduce_config_selectorIN6thrust23THRUST_200600_302600_NS5tupleIblNS6_9null_typeES8_S8_S8_S8_S8_S8_S8_EEEEZNS1_11reduce_implILb1ES3_NS6_12zip_iteratorINS7_INS6_11hip_rocprim26transform_input_iterator_tIbNSD_35transform_pair_of_input_iterators_tIbNS6_6detail15normal_iteratorINS6_10device_ptrIKfEEEESL_NS6_8equal_toIfEEEENSG_9not_fun_tINSD_8identityEEEEENSD_19counting_iterator_tIlEES8_S8_S8_S8_S8_S8_S8_S8_EEEEPS9_S9_NSD_9__find_if7functorIS9_EEEE10hipError_tPvRmT1_T2_T3_mT4_P12ihipStream_tbEUlT_E0_NS1_11comp_targetILNS1_3genE0ELNS1_11target_archE4294967295ELNS1_3gpuE0ELNS1_3repE0EEENS1_30default_config_static_selectorELNS0_4arch9wavefront6targetE0EEEvS14_,"axG",@progbits,_ZN7rocprim17ROCPRIM_400000_NS6detail17trampoline_kernelINS0_14default_configENS1_22reduce_config_selectorIN6thrust23THRUST_200600_302600_NS5tupleIblNS6_9null_typeES8_S8_S8_S8_S8_S8_S8_EEEEZNS1_11reduce_implILb1ES3_NS6_12zip_iteratorINS7_INS6_11hip_rocprim26transform_input_iterator_tIbNSD_35transform_pair_of_input_iterators_tIbNS6_6detail15normal_iteratorINS6_10device_ptrIKfEEEESL_NS6_8equal_toIfEEEENSG_9not_fun_tINSD_8identityEEEEENSD_19counting_iterator_tIlEES8_S8_S8_S8_S8_S8_S8_S8_EEEEPS9_S9_NSD_9__find_if7functorIS9_EEEE10hipError_tPvRmT1_T2_T3_mT4_P12ihipStream_tbEUlT_E0_NS1_11comp_targetILNS1_3genE0ELNS1_11target_archE4294967295ELNS1_3gpuE0ELNS1_3repE0EEENS1_30default_config_static_selectorELNS0_4arch9wavefront6targetE0EEEvS14_,comdat
	.protected	_ZN7rocprim17ROCPRIM_400000_NS6detail17trampoline_kernelINS0_14default_configENS1_22reduce_config_selectorIN6thrust23THRUST_200600_302600_NS5tupleIblNS6_9null_typeES8_S8_S8_S8_S8_S8_S8_EEEEZNS1_11reduce_implILb1ES3_NS6_12zip_iteratorINS7_INS6_11hip_rocprim26transform_input_iterator_tIbNSD_35transform_pair_of_input_iterators_tIbNS6_6detail15normal_iteratorINS6_10device_ptrIKfEEEESL_NS6_8equal_toIfEEEENSG_9not_fun_tINSD_8identityEEEEENSD_19counting_iterator_tIlEES8_S8_S8_S8_S8_S8_S8_S8_EEEEPS9_S9_NSD_9__find_if7functorIS9_EEEE10hipError_tPvRmT1_T2_T3_mT4_P12ihipStream_tbEUlT_E0_NS1_11comp_targetILNS1_3genE0ELNS1_11target_archE4294967295ELNS1_3gpuE0ELNS1_3repE0EEENS1_30default_config_static_selectorELNS0_4arch9wavefront6targetE0EEEvS14_ ; -- Begin function _ZN7rocprim17ROCPRIM_400000_NS6detail17trampoline_kernelINS0_14default_configENS1_22reduce_config_selectorIN6thrust23THRUST_200600_302600_NS5tupleIblNS6_9null_typeES8_S8_S8_S8_S8_S8_S8_EEEEZNS1_11reduce_implILb1ES3_NS6_12zip_iteratorINS7_INS6_11hip_rocprim26transform_input_iterator_tIbNSD_35transform_pair_of_input_iterators_tIbNS6_6detail15normal_iteratorINS6_10device_ptrIKfEEEESL_NS6_8equal_toIfEEEENSG_9not_fun_tINSD_8identityEEEEENSD_19counting_iterator_tIlEES8_S8_S8_S8_S8_S8_S8_S8_EEEEPS9_S9_NSD_9__find_if7functorIS9_EEEE10hipError_tPvRmT1_T2_T3_mT4_P12ihipStream_tbEUlT_E0_NS1_11comp_targetILNS1_3genE0ELNS1_11target_archE4294967295ELNS1_3gpuE0ELNS1_3repE0EEENS1_30default_config_static_selectorELNS0_4arch9wavefront6targetE0EEEvS14_
	.globl	_ZN7rocprim17ROCPRIM_400000_NS6detail17trampoline_kernelINS0_14default_configENS1_22reduce_config_selectorIN6thrust23THRUST_200600_302600_NS5tupleIblNS6_9null_typeES8_S8_S8_S8_S8_S8_S8_EEEEZNS1_11reduce_implILb1ES3_NS6_12zip_iteratorINS7_INS6_11hip_rocprim26transform_input_iterator_tIbNSD_35transform_pair_of_input_iterators_tIbNS6_6detail15normal_iteratorINS6_10device_ptrIKfEEEESL_NS6_8equal_toIfEEEENSG_9not_fun_tINSD_8identityEEEEENSD_19counting_iterator_tIlEES8_S8_S8_S8_S8_S8_S8_S8_EEEEPS9_S9_NSD_9__find_if7functorIS9_EEEE10hipError_tPvRmT1_T2_T3_mT4_P12ihipStream_tbEUlT_E0_NS1_11comp_targetILNS1_3genE0ELNS1_11target_archE4294967295ELNS1_3gpuE0ELNS1_3repE0EEENS1_30default_config_static_selectorELNS0_4arch9wavefront6targetE0EEEvS14_
	.p2align	8
	.type	_ZN7rocprim17ROCPRIM_400000_NS6detail17trampoline_kernelINS0_14default_configENS1_22reduce_config_selectorIN6thrust23THRUST_200600_302600_NS5tupleIblNS6_9null_typeES8_S8_S8_S8_S8_S8_S8_EEEEZNS1_11reduce_implILb1ES3_NS6_12zip_iteratorINS7_INS6_11hip_rocprim26transform_input_iterator_tIbNSD_35transform_pair_of_input_iterators_tIbNS6_6detail15normal_iteratorINS6_10device_ptrIKfEEEESL_NS6_8equal_toIfEEEENSG_9not_fun_tINSD_8identityEEEEENSD_19counting_iterator_tIlEES8_S8_S8_S8_S8_S8_S8_S8_EEEEPS9_S9_NSD_9__find_if7functorIS9_EEEE10hipError_tPvRmT1_T2_T3_mT4_P12ihipStream_tbEUlT_E0_NS1_11comp_targetILNS1_3genE0ELNS1_11target_archE4294967295ELNS1_3gpuE0ELNS1_3repE0EEENS1_30default_config_static_selectorELNS0_4arch9wavefront6targetE0EEEvS14_,@function
_ZN7rocprim17ROCPRIM_400000_NS6detail17trampoline_kernelINS0_14default_configENS1_22reduce_config_selectorIN6thrust23THRUST_200600_302600_NS5tupleIblNS6_9null_typeES8_S8_S8_S8_S8_S8_S8_EEEEZNS1_11reduce_implILb1ES3_NS6_12zip_iteratorINS7_INS6_11hip_rocprim26transform_input_iterator_tIbNSD_35transform_pair_of_input_iterators_tIbNS6_6detail15normal_iteratorINS6_10device_ptrIKfEEEESL_NS6_8equal_toIfEEEENSG_9not_fun_tINSD_8identityEEEEENSD_19counting_iterator_tIlEES8_S8_S8_S8_S8_S8_S8_S8_EEEEPS9_S9_NSD_9__find_if7functorIS9_EEEE10hipError_tPvRmT1_T2_T3_mT4_P12ihipStream_tbEUlT_E0_NS1_11comp_targetILNS1_3genE0ELNS1_11target_archE4294967295ELNS1_3gpuE0ELNS1_3repE0EEENS1_30default_config_static_selectorELNS0_4arch9wavefront6targetE0EEEvS14_: ; @_ZN7rocprim17ROCPRIM_400000_NS6detail17trampoline_kernelINS0_14default_configENS1_22reduce_config_selectorIN6thrust23THRUST_200600_302600_NS5tupleIblNS6_9null_typeES8_S8_S8_S8_S8_S8_S8_EEEEZNS1_11reduce_implILb1ES3_NS6_12zip_iteratorINS7_INS6_11hip_rocprim26transform_input_iterator_tIbNSD_35transform_pair_of_input_iterators_tIbNS6_6detail15normal_iteratorINS6_10device_ptrIKfEEEESL_NS6_8equal_toIfEEEENSG_9not_fun_tINSD_8identityEEEEENSD_19counting_iterator_tIlEES8_S8_S8_S8_S8_S8_S8_S8_EEEEPS9_S9_NSD_9__find_if7functorIS9_EEEE10hipError_tPvRmT1_T2_T3_mT4_P12ihipStream_tbEUlT_E0_NS1_11comp_targetILNS1_3genE0ELNS1_11target_archE4294967295ELNS1_3gpuE0ELNS1_3repE0EEENS1_30default_config_static_selectorELNS0_4arch9wavefront6targetE0EEEvS14_
; %bb.0:
	s_clause 0x2
	s_load_b256 s[4:11], s[0:1], 0x20
	s_load_b128 s[24:27], s[0:1], 0x0
	s_load_b128 s[12:15], s[0:1], 0x40
	s_bfe_u32 s3, ttmp6, 0x4000c
	s_and_b32 s2, ttmp6, 15
	s_add_co_i32 s3, s3, 1
	s_getreg_b32 s16, hwreg(HW_REG_IB_STS2, 6, 4)
	s_mul_i32 s3, ttmp9, s3
	s_mov_b32 s23, 0
	s_add_co_i32 s20, s2, s3
	v_mbcnt_lo_u32_b32 v8, -1, 0
	s_mov_b32 s17, s23
	s_wait_kmcnt 0x0
	s_lshl_b64 s[2:3], s[6:7], 2
	s_cmp_eq_u32 s16, 0
	s_add_nc_u64 s[18:19], s[24:25], s[2:3]
	s_cselect_b32 s16, ttmp9, s20
	s_add_nc_u64 s[2:3], s[26:27], s[2:3]
	s_lshl_b32 s22, s16, 8
	s_lshr_b64 s[20:21], s[8:9], 8
	s_lshl_b64 s[24:25], s[22:23], 2
	s_add_nc_u64 s[4:5], s[4:5], s[22:23]
	s_cmp_lg_u64 s[20:21], s[16:17]
	s_add_nc_u64 s[18:19], s[18:19], s[24:25]
	s_add_nc_u64 s[20:21], s[2:3], s[24:25]
	;; [unrolled: 1-line block ×3, first 2 shown]
	s_cbranch_scc0 .LBB77_10
; %bb.1:
	s_clause 0x3
	global_load_b32 v6, v0, s[18:19] scale_offset
	global_load_b32 v7, v0, s[20:21] scale_offset
	global_load_b32 v9, v0, s[20:21] offset:512 scale_offset
	global_load_b32 v10, v0, s[18:19] offset:512 scale_offset
	s_wait_loadcnt 0x2
	v_cmp_neq_f32_e32 vcc_lo, v6, v7
	v_mov_b32_e32 v1, 0
	s_wait_loadcnt 0x0
	v_cmp_neq_f32_e64 s2, v10, v9
	s_delay_alu instid0(VALU_DEP_2) | instskip(NEXT) | instid1(VALU_DEP_1)
	v_add_nc_u64_e32 v[2:3], s[6:7], v[0:1]
	v_add_nc_u64_e32 v[4:5], 0x80, v[2:3]
	s_delay_alu instid0(VALU_DEP_1) | instskip(NEXT) | instid1(VALU_DEP_1)
	v_cndmask_b32_e32 v3, v5, v3, vcc_lo
	v_mov_b32_dpp v5, v3 quad_perm:[1,0,3,2] row_mask:0xf bank_mask:0xf
	s_delay_alu instid0(VALU_DEP_3) | instskip(SKIP_3) | instid1(VALU_DEP_2)
	v_cndmask_b32_e32 v2, v4, v2, vcc_lo
	s_or_b32 vcc_lo, vcc_lo, s2
	s_mov_b32 s2, exec_lo
	v_cndmask_b32_e64 v9, 0, 1, vcc_lo
	v_mov_b32_dpp v4, v2 quad_perm:[1,0,3,2] row_mask:0xf bank_mask:0xf
	s_delay_alu instid0(VALU_DEP_2) | instskip(NEXT) | instid1(VALU_DEP_2)
	v_mov_b32_dpp v10, v9 quad_perm:[1,0,3,2] row_mask:0xf bank_mask:0xf
	v_min_i64 v[6:7], v[2:3], v[4:5]
	s_delay_alu instid0(VALU_DEP_1) | instskip(NEXT) | instid1(VALU_DEP_2)
	v_dual_cndmask_b32 v5, v5, v7, vcc_lo :: v_dual_bitop2_b32 v10, 1, v10 bitop3:0x40
	v_cndmask_b32_e32 v4, v4, v6, vcc_lo
	s_delay_alu instid0(VALU_DEP_2) | instskip(SKIP_1) | instid1(VALU_DEP_4)
	v_cmp_eq_u32_e32 vcc_lo, 1, v10
	v_cndmask_b32_e64 v9, v9, 1, vcc_lo
	v_cndmask_b32_e32 v3, v3, v5, vcc_lo
	s_delay_alu instid0(VALU_DEP_2) | instskip(SKIP_2) | instid1(VALU_DEP_4)
	v_and_b32_e32 v10, 1, v9
	v_mov_b32_dpp v11, v9 quad_perm:[2,3,0,1] row_mask:0xf bank_mask:0xf
	v_cndmask_b32_e32 v2, v2, v4, vcc_lo
	v_mov_b32_dpp v5, v3 quad_perm:[2,3,0,1] row_mask:0xf bank_mask:0xf
	s_delay_alu instid0(VALU_DEP_4) | instskip(NEXT) | instid1(VALU_DEP_4)
	v_cmp_eq_u32_e32 vcc_lo, 1, v10
	v_and_b32_e32 v10, 1, v11
	s_delay_alu instid0(VALU_DEP_4) | instskip(NEXT) | instid1(VALU_DEP_1)
	v_mov_b32_dpp v4, v2 quad_perm:[2,3,0,1] row_mask:0xf bank_mask:0xf
	v_min_i64 v[6:7], v[2:3], v[4:5]
	s_delay_alu instid0(VALU_DEP_1) | instskip(NEXT) | instid1(VALU_DEP_4)
	v_dual_cndmask_b32 v4, v4, v6 :: v_dual_cndmask_b32 v5, v5, v7
	v_cmp_eq_u32_e32 vcc_lo, 1, v10
	s_delay_alu instid0(VALU_DEP_2) | instskip(SKIP_1) | instid1(VALU_DEP_2)
	v_dual_cndmask_b32 v3, v3, v5 :: v_dual_cndmask_b32 v2, v2, v4
	v_cndmask_b32_e64 v9, v9, 1, vcc_lo
	v_mov_b32_dpp v5, v3 row_ror:4 row_mask:0xf bank_mask:0xf
	s_delay_alu instid0(VALU_DEP_3) | instskip(NEXT) | instid1(VALU_DEP_3)
	v_mov_b32_dpp v4, v2 row_ror:4 row_mask:0xf bank_mask:0xf
	v_mov_b32_dpp v11, v9 row_ror:4 row_mask:0xf bank_mask:0xf
	s_delay_alu instid0(VALU_DEP_2) | instskip(SKIP_1) | instid1(VALU_DEP_1)
	v_min_i64 v[6:7], v[2:3], v[4:5]
	v_and_b32_e32 v10, 1, v9
	v_cmp_eq_u32_e32 vcc_lo, 1, v10
	s_delay_alu instid0(VALU_DEP_3) | instskip(SKIP_1) | instid1(VALU_DEP_1)
	v_dual_cndmask_b32 v4, v4, v6 :: v_dual_cndmask_b32 v5, v5, v7
	v_and_b32_e32 v10, 1, v11
	v_cmp_eq_u32_e32 vcc_lo, 1, v10
	s_delay_alu instid0(VALU_DEP_3) | instskip(SKIP_1) | instid1(VALU_DEP_2)
	v_dual_cndmask_b32 v2, v2, v4 :: v_dual_cndmask_b32 v3, v3, v5
	v_cndmask_b32_e64 v9, v9, 1, vcc_lo
	v_mov_b32_dpp v4, v2 row_ror:8 row_mask:0xf bank_mask:0xf
	s_delay_alu instid0(VALU_DEP_3) | instskip(NEXT) | instid1(VALU_DEP_3)
	v_mov_b32_dpp v5, v3 row_ror:8 row_mask:0xf bank_mask:0xf
	v_mov_b32_dpp v11, v9 row_ror:8 row_mask:0xf bank_mask:0xf
	s_delay_alu instid0(VALU_DEP_2) | instskip(SKIP_1) | instid1(VALU_DEP_1)
	v_min_i64 v[6:7], v[2:3], v[4:5]
	v_and_b32_e32 v10, 1, v9
	v_cmp_eq_u32_e32 vcc_lo, 1, v10
	s_delay_alu instid0(VALU_DEP_3) | instskip(SKIP_1) | instid1(VALU_DEP_1)
	v_dual_cndmask_b32 v4, v4, v6 :: v_dual_cndmask_b32 v5, v5, v7
	v_and_b32_e32 v10, 1, v11
	v_cmp_eq_u32_e32 vcc_lo, 1, v10
	s_delay_alu instid0(VALU_DEP_3)
	v_dual_cndmask_b32 v2, v2, v4 :: v_dual_cndmask_b32 v3, v3, v5
	v_cndmask_b32_e64 v9, v9, 1, vcc_lo
	ds_swizzle_b32 v4, v2 offset:swizzle(BROADCAST,32,15)
	ds_swizzle_b32 v5, v3 offset:swizzle(BROADCAST,32,15)
	;; [unrolled: 1-line block ×3, first 2 shown]
	s_wait_dscnt 0x1
	v_min_i64 v[6:7], v[2:3], v[4:5]
	v_and_b32_e32 v11, 1, v9
	s_delay_alu instid0(VALU_DEP_1) | instskip(SKIP_1) | instid1(VALU_DEP_3)
	v_cmp_eq_u32_e32 vcc_lo, 1, v11
	s_wait_dscnt 0x0
	v_dual_cndmask_b32 v5, v5, v7, vcc_lo :: v_dual_bitop2_b32 v10, 1, v10 bitop3:0x40
	s_delay_alu instid0(VALU_DEP_4) | instskip(NEXT) | instid1(VALU_DEP_2)
	v_cndmask_b32_e32 v4, v4, v6, vcc_lo
	v_cmp_eq_u32_e32 vcc_lo, 1, v10
	s_delay_alu instid0(VALU_DEP_2)
	v_dual_cndmask_b32 v3, v3, v5 :: v_dual_cndmask_b32 v2, v2, v4
	v_cndmask_b32_e64 v5, v9, 1, vcc_lo
	ds_bpermute_b32 v3, v1, v3 offset:124
	ds_bpermute_b32 v2, v1, v2 offset:124
	;; [unrolled: 1-line block ×3, first 2 shown]
	v_cmpx_eq_u32_e32 0, v8
	s_cbranch_execz .LBB77_3
; %bb.2:
	v_lshrrev_b32_e32 v1, 1, v0
	s_delay_alu instid0(VALU_DEP_1)
	v_and_b32_e32 v1, 48, v1
	s_wait_dscnt 0x0
	ds_store_b8 v1, v6
	ds_store_b64 v1, v[2:3] offset:8
.LBB77_3:
	s_or_b32 exec_lo, exec_lo, s2
	s_delay_alu instid0(SALU_CYCLE_1)
	s_mov_b32 s2, exec_lo
	s_wait_dscnt 0x0
	s_barrier_signal -1
	s_barrier_wait -1
	v_cmpx_gt_u32_e32 32, v0
	s_cbranch_execz .LBB77_9
; %bb.4:
	v_and_b32_e32 v2, 3, v8
	s_delay_alu instid0(VALU_DEP_1) | instskip(SKIP_2) | instid1(VALU_DEP_1)
	v_cmp_ne_u32_e32 vcc_lo, 3, v2
	v_lshlrev_b32_e32 v3, 4, v2
	v_add_co_ci_u32_e64 v2, null, 0, v8, vcc_lo
	v_lshlrev_b32_e32 v2, 2, v2
	ds_load_u8 v1, v3
	ds_load_b64 v[4:5], v3 offset:8
	s_wait_dscnt 0x1
	v_and_b32_e32 v3, 0xff, v1
	s_wait_dscnt 0x0
	ds_bpermute_b32 v6, v2, v4
	ds_bpermute_b32 v7, v2, v5
	ds_bpermute_b32 v9, v2, v3
	s_wait_dscnt 0x0
	v_and_b32_e32 v2, v1, v9
	s_delay_alu instid0(VALU_DEP_1) | instskip(NEXT) | instid1(VALU_DEP_1)
	v_and_b32_e32 v2, 1, v2
	v_cmp_eq_u32_e32 vcc_lo, 1, v2
                                        ; implicit-def: $vgpr2_vgpr3
	s_and_saveexec_b32 s3, vcc_lo
	s_delay_alu instid0(SALU_CYCLE_1)
	s_xor_b32 s3, exec_lo, s3
; %bb.5:
	v_min_i64 v[2:3], v[6:7], v[4:5]
                                        ; implicit-def: $vgpr1
                                        ; implicit-def: $vgpr6_vgpr7
                                        ; implicit-def: $vgpr4_vgpr5
                                        ; implicit-def: $vgpr9
; %bb.6:
	s_or_saveexec_b32 s3, s3
	v_dual_mov_b32 v11, 1 :: v_dual_lshlrev_b32 v10, 2, v8
	s_xor_b32 exec_lo, exec_lo, s3
; %bb.7:
	v_and_b32_e32 v1, 1, v1
	s_delay_alu instid0(VALU_DEP_1) | instskip(SKIP_2) | instid1(VALU_DEP_2)
	v_cmp_eq_u32_e32 vcc_lo, 1, v1
	v_and_b32_e32 v1, 0xff, v9
	v_dual_cndmask_b32 v3, v7, v5 :: v_dual_cndmask_b32 v2, v6, v4
	v_cndmask_b32_e64 v11, v1, 1, vcc_lo
; %bb.8:
	s_or_b32 exec_lo, exec_lo, s3
	s_delay_alu instid0(VALU_DEP_1) | instskip(NEXT) | instid1(VALU_DEP_1)
	v_and_b32_e32 v6, 1, v11
	v_cmp_eq_u32_e32 vcc_lo, 1, v6
	v_or_b32_e32 v1, 8, v10
	ds_bpermute_b32 v4, v1, v2
	ds_bpermute_b32 v5, v1, v3
	s_wait_dscnt 0x0
	v_min_i64 v[12:13], v[4:5], v[2:3]
	v_cndmask_b32_e32 v3, v5, v3, vcc_lo
	ds_bpermute_b32 v1, v1, v11
	v_cndmask_b32_e32 v2, v4, v2, vcc_lo
	s_wait_dscnt 0x0
	v_bitop3_b32 v6, v11, 1, v1 bitop3:0x80
	v_cndmask_b32_e64 v1, v1, 1, vcc_lo
	s_delay_alu instid0(VALU_DEP_2) | instskip(NEXT) | instid1(VALU_DEP_2)
	v_cmp_eq_u32_e32 vcc_lo, 0, v6
	v_dual_cndmask_b32 v6, 1, v1 :: v_dual_cndmask_b32 v3, v13, v3
	v_cndmask_b32_e32 v2, v12, v2, vcc_lo
.LBB77_9:
	s_or_b32 exec_lo, exec_lo, s2
	s_load_b64 s[4:5], s[0:1], 0x58
	s_branch .LBB77_34
.LBB77_10:
                                        ; implicit-def: $vgpr2_vgpr3
                                        ; implicit-def: $vgpr6
	s_load_b64 s[4:5], s[0:1], 0x58
	s_cbranch_execz .LBB77_34
; %bb.11:
	v_mov_b64_e32 v[4:5], 0
	v_mov_b64_e32 v[2:3], 0
	v_dual_mov_b32 v7, 0 :: v_dual_mov_b32 v1, 0
	s_sub_co_i32 s22, s8, s22
	s_mov_b32 s2, exec_lo
	v_cmpx_gt_u32_e64 s22, v0
	s_cbranch_execz .LBB77_13
; %bb.12:
	s_clause 0x1
	global_load_b32 v6, v0, s[18:19] scale_offset
	global_load_b32 v9, v0, s[20:21] scale_offset
	v_mov_b32_e32 v1, 0
	s_delay_alu instid0(VALU_DEP_1)
	v_add_nc_u64_e32 v[2:3], s[6:7], v[0:1]
	s_wait_loadcnt 0x0
	v_cmp_neq_f32_e32 vcc_lo, v6, v9
	v_cndmask_b32_e64 v1, 0, 1, vcc_lo
.LBB77_13:
	s_or_b32 exec_lo, exec_lo, s2
	v_or_b32_e32 v6, 0x80, v0
	s_delay_alu instid0(VALU_DEP_1)
	v_cmp_gt_u32_e32 vcc_lo, s22, v6
	s_and_saveexec_b32 s3, vcc_lo
	s_cbranch_execz .LBB77_15
; %bb.14:
	s_clause 0x1
	global_load_b32 v9, v0, s[18:19] offset:512 scale_offset
	global_load_b32 v10, v0, s[20:21] offset:512 scale_offset
	v_mov_b32_e32 v7, 0
	s_delay_alu instid0(VALU_DEP_1) | instskip(SKIP_2) | instid1(VALU_DEP_1)
	v_add_nc_u64_e32 v[4:5], s[6:7], v[6:7]
	s_wait_loadcnt 0x0
	v_cmp_neq_f32_e64 s2, v9, v10
	v_cndmask_b32_e64 v7, 0, 1, s2
.LBB77_15:
	s_or_b32 exec_lo, exec_lo, s3
	s_delay_alu instid0(VALU_DEP_3) | instskip(NEXT) | instid1(VALU_DEP_2)
	v_min_i64 v[10:11], v[4:5], v[2:3]
	v_and_b32_e32 v6, 1, v7
	s_mov_b32 s6, exec_lo
	s_delay_alu instid0(VALU_DEP_1) | instskip(SKIP_3) | instid1(VALU_DEP_4)
	v_cmp_eq_u32_e64 s2, 1, v6
	v_and_b32_e32 v9, 1, v1
	v_and_b32_e32 v6, 0xffff, v7
	;; [unrolled: 1-line block ×3, first 2 shown]
	v_cndmask_b32_e64 v7, v3, v11, s2
	s_delay_alu instid0(VALU_DEP_4) | instskip(SKIP_2) | instid1(VALU_DEP_3)
	v_cmp_eq_u32_e64 s3, 1, v9
	v_cndmask_b32_e64 v9, v2, v10, s2
	v_cmp_ne_u32_e64 s2, 31, v8
	v_cndmask_b32_e64 v6, v6, 1, s3
	s_delay_alu instid0(VALU_DEP_3) | instskip(NEXT) | instid1(VALU_DEP_3)
	v_dual_cndmask_b32 v4, v4, v9, s3 :: v_dual_cndmask_b32 v5, v5, v7, s3
	v_add_co_ci_u32_e64 v10, null, 0, v8, s2
	s_delay_alu instid0(VALU_DEP_2) | instskip(NEXT) | instid1(VALU_DEP_2)
	v_dual_cndmask_b32 v6, v1, v6, vcc_lo :: v_dual_cndmask_b32 v2, v2, v4, vcc_lo
	v_dual_cndmask_b32 v3, v3, v5, vcc_lo :: v_dual_lshlrev_b32 v9, 2, v10
	v_and_b32_e32 v1, 0x60, v0
	s_min_u32 s3, s22, 0x80
	ds_bpermute_b32 v7, v9, v6
	ds_bpermute_b32 v4, v9, v2
	;; [unrolled: 1-line block ×3, first 2 shown]
	v_sub_nc_u32_e64 v1, s3, v1 clamp
	v_add_nc_u32_e32 v9, 1, v8
	s_delay_alu instid0(VALU_DEP_1)
	v_cmpx_lt_u32_e64 v9, v1
	s_cbranch_execz .LBB77_17
; %bb.16:
	s_wait_dscnt 0x0
	v_min_i64 v[10:11], v[4:5], v[2:3]
	v_and_b32_e32 v9, 1, v6
	s_delay_alu instid0(VALU_DEP_1) | instskip(SKIP_3) | instid1(VALU_DEP_3)
	v_cmp_eq_u32_e32 vcc_lo, 1, v9
	v_and_b32_e32 v6, v6, v7
	v_and_b32_e32 v7, 0xff, v7
	v_dual_cndmask_b32 v2, v4, v2 :: v_dual_cndmask_b32 v3, v5, v3
	v_cmp_eq_u32_e64 s2, 0, v6
	s_delay_alu instid0(VALU_DEP_3) | instskip(NEXT) | instid1(VALU_DEP_1)
	v_cndmask_b32_e64 v4, v7, 1, vcc_lo
	v_dual_cndmask_b32 v6, 1, v4, s2 :: v_dual_cndmask_b32 v3, v11, v3, s2
	s_delay_alu instid0(VALU_DEP_4)
	v_cndmask_b32_e64 v2, v10, v2, s2
.LBB77_17:
	s_or_b32 exec_lo, exec_lo, s6
	v_cmp_gt_u32_e32 vcc_lo, 30, v8
	v_add_nc_u32_e32 v9, 2, v8
	s_mov_b32 s6, exec_lo
	s_wait_dscnt 0x1
	v_cndmask_b32_e64 v4, 0, 2, vcc_lo
	s_wait_dscnt 0x0
	s_delay_alu instid0(VALU_DEP_1)
	v_add_lshl_u32 v5, v4, v8, 2
	ds_bpermute_b32 v7, v5, v6
	ds_bpermute_b32 v4, v5, v2
	ds_bpermute_b32 v5, v5, v3
	v_cmpx_lt_u32_e64 v9, v1
	s_cbranch_execz .LBB77_19
; %bb.18:
	s_wait_dscnt 0x0
	v_min_i64 v[10:11], v[4:5], v[2:3]
	v_and_b32_e32 v9, 1, v6
	v_bitop3_b32 v6, v6, 1, v7 bitop3:0x80
	v_and_b32_e32 v7, 0xff, v7
	s_delay_alu instid0(VALU_DEP_3) | instskip(NEXT) | instid1(VALU_DEP_3)
	v_cmp_eq_u32_e32 vcc_lo, 1, v9
	v_cmp_eq_u32_e64 s2, 0, v6
	v_dual_cndmask_b32 v3, v5, v3 :: v_dual_cndmask_b32 v2, v4, v2
	s_delay_alu instid0(VALU_DEP_4) | instskip(NEXT) | instid1(VALU_DEP_1)
	v_cndmask_b32_e64 v4, v7, 1, vcc_lo
	v_dual_cndmask_b32 v6, 1, v4, s2 :: v_dual_cndmask_b32 v3, v11, v3, s2
	s_delay_alu instid0(VALU_DEP_3)
	v_cndmask_b32_e64 v2, v10, v2, s2
.LBB77_19:
	s_or_b32 exec_lo, exec_lo, s6
	v_cmp_gt_u32_e32 vcc_lo, 28, v8
	v_add_nc_u32_e32 v9, 4, v8
	s_mov_b32 s6, exec_lo
	s_wait_dscnt 0x1
	v_cndmask_b32_e64 v4, 0, 4, vcc_lo
	s_wait_dscnt 0x0
	s_delay_alu instid0(VALU_DEP_1)
	v_add_lshl_u32 v5, v4, v8, 2
	ds_bpermute_b32 v7, v5, v6
	ds_bpermute_b32 v4, v5, v2
	ds_bpermute_b32 v5, v5, v3
	v_cmpx_lt_u32_e64 v9, v1
	s_cbranch_execz .LBB77_21
; %bb.20:
	s_wait_dscnt 0x0
	v_min_i64 v[10:11], v[4:5], v[2:3]
	v_and_b32_e32 v9, 1, v6
	v_bitop3_b32 v6, v6, 1, v7 bitop3:0x80
	v_and_b32_e32 v7, 0xff, v7
	s_delay_alu instid0(VALU_DEP_3) | instskip(NEXT) | instid1(VALU_DEP_3)
	v_cmp_eq_u32_e32 vcc_lo, 1, v9
	v_cmp_eq_u32_e64 s2, 0, v6
	v_dual_cndmask_b32 v3, v5, v3 :: v_dual_cndmask_b32 v2, v4, v2
	s_delay_alu instid0(VALU_DEP_4) | instskip(NEXT) | instid1(VALU_DEP_1)
	v_cndmask_b32_e64 v4, v7, 1, vcc_lo
	v_dual_cndmask_b32 v6, 1, v4, s2 :: v_dual_cndmask_b32 v3, v11, v3, s2
	s_delay_alu instid0(VALU_DEP_3)
	v_cndmask_b32_e64 v2, v10, v2, s2
.LBB77_21:
	;; [unrolled: 30-line block ×3, first 2 shown]
	s_or_b32 exec_lo, exec_lo, s6
	s_wait_dscnt 0x2
	v_dual_lshlrev_b32 v7, 2, v8 :: v_dual_add_nc_u32 v10, 16, v8
	s_wait_dscnt 0x0
	s_delay_alu instid0(VALU_DEP_1) | instskip(NEXT) | instid1(VALU_DEP_2)
	v_or_b32_e32 v5, 64, v7
	v_cmp_lt_u32_e32 vcc_lo, v10, v1
	v_mov_b32_e32 v1, v6
	ds_bpermute_b32 v9, v5, v6
	ds_bpermute_b32 v4, v5, v2
	;; [unrolled: 1-line block ×3, first 2 shown]
	s_and_saveexec_b32 s6, vcc_lo
	s_cbranch_execz .LBB77_25
; %bb.24:
	s_wait_dscnt 0x0
	v_min_i64 v[10:11], v[4:5], v[2:3]
	v_and_b32_e32 v1, 1, v6
	v_bitop3_b32 v6, v6, 1, v9 bitop3:0x80
	s_delay_alu instid0(VALU_DEP_2) | instskip(NEXT) | instid1(VALU_DEP_2)
	v_cmp_eq_u32_e32 vcc_lo, 1, v1
	v_cmp_eq_u32_e64 s2, 0, v6
	v_cndmask_b32_e64 v1, v9, 1, vcc_lo
	v_dual_cndmask_b32 v3, v5, v3 :: v_dual_cndmask_b32 v2, v4, v2
	s_delay_alu instid0(VALU_DEP_2) | instskip(NEXT) | instid1(VALU_DEP_1)
	v_cndmask_b32_e64 v1, 1, v1, s2
	v_and_b32_e32 v6, 0xff, v1
	s_delay_alu instid0(VALU_DEP_3)
	v_dual_cndmask_b32 v3, v11, v3, s2 :: v_dual_cndmask_b32 v2, v10, v2, s2
.LBB77_25:
	s_or_b32 exec_lo, exec_lo, s6
	s_delay_alu instid0(SALU_CYCLE_1)
	s_mov_b32 s2, exec_lo
	v_cmpx_eq_u32_e32 0, v8
	s_cbranch_execz .LBB77_27
; %bb.26:
	s_wait_dscnt 0x1
	v_lshrrev_b32_e32 v4, 1, v0
	s_delay_alu instid0(VALU_DEP_1)
	v_and_b32_e32 v4, 48, v4
	ds_store_b8 v4, v1 offset:64
	ds_store_b64 v4, v[2:3] offset:72
.LBB77_27:
	s_or_b32 exec_lo, exec_lo, s2
	s_delay_alu instid0(SALU_CYCLE_1)
	s_mov_b32 s6, exec_lo
	s_wait_dscnt 0x0
	s_barrier_signal -1
	s_barrier_wait -1
	v_cmpx_gt_u32_e32 4, v0
	s_cbranch_execz .LBB77_33
; %bb.28:
	v_lshlrev_b32_e32 v1, 4, v8
	s_add_co_i32 s3, s3, 31
	s_mov_b32 s7, exec_lo
	s_lshr_b32 s3, s3, 5
	ds_load_u8 v9, v1 offset:64
	ds_load_b64 v[2:3], v1 offset:72
	v_and_b32_e32 v1, 3, v8
	s_delay_alu instid0(VALU_DEP_1) | instskip(SKIP_2) | instid1(VALU_DEP_1)
	v_cmp_ne_u32_e32 vcc_lo, 3, v1
	v_add_nc_u32_e32 v10, 1, v1
	v_add_co_ci_u32_e64 v4, null, 0, v8, vcc_lo
	v_lshlrev_b32_e32 v5, 2, v4
	s_wait_dscnt 0x1
	v_and_b32_e32 v6, 0xff, v9
	s_wait_dscnt 0x0
	ds_bpermute_b32 v4, v5, v2
	ds_bpermute_b32 v8, v5, v6
	;; [unrolled: 1-line block ×3, first 2 shown]
	v_cmpx_gt_u32_e64 s3, v10
	s_cbranch_execz .LBB77_30
; %bb.29:
	s_wait_dscnt 0x0
	v_min_i64 v[10:11], v[4:5], v[2:3]
	v_and_b32_e32 v9, 1, v9
	v_bitop3_b32 v6, v6, 1, v8 bitop3:0x80
	v_and_b32_e32 v8, 0xff, v8
	s_delay_alu instid0(VALU_DEP_3) | instskip(NEXT) | instid1(VALU_DEP_3)
	v_cmp_eq_u32_e32 vcc_lo, 1, v9
	v_cmp_eq_u32_e64 s2, 0, v6
	v_dual_cndmask_b32 v2, v4, v2 :: v_dual_cndmask_b32 v3, v5, v3
	s_delay_alu instid0(VALU_DEP_4) | instskip(NEXT) | instid1(VALU_DEP_1)
	v_cndmask_b32_e64 v4, v8, 1, vcc_lo
	v_dual_cndmask_b32 v6, 1, v4, s2 :: v_dual_cndmask_b32 v2, v10, v2, s2
	s_delay_alu instid0(VALU_DEP_3)
	v_cndmask_b32_e64 v3, v11, v3, s2
.LBB77_30:
	s_or_b32 exec_lo, exec_lo, s7
	s_wait_dscnt 0x0
	v_dual_add_nc_u32 v1, 2, v1 :: v_dual_bitop2_b32 v5, 8, v7 bitop3:0x54
	ds_bpermute_b32 v7, v5, v6
	ds_bpermute_b32 v4, v5, v2
	;; [unrolled: 1-line block ×3, first 2 shown]
	v_cmp_gt_u32_e32 vcc_lo, s3, v1
	s_and_saveexec_b32 s3, vcc_lo
	s_cbranch_execz .LBB77_32
; %bb.31:
	s_wait_dscnt 0x0
	v_min_i64 v[8:9], v[4:5], v[2:3]
	v_and_b32_e32 v1, 1, v6
	s_delay_alu instid0(VALU_DEP_1) | instskip(SKIP_2) | instid1(VALU_DEP_2)
	v_cmp_eq_u32_e32 vcc_lo, 1, v1
	v_bitop3_b32 v1, v6, 1, v7 bitop3:0x80
	v_cndmask_b32_e32 v3, v5, v3, vcc_lo
	v_cmp_eq_u32_e64 s2, 0, v1
	v_cndmask_b32_e32 v2, v4, v2, vcc_lo
	v_cndmask_b32_e64 v1, v7, 1, vcc_lo
	s_delay_alu instid0(VALU_DEP_1) | instskip(NEXT) | instid1(VALU_DEP_3)
	v_dual_cndmask_b32 v6, 1, v1, s2 :: v_dual_cndmask_b32 v3, v9, v3, s2
	v_cndmask_b32_e64 v2, v8, v2, s2
.LBB77_32:
	s_or_b32 exec_lo, exec_lo, s3
.LBB77_33:
	s_delay_alu instid0(SALU_CYCLE_1)
	s_or_b32 exec_lo, exec_lo, s6
.LBB77_34:
	s_wait_xcnt 0x0
	s_load_b32 s0, s[0:1], 0x50
	s_wait_xcnt 0x0
	s_mov_b32 s1, exec_lo
	v_cmpx_eq_u32_e32 0, v0
	s_cbranch_execz .LBB77_36
; %bb.35:
	s_mul_u64 s[2:3], s[14:15], s[12:13]
	s_delay_alu instid0(SALU_CYCLE_1)
	s_lshl_b64 s[2:3], s[2:3], 4
	s_cmp_eq_u64 s[8:9], 0
	s_add_nc_u64 s[2:3], s[10:11], s[2:3]
	s_cselect_b32 s1, -1, 0
	s_wait_kmcnt 0x0
	v_cndmask_b32_e64 v1, v3, s5, s1
	v_cndmask_b32_e64 v0, v2, s4, s1
	;; [unrolled: 1-line block ×3, first 2 shown]
	v_mov_b32_e32 v3, 0
	s_lshl_b64 s[0:1], s[16:17], 4
	s_delay_alu instid0(SALU_CYCLE_1)
	s_add_nc_u64 s[0:1], s[2:3], s[0:1]
	s_clause 0x1
	global_store_b8 v3, v2, s[0:1]
	global_store_b64 v3, v[0:1], s[0:1] offset:8
.LBB77_36:
	s_endpgm
	.section	.rodata,"a",@progbits
	.p2align	6, 0x0
	.amdhsa_kernel _ZN7rocprim17ROCPRIM_400000_NS6detail17trampoline_kernelINS0_14default_configENS1_22reduce_config_selectorIN6thrust23THRUST_200600_302600_NS5tupleIblNS6_9null_typeES8_S8_S8_S8_S8_S8_S8_EEEEZNS1_11reduce_implILb1ES3_NS6_12zip_iteratorINS7_INS6_11hip_rocprim26transform_input_iterator_tIbNSD_35transform_pair_of_input_iterators_tIbNS6_6detail15normal_iteratorINS6_10device_ptrIKfEEEESL_NS6_8equal_toIfEEEENSG_9not_fun_tINSD_8identityEEEEENSD_19counting_iterator_tIlEES8_S8_S8_S8_S8_S8_S8_S8_EEEEPS9_S9_NSD_9__find_if7functorIS9_EEEE10hipError_tPvRmT1_T2_T3_mT4_P12ihipStream_tbEUlT_E0_NS1_11comp_targetILNS1_3genE0ELNS1_11target_archE4294967295ELNS1_3gpuE0ELNS1_3repE0EEENS1_30default_config_static_selectorELNS0_4arch9wavefront6targetE0EEEvS14_
		.amdhsa_group_segment_fixed_size 128
		.amdhsa_private_segment_fixed_size 0
		.amdhsa_kernarg_size 104
		.amdhsa_user_sgpr_count 2
		.amdhsa_user_sgpr_dispatch_ptr 0
		.amdhsa_user_sgpr_queue_ptr 0
		.amdhsa_user_sgpr_kernarg_segment_ptr 1
		.amdhsa_user_sgpr_dispatch_id 0
		.amdhsa_user_sgpr_kernarg_preload_length 0
		.amdhsa_user_sgpr_kernarg_preload_offset 0
		.amdhsa_user_sgpr_private_segment_size 0
		.amdhsa_wavefront_size32 1
		.amdhsa_uses_dynamic_stack 0
		.amdhsa_enable_private_segment 0
		.amdhsa_system_sgpr_workgroup_id_x 1
		.amdhsa_system_sgpr_workgroup_id_y 0
		.amdhsa_system_sgpr_workgroup_id_z 0
		.amdhsa_system_sgpr_workgroup_info 0
		.amdhsa_system_vgpr_workitem_id 0
		.amdhsa_next_free_vgpr 14
		.amdhsa_next_free_sgpr 28
		.amdhsa_named_barrier_count 0
		.amdhsa_reserve_vcc 1
		.amdhsa_float_round_mode_32 0
		.amdhsa_float_round_mode_16_64 0
		.amdhsa_float_denorm_mode_32 3
		.amdhsa_float_denorm_mode_16_64 3
		.amdhsa_fp16_overflow 0
		.amdhsa_memory_ordered 1
		.amdhsa_forward_progress 1
		.amdhsa_inst_pref_size 23
		.amdhsa_round_robin_scheduling 0
		.amdhsa_exception_fp_ieee_invalid_op 0
		.amdhsa_exception_fp_denorm_src 0
		.amdhsa_exception_fp_ieee_div_zero 0
		.amdhsa_exception_fp_ieee_overflow 0
		.amdhsa_exception_fp_ieee_underflow 0
		.amdhsa_exception_fp_ieee_inexact 0
		.amdhsa_exception_int_div_zero 0
	.end_amdhsa_kernel
	.section	.text._ZN7rocprim17ROCPRIM_400000_NS6detail17trampoline_kernelINS0_14default_configENS1_22reduce_config_selectorIN6thrust23THRUST_200600_302600_NS5tupleIblNS6_9null_typeES8_S8_S8_S8_S8_S8_S8_EEEEZNS1_11reduce_implILb1ES3_NS6_12zip_iteratorINS7_INS6_11hip_rocprim26transform_input_iterator_tIbNSD_35transform_pair_of_input_iterators_tIbNS6_6detail15normal_iteratorINS6_10device_ptrIKfEEEESL_NS6_8equal_toIfEEEENSG_9not_fun_tINSD_8identityEEEEENSD_19counting_iterator_tIlEES8_S8_S8_S8_S8_S8_S8_S8_EEEEPS9_S9_NSD_9__find_if7functorIS9_EEEE10hipError_tPvRmT1_T2_T3_mT4_P12ihipStream_tbEUlT_E0_NS1_11comp_targetILNS1_3genE0ELNS1_11target_archE4294967295ELNS1_3gpuE0ELNS1_3repE0EEENS1_30default_config_static_selectorELNS0_4arch9wavefront6targetE0EEEvS14_,"axG",@progbits,_ZN7rocprim17ROCPRIM_400000_NS6detail17trampoline_kernelINS0_14default_configENS1_22reduce_config_selectorIN6thrust23THRUST_200600_302600_NS5tupleIblNS6_9null_typeES8_S8_S8_S8_S8_S8_S8_EEEEZNS1_11reduce_implILb1ES3_NS6_12zip_iteratorINS7_INS6_11hip_rocprim26transform_input_iterator_tIbNSD_35transform_pair_of_input_iterators_tIbNS6_6detail15normal_iteratorINS6_10device_ptrIKfEEEESL_NS6_8equal_toIfEEEENSG_9not_fun_tINSD_8identityEEEEENSD_19counting_iterator_tIlEES8_S8_S8_S8_S8_S8_S8_S8_EEEEPS9_S9_NSD_9__find_if7functorIS9_EEEE10hipError_tPvRmT1_T2_T3_mT4_P12ihipStream_tbEUlT_E0_NS1_11comp_targetILNS1_3genE0ELNS1_11target_archE4294967295ELNS1_3gpuE0ELNS1_3repE0EEENS1_30default_config_static_selectorELNS0_4arch9wavefront6targetE0EEEvS14_,comdat
.Lfunc_end77:
	.size	_ZN7rocprim17ROCPRIM_400000_NS6detail17trampoline_kernelINS0_14default_configENS1_22reduce_config_selectorIN6thrust23THRUST_200600_302600_NS5tupleIblNS6_9null_typeES8_S8_S8_S8_S8_S8_S8_EEEEZNS1_11reduce_implILb1ES3_NS6_12zip_iteratorINS7_INS6_11hip_rocprim26transform_input_iterator_tIbNSD_35transform_pair_of_input_iterators_tIbNS6_6detail15normal_iteratorINS6_10device_ptrIKfEEEESL_NS6_8equal_toIfEEEENSG_9not_fun_tINSD_8identityEEEEENSD_19counting_iterator_tIlEES8_S8_S8_S8_S8_S8_S8_S8_EEEEPS9_S9_NSD_9__find_if7functorIS9_EEEE10hipError_tPvRmT1_T2_T3_mT4_P12ihipStream_tbEUlT_E0_NS1_11comp_targetILNS1_3genE0ELNS1_11target_archE4294967295ELNS1_3gpuE0ELNS1_3repE0EEENS1_30default_config_static_selectorELNS0_4arch9wavefront6targetE0EEEvS14_, .Lfunc_end77-_ZN7rocprim17ROCPRIM_400000_NS6detail17trampoline_kernelINS0_14default_configENS1_22reduce_config_selectorIN6thrust23THRUST_200600_302600_NS5tupleIblNS6_9null_typeES8_S8_S8_S8_S8_S8_S8_EEEEZNS1_11reduce_implILb1ES3_NS6_12zip_iteratorINS7_INS6_11hip_rocprim26transform_input_iterator_tIbNSD_35transform_pair_of_input_iterators_tIbNS6_6detail15normal_iteratorINS6_10device_ptrIKfEEEESL_NS6_8equal_toIfEEEENSG_9not_fun_tINSD_8identityEEEEENSD_19counting_iterator_tIlEES8_S8_S8_S8_S8_S8_S8_S8_EEEEPS9_S9_NSD_9__find_if7functorIS9_EEEE10hipError_tPvRmT1_T2_T3_mT4_P12ihipStream_tbEUlT_E0_NS1_11comp_targetILNS1_3genE0ELNS1_11target_archE4294967295ELNS1_3gpuE0ELNS1_3repE0EEENS1_30default_config_static_selectorELNS0_4arch9wavefront6targetE0EEEvS14_
                                        ; -- End function
	.set _ZN7rocprim17ROCPRIM_400000_NS6detail17trampoline_kernelINS0_14default_configENS1_22reduce_config_selectorIN6thrust23THRUST_200600_302600_NS5tupleIblNS6_9null_typeES8_S8_S8_S8_S8_S8_S8_EEEEZNS1_11reduce_implILb1ES3_NS6_12zip_iteratorINS7_INS6_11hip_rocprim26transform_input_iterator_tIbNSD_35transform_pair_of_input_iterators_tIbNS6_6detail15normal_iteratorINS6_10device_ptrIKfEEEESL_NS6_8equal_toIfEEEENSG_9not_fun_tINSD_8identityEEEEENSD_19counting_iterator_tIlEES8_S8_S8_S8_S8_S8_S8_S8_EEEEPS9_S9_NSD_9__find_if7functorIS9_EEEE10hipError_tPvRmT1_T2_T3_mT4_P12ihipStream_tbEUlT_E0_NS1_11comp_targetILNS1_3genE0ELNS1_11target_archE4294967295ELNS1_3gpuE0ELNS1_3repE0EEENS1_30default_config_static_selectorELNS0_4arch9wavefront6targetE0EEEvS14_.num_vgpr, 14
	.set _ZN7rocprim17ROCPRIM_400000_NS6detail17trampoline_kernelINS0_14default_configENS1_22reduce_config_selectorIN6thrust23THRUST_200600_302600_NS5tupleIblNS6_9null_typeES8_S8_S8_S8_S8_S8_S8_EEEEZNS1_11reduce_implILb1ES3_NS6_12zip_iteratorINS7_INS6_11hip_rocprim26transform_input_iterator_tIbNSD_35transform_pair_of_input_iterators_tIbNS6_6detail15normal_iteratorINS6_10device_ptrIKfEEEESL_NS6_8equal_toIfEEEENSG_9not_fun_tINSD_8identityEEEEENSD_19counting_iterator_tIlEES8_S8_S8_S8_S8_S8_S8_S8_EEEEPS9_S9_NSD_9__find_if7functorIS9_EEEE10hipError_tPvRmT1_T2_T3_mT4_P12ihipStream_tbEUlT_E0_NS1_11comp_targetILNS1_3genE0ELNS1_11target_archE4294967295ELNS1_3gpuE0ELNS1_3repE0EEENS1_30default_config_static_selectorELNS0_4arch9wavefront6targetE0EEEvS14_.num_agpr, 0
	.set _ZN7rocprim17ROCPRIM_400000_NS6detail17trampoline_kernelINS0_14default_configENS1_22reduce_config_selectorIN6thrust23THRUST_200600_302600_NS5tupleIblNS6_9null_typeES8_S8_S8_S8_S8_S8_S8_EEEEZNS1_11reduce_implILb1ES3_NS6_12zip_iteratorINS7_INS6_11hip_rocprim26transform_input_iterator_tIbNSD_35transform_pair_of_input_iterators_tIbNS6_6detail15normal_iteratorINS6_10device_ptrIKfEEEESL_NS6_8equal_toIfEEEENSG_9not_fun_tINSD_8identityEEEEENSD_19counting_iterator_tIlEES8_S8_S8_S8_S8_S8_S8_S8_EEEEPS9_S9_NSD_9__find_if7functorIS9_EEEE10hipError_tPvRmT1_T2_T3_mT4_P12ihipStream_tbEUlT_E0_NS1_11comp_targetILNS1_3genE0ELNS1_11target_archE4294967295ELNS1_3gpuE0ELNS1_3repE0EEENS1_30default_config_static_selectorELNS0_4arch9wavefront6targetE0EEEvS14_.numbered_sgpr, 28
	.set _ZN7rocprim17ROCPRIM_400000_NS6detail17trampoline_kernelINS0_14default_configENS1_22reduce_config_selectorIN6thrust23THRUST_200600_302600_NS5tupleIblNS6_9null_typeES8_S8_S8_S8_S8_S8_S8_EEEEZNS1_11reduce_implILb1ES3_NS6_12zip_iteratorINS7_INS6_11hip_rocprim26transform_input_iterator_tIbNSD_35transform_pair_of_input_iterators_tIbNS6_6detail15normal_iteratorINS6_10device_ptrIKfEEEESL_NS6_8equal_toIfEEEENSG_9not_fun_tINSD_8identityEEEEENSD_19counting_iterator_tIlEES8_S8_S8_S8_S8_S8_S8_S8_EEEEPS9_S9_NSD_9__find_if7functorIS9_EEEE10hipError_tPvRmT1_T2_T3_mT4_P12ihipStream_tbEUlT_E0_NS1_11comp_targetILNS1_3genE0ELNS1_11target_archE4294967295ELNS1_3gpuE0ELNS1_3repE0EEENS1_30default_config_static_selectorELNS0_4arch9wavefront6targetE0EEEvS14_.num_named_barrier, 0
	.set _ZN7rocprim17ROCPRIM_400000_NS6detail17trampoline_kernelINS0_14default_configENS1_22reduce_config_selectorIN6thrust23THRUST_200600_302600_NS5tupleIblNS6_9null_typeES8_S8_S8_S8_S8_S8_S8_EEEEZNS1_11reduce_implILb1ES3_NS6_12zip_iteratorINS7_INS6_11hip_rocprim26transform_input_iterator_tIbNSD_35transform_pair_of_input_iterators_tIbNS6_6detail15normal_iteratorINS6_10device_ptrIKfEEEESL_NS6_8equal_toIfEEEENSG_9not_fun_tINSD_8identityEEEEENSD_19counting_iterator_tIlEES8_S8_S8_S8_S8_S8_S8_S8_EEEEPS9_S9_NSD_9__find_if7functorIS9_EEEE10hipError_tPvRmT1_T2_T3_mT4_P12ihipStream_tbEUlT_E0_NS1_11comp_targetILNS1_3genE0ELNS1_11target_archE4294967295ELNS1_3gpuE0ELNS1_3repE0EEENS1_30default_config_static_selectorELNS0_4arch9wavefront6targetE0EEEvS14_.private_seg_size, 0
	.set _ZN7rocprim17ROCPRIM_400000_NS6detail17trampoline_kernelINS0_14default_configENS1_22reduce_config_selectorIN6thrust23THRUST_200600_302600_NS5tupleIblNS6_9null_typeES8_S8_S8_S8_S8_S8_S8_EEEEZNS1_11reduce_implILb1ES3_NS6_12zip_iteratorINS7_INS6_11hip_rocprim26transform_input_iterator_tIbNSD_35transform_pair_of_input_iterators_tIbNS6_6detail15normal_iteratorINS6_10device_ptrIKfEEEESL_NS6_8equal_toIfEEEENSG_9not_fun_tINSD_8identityEEEEENSD_19counting_iterator_tIlEES8_S8_S8_S8_S8_S8_S8_S8_EEEEPS9_S9_NSD_9__find_if7functorIS9_EEEE10hipError_tPvRmT1_T2_T3_mT4_P12ihipStream_tbEUlT_E0_NS1_11comp_targetILNS1_3genE0ELNS1_11target_archE4294967295ELNS1_3gpuE0ELNS1_3repE0EEENS1_30default_config_static_selectorELNS0_4arch9wavefront6targetE0EEEvS14_.uses_vcc, 1
	.set _ZN7rocprim17ROCPRIM_400000_NS6detail17trampoline_kernelINS0_14default_configENS1_22reduce_config_selectorIN6thrust23THRUST_200600_302600_NS5tupleIblNS6_9null_typeES8_S8_S8_S8_S8_S8_S8_EEEEZNS1_11reduce_implILb1ES3_NS6_12zip_iteratorINS7_INS6_11hip_rocprim26transform_input_iterator_tIbNSD_35transform_pair_of_input_iterators_tIbNS6_6detail15normal_iteratorINS6_10device_ptrIKfEEEESL_NS6_8equal_toIfEEEENSG_9not_fun_tINSD_8identityEEEEENSD_19counting_iterator_tIlEES8_S8_S8_S8_S8_S8_S8_S8_EEEEPS9_S9_NSD_9__find_if7functorIS9_EEEE10hipError_tPvRmT1_T2_T3_mT4_P12ihipStream_tbEUlT_E0_NS1_11comp_targetILNS1_3genE0ELNS1_11target_archE4294967295ELNS1_3gpuE0ELNS1_3repE0EEENS1_30default_config_static_selectorELNS0_4arch9wavefront6targetE0EEEvS14_.uses_flat_scratch, 0
	.set _ZN7rocprim17ROCPRIM_400000_NS6detail17trampoline_kernelINS0_14default_configENS1_22reduce_config_selectorIN6thrust23THRUST_200600_302600_NS5tupleIblNS6_9null_typeES8_S8_S8_S8_S8_S8_S8_EEEEZNS1_11reduce_implILb1ES3_NS6_12zip_iteratorINS7_INS6_11hip_rocprim26transform_input_iterator_tIbNSD_35transform_pair_of_input_iterators_tIbNS6_6detail15normal_iteratorINS6_10device_ptrIKfEEEESL_NS6_8equal_toIfEEEENSG_9not_fun_tINSD_8identityEEEEENSD_19counting_iterator_tIlEES8_S8_S8_S8_S8_S8_S8_S8_EEEEPS9_S9_NSD_9__find_if7functorIS9_EEEE10hipError_tPvRmT1_T2_T3_mT4_P12ihipStream_tbEUlT_E0_NS1_11comp_targetILNS1_3genE0ELNS1_11target_archE4294967295ELNS1_3gpuE0ELNS1_3repE0EEENS1_30default_config_static_selectorELNS0_4arch9wavefront6targetE0EEEvS14_.has_dyn_sized_stack, 0
	.set _ZN7rocprim17ROCPRIM_400000_NS6detail17trampoline_kernelINS0_14default_configENS1_22reduce_config_selectorIN6thrust23THRUST_200600_302600_NS5tupleIblNS6_9null_typeES8_S8_S8_S8_S8_S8_S8_EEEEZNS1_11reduce_implILb1ES3_NS6_12zip_iteratorINS7_INS6_11hip_rocprim26transform_input_iterator_tIbNSD_35transform_pair_of_input_iterators_tIbNS6_6detail15normal_iteratorINS6_10device_ptrIKfEEEESL_NS6_8equal_toIfEEEENSG_9not_fun_tINSD_8identityEEEEENSD_19counting_iterator_tIlEES8_S8_S8_S8_S8_S8_S8_S8_EEEEPS9_S9_NSD_9__find_if7functorIS9_EEEE10hipError_tPvRmT1_T2_T3_mT4_P12ihipStream_tbEUlT_E0_NS1_11comp_targetILNS1_3genE0ELNS1_11target_archE4294967295ELNS1_3gpuE0ELNS1_3repE0EEENS1_30default_config_static_selectorELNS0_4arch9wavefront6targetE0EEEvS14_.has_recursion, 0
	.set _ZN7rocprim17ROCPRIM_400000_NS6detail17trampoline_kernelINS0_14default_configENS1_22reduce_config_selectorIN6thrust23THRUST_200600_302600_NS5tupleIblNS6_9null_typeES8_S8_S8_S8_S8_S8_S8_EEEEZNS1_11reduce_implILb1ES3_NS6_12zip_iteratorINS7_INS6_11hip_rocprim26transform_input_iterator_tIbNSD_35transform_pair_of_input_iterators_tIbNS6_6detail15normal_iteratorINS6_10device_ptrIKfEEEESL_NS6_8equal_toIfEEEENSG_9not_fun_tINSD_8identityEEEEENSD_19counting_iterator_tIlEES8_S8_S8_S8_S8_S8_S8_S8_EEEEPS9_S9_NSD_9__find_if7functorIS9_EEEE10hipError_tPvRmT1_T2_T3_mT4_P12ihipStream_tbEUlT_E0_NS1_11comp_targetILNS1_3genE0ELNS1_11target_archE4294967295ELNS1_3gpuE0ELNS1_3repE0EEENS1_30default_config_static_selectorELNS0_4arch9wavefront6targetE0EEEvS14_.has_indirect_call, 0
	.section	.AMDGPU.csdata,"",@progbits
; Kernel info:
; codeLenInByte = 2840
; TotalNumSgprs: 30
; NumVgprs: 14
; ScratchSize: 0
; MemoryBound: 0
; FloatMode: 240
; IeeeMode: 1
; LDSByteSize: 128 bytes/workgroup (compile time only)
; SGPRBlocks: 0
; VGPRBlocks: 0
; NumSGPRsForWavesPerEU: 30
; NumVGPRsForWavesPerEU: 14
; NamedBarCnt: 0
; Occupancy: 16
; WaveLimiterHint : 0
; COMPUTE_PGM_RSRC2:SCRATCH_EN: 0
; COMPUTE_PGM_RSRC2:USER_SGPR: 2
; COMPUTE_PGM_RSRC2:TRAP_HANDLER: 0
; COMPUTE_PGM_RSRC2:TGID_X_EN: 1
; COMPUTE_PGM_RSRC2:TGID_Y_EN: 0
; COMPUTE_PGM_RSRC2:TGID_Z_EN: 0
; COMPUTE_PGM_RSRC2:TIDIG_COMP_CNT: 0
	.section	.text._ZN7rocprim17ROCPRIM_400000_NS6detail17trampoline_kernelINS0_14default_configENS1_22reduce_config_selectorIN6thrust23THRUST_200600_302600_NS5tupleIblNS6_9null_typeES8_S8_S8_S8_S8_S8_S8_EEEEZNS1_11reduce_implILb1ES3_NS6_12zip_iteratorINS7_INS6_11hip_rocprim26transform_input_iterator_tIbNSD_35transform_pair_of_input_iterators_tIbNS6_6detail15normal_iteratorINS6_10device_ptrIKfEEEESL_NS6_8equal_toIfEEEENSG_9not_fun_tINSD_8identityEEEEENSD_19counting_iterator_tIlEES8_S8_S8_S8_S8_S8_S8_S8_EEEEPS9_S9_NSD_9__find_if7functorIS9_EEEE10hipError_tPvRmT1_T2_T3_mT4_P12ihipStream_tbEUlT_E0_NS1_11comp_targetILNS1_3genE5ELNS1_11target_archE942ELNS1_3gpuE9ELNS1_3repE0EEENS1_30default_config_static_selectorELNS0_4arch9wavefront6targetE0EEEvS14_,"axG",@progbits,_ZN7rocprim17ROCPRIM_400000_NS6detail17trampoline_kernelINS0_14default_configENS1_22reduce_config_selectorIN6thrust23THRUST_200600_302600_NS5tupleIblNS6_9null_typeES8_S8_S8_S8_S8_S8_S8_EEEEZNS1_11reduce_implILb1ES3_NS6_12zip_iteratorINS7_INS6_11hip_rocprim26transform_input_iterator_tIbNSD_35transform_pair_of_input_iterators_tIbNS6_6detail15normal_iteratorINS6_10device_ptrIKfEEEESL_NS6_8equal_toIfEEEENSG_9not_fun_tINSD_8identityEEEEENSD_19counting_iterator_tIlEES8_S8_S8_S8_S8_S8_S8_S8_EEEEPS9_S9_NSD_9__find_if7functorIS9_EEEE10hipError_tPvRmT1_T2_T3_mT4_P12ihipStream_tbEUlT_E0_NS1_11comp_targetILNS1_3genE5ELNS1_11target_archE942ELNS1_3gpuE9ELNS1_3repE0EEENS1_30default_config_static_selectorELNS0_4arch9wavefront6targetE0EEEvS14_,comdat
	.protected	_ZN7rocprim17ROCPRIM_400000_NS6detail17trampoline_kernelINS0_14default_configENS1_22reduce_config_selectorIN6thrust23THRUST_200600_302600_NS5tupleIblNS6_9null_typeES8_S8_S8_S8_S8_S8_S8_EEEEZNS1_11reduce_implILb1ES3_NS6_12zip_iteratorINS7_INS6_11hip_rocprim26transform_input_iterator_tIbNSD_35transform_pair_of_input_iterators_tIbNS6_6detail15normal_iteratorINS6_10device_ptrIKfEEEESL_NS6_8equal_toIfEEEENSG_9not_fun_tINSD_8identityEEEEENSD_19counting_iterator_tIlEES8_S8_S8_S8_S8_S8_S8_S8_EEEEPS9_S9_NSD_9__find_if7functorIS9_EEEE10hipError_tPvRmT1_T2_T3_mT4_P12ihipStream_tbEUlT_E0_NS1_11comp_targetILNS1_3genE5ELNS1_11target_archE942ELNS1_3gpuE9ELNS1_3repE0EEENS1_30default_config_static_selectorELNS0_4arch9wavefront6targetE0EEEvS14_ ; -- Begin function _ZN7rocprim17ROCPRIM_400000_NS6detail17trampoline_kernelINS0_14default_configENS1_22reduce_config_selectorIN6thrust23THRUST_200600_302600_NS5tupleIblNS6_9null_typeES8_S8_S8_S8_S8_S8_S8_EEEEZNS1_11reduce_implILb1ES3_NS6_12zip_iteratorINS7_INS6_11hip_rocprim26transform_input_iterator_tIbNSD_35transform_pair_of_input_iterators_tIbNS6_6detail15normal_iteratorINS6_10device_ptrIKfEEEESL_NS6_8equal_toIfEEEENSG_9not_fun_tINSD_8identityEEEEENSD_19counting_iterator_tIlEES8_S8_S8_S8_S8_S8_S8_S8_EEEEPS9_S9_NSD_9__find_if7functorIS9_EEEE10hipError_tPvRmT1_T2_T3_mT4_P12ihipStream_tbEUlT_E0_NS1_11comp_targetILNS1_3genE5ELNS1_11target_archE942ELNS1_3gpuE9ELNS1_3repE0EEENS1_30default_config_static_selectorELNS0_4arch9wavefront6targetE0EEEvS14_
	.globl	_ZN7rocprim17ROCPRIM_400000_NS6detail17trampoline_kernelINS0_14default_configENS1_22reduce_config_selectorIN6thrust23THRUST_200600_302600_NS5tupleIblNS6_9null_typeES8_S8_S8_S8_S8_S8_S8_EEEEZNS1_11reduce_implILb1ES3_NS6_12zip_iteratorINS7_INS6_11hip_rocprim26transform_input_iterator_tIbNSD_35transform_pair_of_input_iterators_tIbNS6_6detail15normal_iteratorINS6_10device_ptrIKfEEEESL_NS6_8equal_toIfEEEENSG_9not_fun_tINSD_8identityEEEEENSD_19counting_iterator_tIlEES8_S8_S8_S8_S8_S8_S8_S8_EEEEPS9_S9_NSD_9__find_if7functorIS9_EEEE10hipError_tPvRmT1_T2_T3_mT4_P12ihipStream_tbEUlT_E0_NS1_11comp_targetILNS1_3genE5ELNS1_11target_archE942ELNS1_3gpuE9ELNS1_3repE0EEENS1_30default_config_static_selectorELNS0_4arch9wavefront6targetE0EEEvS14_
	.p2align	8
	.type	_ZN7rocprim17ROCPRIM_400000_NS6detail17trampoline_kernelINS0_14default_configENS1_22reduce_config_selectorIN6thrust23THRUST_200600_302600_NS5tupleIblNS6_9null_typeES8_S8_S8_S8_S8_S8_S8_EEEEZNS1_11reduce_implILb1ES3_NS6_12zip_iteratorINS7_INS6_11hip_rocprim26transform_input_iterator_tIbNSD_35transform_pair_of_input_iterators_tIbNS6_6detail15normal_iteratorINS6_10device_ptrIKfEEEESL_NS6_8equal_toIfEEEENSG_9not_fun_tINSD_8identityEEEEENSD_19counting_iterator_tIlEES8_S8_S8_S8_S8_S8_S8_S8_EEEEPS9_S9_NSD_9__find_if7functorIS9_EEEE10hipError_tPvRmT1_T2_T3_mT4_P12ihipStream_tbEUlT_E0_NS1_11comp_targetILNS1_3genE5ELNS1_11target_archE942ELNS1_3gpuE9ELNS1_3repE0EEENS1_30default_config_static_selectorELNS0_4arch9wavefront6targetE0EEEvS14_,@function
_ZN7rocprim17ROCPRIM_400000_NS6detail17trampoline_kernelINS0_14default_configENS1_22reduce_config_selectorIN6thrust23THRUST_200600_302600_NS5tupleIblNS6_9null_typeES8_S8_S8_S8_S8_S8_S8_EEEEZNS1_11reduce_implILb1ES3_NS6_12zip_iteratorINS7_INS6_11hip_rocprim26transform_input_iterator_tIbNSD_35transform_pair_of_input_iterators_tIbNS6_6detail15normal_iteratorINS6_10device_ptrIKfEEEESL_NS6_8equal_toIfEEEENSG_9not_fun_tINSD_8identityEEEEENSD_19counting_iterator_tIlEES8_S8_S8_S8_S8_S8_S8_S8_EEEEPS9_S9_NSD_9__find_if7functorIS9_EEEE10hipError_tPvRmT1_T2_T3_mT4_P12ihipStream_tbEUlT_E0_NS1_11comp_targetILNS1_3genE5ELNS1_11target_archE942ELNS1_3gpuE9ELNS1_3repE0EEENS1_30default_config_static_selectorELNS0_4arch9wavefront6targetE0EEEvS14_: ; @_ZN7rocprim17ROCPRIM_400000_NS6detail17trampoline_kernelINS0_14default_configENS1_22reduce_config_selectorIN6thrust23THRUST_200600_302600_NS5tupleIblNS6_9null_typeES8_S8_S8_S8_S8_S8_S8_EEEEZNS1_11reduce_implILb1ES3_NS6_12zip_iteratorINS7_INS6_11hip_rocprim26transform_input_iterator_tIbNSD_35transform_pair_of_input_iterators_tIbNS6_6detail15normal_iteratorINS6_10device_ptrIKfEEEESL_NS6_8equal_toIfEEEENSG_9not_fun_tINSD_8identityEEEEENSD_19counting_iterator_tIlEES8_S8_S8_S8_S8_S8_S8_S8_EEEEPS9_S9_NSD_9__find_if7functorIS9_EEEE10hipError_tPvRmT1_T2_T3_mT4_P12ihipStream_tbEUlT_E0_NS1_11comp_targetILNS1_3genE5ELNS1_11target_archE942ELNS1_3gpuE9ELNS1_3repE0EEENS1_30default_config_static_selectorELNS0_4arch9wavefront6targetE0EEEvS14_
; %bb.0:
	.section	.rodata,"a",@progbits
	.p2align	6, 0x0
	.amdhsa_kernel _ZN7rocprim17ROCPRIM_400000_NS6detail17trampoline_kernelINS0_14default_configENS1_22reduce_config_selectorIN6thrust23THRUST_200600_302600_NS5tupleIblNS6_9null_typeES8_S8_S8_S8_S8_S8_S8_EEEEZNS1_11reduce_implILb1ES3_NS6_12zip_iteratorINS7_INS6_11hip_rocprim26transform_input_iterator_tIbNSD_35transform_pair_of_input_iterators_tIbNS6_6detail15normal_iteratorINS6_10device_ptrIKfEEEESL_NS6_8equal_toIfEEEENSG_9not_fun_tINSD_8identityEEEEENSD_19counting_iterator_tIlEES8_S8_S8_S8_S8_S8_S8_S8_EEEEPS9_S9_NSD_9__find_if7functorIS9_EEEE10hipError_tPvRmT1_T2_T3_mT4_P12ihipStream_tbEUlT_E0_NS1_11comp_targetILNS1_3genE5ELNS1_11target_archE942ELNS1_3gpuE9ELNS1_3repE0EEENS1_30default_config_static_selectorELNS0_4arch9wavefront6targetE0EEEvS14_
		.amdhsa_group_segment_fixed_size 0
		.amdhsa_private_segment_fixed_size 0
		.amdhsa_kernarg_size 104
		.amdhsa_user_sgpr_count 2
		.amdhsa_user_sgpr_dispatch_ptr 0
		.amdhsa_user_sgpr_queue_ptr 0
		.amdhsa_user_sgpr_kernarg_segment_ptr 1
		.amdhsa_user_sgpr_dispatch_id 0
		.amdhsa_user_sgpr_kernarg_preload_length 0
		.amdhsa_user_sgpr_kernarg_preload_offset 0
		.amdhsa_user_sgpr_private_segment_size 0
		.amdhsa_wavefront_size32 1
		.amdhsa_uses_dynamic_stack 0
		.amdhsa_enable_private_segment 0
		.amdhsa_system_sgpr_workgroup_id_x 1
		.amdhsa_system_sgpr_workgroup_id_y 0
		.amdhsa_system_sgpr_workgroup_id_z 0
		.amdhsa_system_sgpr_workgroup_info 0
		.amdhsa_system_vgpr_workitem_id 0
		.amdhsa_next_free_vgpr 1
		.amdhsa_next_free_sgpr 1
		.amdhsa_named_barrier_count 0
		.amdhsa_reserve_vcc 0
		.amdhsa_float_round_mode_32 0
		.amdhsa_float_round_mode_16_64 0
		.amdhsa_float_denorm_mode_32 3
		.amdhsa_float_denorm_mode_16_64 3
		.amdhsa_fp16_overflow 0
		.amdhsa_memory_ordered 1
		.amdhsa_forward_progress 1
		.amdhsa_inst_pref_size 0
		.amdhsa_round_robin_scheduling 0
		.amdhsa_exception_fp_ieee_invalid_op 0
		.amdhsa_exception_fp_denorm_src 0
		.amdhsa_exception_fp_ieee_div_zero 0
		.amdhsa_exception_fp_ieee_overflow 0
		.amdhsa_exception_fp_ieee_underflow 0
		.amdhsa_exception_fp_ieee_inexact 0
		.amdhsa_exception_int_div_zero 0
	.end_amdhsa_kernel
	.section	.text._ZN7rocprim17ROCPRIM_400000_NS6detail17trampoline_kernelINS0_14default_configENS1_22reduce_config_selectorIN6thrust23THRUST_200600_302600_NS5tupleIblNS6_9null_typeES8_S8_S8_S8_S8_S8_S8_EEEEZNS1_11reduce_implILb1ES3_NS6_12zip_iteratorINS7_INS6_11hip_rocprim26transform_input_iterator_tIbNSD_35transform_pair_of_input_iterators_tIbNS6_6detail15normal_iteratorINS6_10device_ptrIKfEEEESL_NS6_8equal_toIfEEEENSG_9not_fun_tINSD_8identityEEEEENSD_19counting_iterator_tIlEES8_S8_S8_S8_S8_S8_S8_S8_EEEEPS9_S9_NSD_9__find_if7functorIS9_EEEE10hipError_tPvRmT1_T2_T3_mT4_P12ihipStream_tbEUlT_E0_NS1_11comp_targetILNS1_3genE5ELNS1_11target_archE942ELNS1_3gpuE9ELNS1_3repE0EEENS1_30default_config_static_selectorELNS0_4arch9wavefront6targetE0EEEvS14_,"axG",@progbits,_ZN7rocprim17ROCPRIM_400000_NS6detail17trampoline_kernelINS0_14default_configENS1_22reduce_config_selectorIN6thrust23THRUST_200600_302600_NS5tupleIblNS6_9null_typeES8_S8_S8_S8_S8_S8_S8_EEEEZNS1_11reduce_implILb1ES3_NS6_12zip_iteratorINS7_INS6_11hip_rocprim26transform_input_iterator_tIbNSD_35transform_pair_of_input_iterators_tIbNS6_6detail15normal_iteratorINS6_10device_ptrIKfEEEESL_NS6_8equal_toIfEEEENSG_9not_fun_tINSD_8identityEEEEENSD_19counting_iterator_tIlEES8_S8_S8_S8_S8_S8_S8_S8_EEEEPS9_S9_NSD_9__find_if7functorIS9_EEEE10hipError_tPvRmT1_T2_T3_mT4_P12ihipStream_tbEUlT_E0_NS1_11comp_targetILNS1_3genE5ELNS1_11target_archE942ELNS1_3gpuE9ELNS1_3repE0EEENS1_30default_config_static_selectorELNS0_4arch9wavefront6targetE0EEEvS14_,comdat
.Lfunc_end78:
	.size	_ZN7rocprim17ROCPRIM_400000_NS6detail17trampoline_kernelINS0_14default_configENS1_22reduce_config_selectorIN6thrust23THRUST_200600_302600_NS5tupleIblNS6_9null_typeES8_S8_S8_S8_S8_S8_S8_EEEEZNS1_11reduce_implILb1ES3_NS6_12zip_iteratorINS7_INS6_11hip_rocprim26transform_input_iterator_tIbNSD_35transform_pair_of_input_iterators_tIbNS6_6detail15normal_iteratorINS6_10device_ptrIKfEEEESL_NS6_8equal_toIfEEEENSG_9not_fun_tINSD_8identityEEEEENSD_19counting_iterator_tIlEES8_S8_S8_S8_S8_S8_S8_S8_EEEEPS9_S9_NSD_9__find_if7functorIS9_EEEE10hipError_tPvRmT1_T2_T3_mT4_P12ihipStream_tbEUlT_E0_NS1_11comp_targetILNS1_3genE5ELNS1_11target_archE942ELNS1_3gpuE9ELNS1_3repE0EEENS1_30default_config_static_selectorELNS0_4arch9wavefront6targetE0EEEvS14_, .Lfunc_end78-_ZN7rocprim17ROCPRIM_400000_NS6detail17trampoline_kernelINS0_14default_configENS1_22reduce_config_selectorIN6thrust23THRUST_200600_302600_NS5tupleIblNS6_9null_typeES8_S8_S8_S8_S8_S8_S8_EEEEZNS1_11reduce_implILb1ES3_NS6_12zip_iteratorINS7_INS6_11hip_rocprim26transform_input_iterator_tIbNSD_35transform_pair_of_input_iterators_tIbNS6_6detail15normal_iteratorINS6_10device_ptrIKfEEEESL_NS6_8equal_toIfEEEENSG_9not_fun_tINSD_8identityEEEEENSD_19counting_iterator_tIlEES8_S8_S8_S8_S8_S8_S8_S8_EEEEPS9_S9_NSD_9__find_if7functorIS9_EEEE10hipError_tPvRmT1_T2_T3_mT4_P12ihipStream_tbEUlT_E0_NS1_11comp_targetILNS1_3genE5ELNS1_11target_archE942ELNS1_3gpuE9ELNS1_3repE0EEENS1_30default_config_static_selectorELNS0_4arch9wavefront6targetE0EEEvS14_
                                        ; -- End function
	.set _ZN7rocprim17ROCPRIM_400000_NS6detail17trampoline_kernelINS0_14default_configENS1_22reduce_config_selectorIN6thrust23THRUST_200600_302600_NS5tupleIblNS6_9null_typeES8_S8_S8_S8_S8_S8_S8_EEEEZNS1_11reduce_implILb1ES3_NS6_12zip_iteratorINS7_INS6_11hip_rocprim26transform_input_iterator_tIbNSD_35transform_pair_of_input_iterators_tIbNS6_6detail15normal_iteratorINS6_10device_ptrIKfEEEESL_NS6_8equal_toIfEEEENSG_9not_fun_tINSD_8identityEEEEENSD_19counting_iterator_tIlEES8_S8_S8_S8_S8_S8_S8_S8_EEEEPS9_S9_NSD_9__find_if7functorIS9_EEEE10hipError_tPvRmT1_T2_T3_mT4_P12ihipStream_tbEUlT_E0_NS1_11comp_targetILNS1_3genE5ELNS1_11target_archE942ELNS1_3gpuE9ELNS1_3repE0EEENS1_30default_config_static_selectorELNS0_4arch9wavefront6targetE0EEEvS14_.num_vgpr, 0
	.set _ZN7rocprim17ROCPRIM_400000_NS6detail17trampoline_kernelINS0_14default_configENS1_22reduce_config_selectorIN6thrust23THRUST_200600_302600_NS5tupleIblNS6_9null_typeES8_S8_S8_S8_S8_S8_S8_EEEEZNS1_11reduce_implILb1ES3_NS6_12zip_iteratorINS7_INS6_11hip_rocprim26transform_input_iterator_tIbNSD_35transform_pair_of_input_iterators_tIbNS6_6detail15normal_iteratorINS6_10device_ptrIKfEEEESL_NS6_8equal_toIfEEEENSG_9not_fun_tINSD_8identityEEEEENSD_19counting_iterator_tIlEES8_S8_S8_S8_S8_S8_S8_S8_EEEEPS9_S9_NSD_9__find_if7functorIS9_EEEE10hipError_tPvRmT1_T2_T3_mT4_P12ihipStream_tbEUlT_E0_NS1_11comp_targetILNS1_3genE5ELNS1_11target_archE942ELNS1_3gpuE9ELNS1_3repE0EEENS1_30default_config_static_selectorELNS0_4arch9wavefront6targetE0EEEvS14_.num_agpr, 0
	.set _ZN7rocprim17ROCPRIM_400000_NS6detail17trampoline_kernelINS0_14default_configENS1_22reduce_config_selectorIN6thrust23THRUST_200600_302600_NS5tupleIblNS6_9null_typeES8_S8_S8_S8_S8_S8_S8_EEEEZNS1_11reduce_implILb1ES3_NS6_12zip_iteratorINS7_INS6_11hip_rocprim26transform_input_iterator_tIbNSD_35transform_pair_of_input_iterators_tIbNS6_6detail15normal_iteratorINS6_10device_ptrIKfEEEESL_NS6_8equal_toIfEEEENSG_9not_fun_tINSD_8identityEEEEENSD_19counting_iterator_tIlEES8_S8_S8_S8_S8_S8_S8_S8_EEEEPS9_S9_NSD_9__find_if7functorIS9_EEEE10hipError_tPvRmT1_T2_T3_mT4_P12ihipStream_tbEUlT_E0_NS1_11comp_targetILNS1_3genE5ELNS1_11target_archE942ELNS1_3gpuE9ELNS1_3repE0EEENS1_30default_config_static_selectorELNS0_4arch9wavefront6targetE0EEEvS14_.numbered_sgpr, 0
	.set _ZN7rocprim17ROCPRIM_400000_NS6detail17trampoline_kernelINS0_14default_configENS1_22reduce_config_selectorIN6thrust23THRUST_200600_302600_NS5tupleIblNS6_9null_typeES8_S8_S8_S8_S8_S8_S8_EEEEZNS1_11reduce_implILb1ES3_NS6_12zip_iteratorINS7_INS6_11hip_rocprim26transform_input_iterator_tIbNSD_35transform_pair_of_input_iterators_tIbNS6_6detail15normal_iteratorINS6_10device_ptrIKfEEEESL_NS6_8equal_toIfEEEENSG_9not_fun_tINSD_8identityEEEEENSD_19counting_iterator_tIlEES8_S8_S8_S8_S8_S8_S8_S8_EEEEPS9_S9_NSD_9__find_if7functorIS9_EEEE10hipError_tPvRmT1_T2_T3_mT4_P12ihipStream_tbEUlT_E0_NS1_11comp_targetILNS1_3genE5ELNS1_11target_archE942ELNS1_3gpuE9ELNS1_3repE0EEENS1_30default_config_static_selectorELNS0_4arch9wavefront6targetE0EEEvS14_.num_named_barrier, 0
	.set _ZN7rocprim17ROCPRIM_400000_NS6detail17trampoline_kernelINS0_14default_configENS1_22reduce_config_selectorIN6thrust23THRUST_200600_302600_NS5tupleIblNS6_9null_typeES8_S8_S8_S8_S8_S8_S8_EEEEZNS1_11reduce_implILb1ES3_NS6_12zip_iteratorINS7_INS6_11hip_rocprim26transform_input_iterator_tIbNSD_35transform_pair_of_input_iterators_tIbNS6_6detail15normal_iteratorINS6_10device_ptrIKfEEEESL_NS6_8equal_toIfEEEENSG_9not_fun_tINSD_8identityEEEEENSD_19counting_iterator_tIlEES8_S8_S8_S8_S8_S8_S8_S8_EEEEPS9_S9_NSD_9__find_if7functorIS9_EEEE10hipError_tPvRmT1_T2_T3_mT4_P12ihipStream_tbEUlT_E0_NS1_11comp_targetILNS1_3genE5ELNS1_11target_archE942ELNS1_3gpuE9ELNS1_3repE0EEENS1_30default_config_static_selectorELNS0_4arch9wavefront6targetE0EEEvS14_.private_seg_size, 0
	.set _ZN7rocprim17ROCPRIM_400000_NS6detail17trampoline_kernelINS0_14default_configENS1_22reduce_config_selectorIN6thrust23THRUST_200600_302600_NS5tupleIblNS6_9null_typeES8_S8_S8_S8_S8_S8_S8_EEEEZNS1_11reduce_implILb1ES3_NS6_12zip_iteratorINS7_INS6_11hip_rocprim26transform_input_iterator_tIbNSD_35transform_pair_of_input_iterators_tIbNS6_6detail15normal_iteratorINS6_10device_ptrIKfEEEESL_NS6_8equal_toIfEEEENSG_9not_fun_tINSD_8identityEEEEENSD_19counting_iterator_tIlEES8_S8_S8_S8_S8_S8_S8_S8_EEEEPS9_S9_NSD_9__find_if7functorIS9_EEEE10hipError_tPvRmT1_T2_T3_mT4_P12ihipStream_tbEUlT_E0_NS1_11comp_targetILNS1_3genE5ELNS1_11target_archE942ELNS1_3gpuE9ELNS1_3repE0EEENS1_30default_config_static_selectorELNS0_4arch9wavefront6targetE0EEEvS14_.uses_vcc, 0
	.set _ZN7rocprim17ROCPRIM_400000_NS6detail17trampoline_kernelINS0_14default_configENS1_22reduce_config_selectorIN6thrust23THRUST_200600_302600_NS5tupleIblNS6_9null_typeES8_S8_S8_S8_S8_S8_S8_EEEEZNS1_11reduce_implILb1ES3_NS6_12zip_iteratorINS7_INS6_11hip_rocprim26transform_input_iterator_tIbNSD_35transform_pair_of_input_iterators_tIbNS6_6detail15normal_iteratorINS6_10device_ptrIKfEEEESL_NS6_8equal_toIfEEEENSG_9not_fun_tINSD_8identityEEEEENSD_19counting_iterator_tIlEES8_S8_S8_S8_S8_S8_S8_S8_EEEEPS9_S9_NSD_9__find_if7functorIS9_EEEE10hipError_tPvRmT1_T2_T3_mT4_P12ihipStream_tbEUlT_E0_NS1_11comp_targetILNS1_3genE5ELNS1_11target_archE942ELNS1_3gpuE9ELNS1_3repE0EEENS1_30default_config_static_selectorELNS0_4arch9wavefront6targetE0EEEvS14_.uses_flat_scratch, 0
	.set _ZN7rocprim17ROCPRIM_400000_NS6detail17trampoline_kernelINS0_14default_configENS1_22reduce_config_selectorIN6thrust23THRUST_200600_302600_NS5tupleIblNS6_9null_typeES8_S8_S8_S8_S8_S8_S8_EEEEZNS1_11reduce_implILb1ES3_NS6_12zip_iteratorINS7_INS6_11hip_rocprim26transform_input_iterator_tIbNSD_35transform_pair_of_input_iterators_tIbNS6_6detail15normal_iteratorINS6_10device_ptrIKfEEEESL_NS6_8equal_toIfEEEENSG_9not_fun_tINSD_8identityEEEEENSD_19counting_iterator_tIlEES8_S8_S8_S8_S8_S8_S8_S8_EEEEPS9_S9_NSD_9__find_if7functorIS9_EEEE10hipError_tPvRmT1_T2_T3_mT4_P12ihipStream_tbEUlT_E0_NS1_11comp_targetILNS1_3genE5ELNS1_11target_archE942ELNS1_3gpuE9ELNS1_3repE0EEENS1_30default_config_static_selectorELNS0_4arch9wavefront6targetE0EEEvS14_.has_dyn_sized_stack, 0
	.set _ZN7rocprim17ROCPRIM_400000_NS6detail17trampoline_kernelINS0_14default_configENS1_22reduce_config_selectorIN6thrust23THRUST_200600_302600_NS5tupleIblNS6_9null_typeES8_S8_S8_S8_S8_S8_S8_EEEEZNS1_11reduce_implILb1ES3_NS6_12zip_iteratorINS7_INS6_11hip_rocprim26transform_input_iterator_tIbNSD_35transform_pair_of_input_iterators_tIbNS6_6detail15normal_iteratorINS6_10device_ptrIKfEEEESL_NS6_8equal_toIfEEEENSG_9not_fun_tINSD_8identityEEEEENSD_19counting_iterator_tIlEES8_S8_S8_S8_S8_S8_S8_S8_EEEEPS9_S9_NSD_9__find_if7functorIS9_EEEE10hipError_tPvRmT1_T2_T3_mT4_P12ihipStream_tbEUlT_E0_NS1_11comp_targetILNS1_3genE5ELNS1_11target_archE942ELNS1_3gpuE9ELNS1_3repE0EEENS1_30default_config_static_selectorELNS0_4arch9wavefront6targetE0EEEvS14_.has_recursion, 0
	.set _ZN7rocprim17ROCPRIM_400000_NS6detail17trampoline_kernelINS0_14default_configENS1_22reduce_config_selectorIN6thrust23THRUST_200600_302600_NS5tupleIblNS6_9null_typeES8_S8_S8_S8_S8_S8_S8_EEEEZNS1_11reduce_implILb1ES3_NS6_12zip_iteratorINS7_INS6_11hip_rocprim26transform_input_iterator_tIbNSD_35transform_pair_of_input_iterators_tIbNS6_6detail15normal_iteratorINS6_10device_ptrIKfEEEESL_NS6_8equal_toIfEEEENSG_9not_fun_tINSD_8identityEEEEENSD_19counting_iterator_tIlEES8_S8_S8_S8_S8_S8_S8_S8_EEEEPS9_S9_NSD_9__find_if7functorIS9_EEEE10hipError_tPvRmT1_T2_T3_mT4_P12ihipStream_tbEUlT_E0_NS1_11comp_targetILNS1_3genE5ELNS1_11target_archE942ELNS1_3gpuE9ELNS1_3repE0EEENS1_30default_config_static_selectorELNS0_4arch9wavefront6targetE0EEEvS14_.has_indirect_call, 0
	.section	.AMDGPU.csdata,"",@progbits
; Kernel info:
; codeLenInByte = 0
; TotalNumSgprs: 0
; NumVgprs: 0
; ScratchSize: 0
; MemoryBound: 0
; FloatMode: 240
; IeeeMode: 1
; LDSByteSize: 0 bytes/workgroup (compile time only)
; SGPRBlocks: 0
; VGPRBlocks: 0
; NumSGPRsForWavesPerEU: 1
; NumVGPRsForWavesPerEU: 1
; NamedBarCnt: 0
; Occupancy: 16
; WaveLimiterHint : 0
; COMPUTE_PGM_RSRC2:SCRATCH_EN: 0
; COMPUTE_PGM_RSRC2:USER_SGPR: 2
; COMPUTE_PGM_RSRC2:TRAP_HANDLER: 0
; COMPUTE_PGM_RSRC2:TGID_X_EN: 1
; COMPUTE_PGM_RSRC2:TGID_Y_EN: 0
; COMPUTE_PGM_RSRC2:TGID_Z_EN: 0
; COMPUTE_PGM_RSRC2:TIDIG_COMP_CNT: 0
	.section	.text._ZN7rocprim17ROCPRIM_400000_NS6detail17trampoline_kernelINS0_14default_configENS1_22reduce_config_selectorIN6thrust23THRUST_200600_302600_NS5tupleIblNS6_9null_typeES8_S8_S8_S8_S8_S8_S8_EEEEZNS1_11reduce_implILb1ES3_NS6_12zip_iteratorINS7_INS6_11hip_rocprim26transform_input_iterator_tIbNSD_35transform_pair_of_input_iterators_tIbNS6_6detail15normal_iteratorINS6_10device_ptrIKfEEEESL_NS6_8equal_toIfEEEENSG_9not_fun_tINSD_8identityEEEEENSD_19counting_iterator_tIlEES8_S8_S8_S8_S8_S8_S8_S8_EEEEPS9_S9_NSD_9__find_if7functorIS9_EEEE10hipError_tPvRmT1_T2_T3_mT4_P12ihipStream_tbEUlT_E0_NS1_11comp_targetILNS1_3genE4ELNS1_11target_archE910ELNS1_3gpuE8ELNS1_3repE0EEENS1_30default_config_static_selectorELNS0_4arch9wavefront6targetE0EEEvS14_,"axG",@progbits,_ZN7rocprim17ROCPRIM_400000_NS6detail17trampoline_kernelINS0_14default_configENS1_22reduce_config_selectorIN6thrust23THRUST_200600_302600_NS5tupleIblNS6_9null_typeES8_S8_S8_S8_S8_S8_S8_EEEEZNS1_11reduce_implILb1ES3_NS6_12zip_iteratorINS7_INS6_11hip_rocprim26transform_input_iterator_tIbNSD_35transform_pair_of_input_iterators_tIbNS6_6detail15normal_iteratorINS6_10device_ptrIKfEEEESL_NS6_8equal_toIfEEEENSG_9not_fun_tINSD_8identityEEEEENSD_19counting_iterator_tIlEES8_S8_S8_S8_S8_S8_S8_S8_EEEEPS9_S9_NSD_9__find_if7functorIS9_EEEE10hipError_tPvRmT1_T2_T3_mT4_P12ihipStream_tbEUlT_E0_NS1_11comp_targetILNS1_3genE4ELNS1_11target_archE910ELNS1_3gpuE8ELNS1_3repE0EEENS1_30default_config_static_selectorELNS0_4arch9wavefront6targetE0EEEvS14_,comdat
	.protected	_ZN7rocprim17ROCPRIM_400000_NS6detail17trampoline_kernelINS0_14default_configENS1_22reduce_config_selectorIN6thrust23THRUST_200600_302600_NS5tupleIblNS6_9null_typeES8_S8_S8_S8_S8_S8_S8_EEEEZNS1_11reduce_implILb1ES3_NS6_12zip_iteratorINS7_INS6_11hip_rocprim26transform_input_iterator_tIbNSD_35transform_pair_of_input_iterators_tIbNS6_6detail15normal_iteratorINS6_10device_ptrIKfEEEESL_NS6_8equal_toIfEEEENSG_9not_fun_tINSD_8identityEEEEENSD_19counting_iterator_tIlEES8_S8_S8_S8_S8_S8_S8_S8_EEEEPS9_S9_NSD_9__find_if7functorIS9_EEEE10hipError_tPvRmT1_T2_T3_mT4_P12ihipStream_tbEUlT_E0_NS1_11comp_targetILNS1_3genE4ELNS1_11target_archE910ELNS1_3gpuE8ELNS1_3repE0EEENS1_30default_config_static_selectorELNS0_4arch9wavefront6targetE0EEEvS14_ ; -- Begin function _ZN7rocprim17ROCPRIM_400000_NS6detail17trampoline_kernelINS0_14default_configENS1_22reduce_config_selectorIN6thrust23THRUST_200600_302600_NS5tupleIblNS6_9null_typeES8_S8_S8_S8_S8_S8_S8_EEEEZNS1_11reduce_implILb1ES3_NS6_12zip_iteratorINS7_INS6_11hip_rocprim26transform_input_iterator_tIbNSD_35transform_pair_of_input_iterators_tIbNS6_6detail15normal_iteratorINS6_10device_ptrIKfEEEESL_NS6_8equal_toIfEEEENSG_9not_fun_tINSD_8identityEEEEENSD_19counting_iterator_tIlEES8_S8_S8_S8_S8_S8_S8_S8_EEEEPS9_S9_NSD_9__find_if7functorIS9_EEEE10hipError_tPvRmT1_T2_T3_mT4_P12ihipStream_tbEUlT_E0_NS1_11comp_targetILNS1_3genE4ELNS1_11target_archE910ELNS1_3gpuE8ELNS1_3repE0EEENS1_30default_config_static_selectorELNS0_4arch9wavefront6targetE0EEEvS14_
	.globl	_ZN7rocprim17ROCPRIM_400000_NS6detail17trampoline_kernelINS0_14default_configENS1_22reduce_config_selectorIN6thrust23THRUST_200600_302600_NS5tupleIblNS6_9null_typeES8_S8_S8_S8_S8_S8_S8_EEEEZNS1_11reduce_implILb1ES3_NS6_12zip_iteratorINS7_INS6_11hip_rocprim26transform_input_iterator_tIbNSD_35transform_pair_of_input_iterators_tIbNS6_6detail15normal_iteratorINS6_10device_ptrIKfEEEESL_NS6_8equal_toIfEEEENSG_9not_fun_tINSD_8identityEEEEENSD_19counting_iterator_tIlEES8_S8_S8_S8_S8_S8_S8_S8_EEEEPS9_S9_NSD_9__find_if7functorIS9_EEEE10hipError_tPvRmT1_T2_T3_mT4_P12ihipStream_tbEUlT_E0_NS1_11comp_targetILNS1_3genE4ELNS1_11target_archE910ELNS1_3gpuE8ELNS1_3repE0EEENS1_30default_config_static_selectorELNS0_4arch9wavefront6targetE0EEEvS14_
	.p2align	8
	.type	_ZN7rocprim17ROCPRIM_400000_NS6detail17trampoline_kernelINS0_14default_configENS1_22reduce_config_selectorIN6thrust23THRUST_200600_302600_NS5tupleIblNS6_9null_typeES8_S8_S8_S8_S8_S8_S8_EEEEZNS1_11reduce_implILb1ES3_NS6_12zip_iteratorINS7_INS6_11hip_rocprim26transform_input_iterator_tIbNSD_35transform_pair_of_input_iterators_tIbNS6_6detail15normal_iteratorINS6_10device_ptrIKfEEEESL_NS6_8equal_toIfEEEENSG_9not_fun_tINSD_8identityEEEEENSD_19counting_iterator_tIlEES8_S8_S8_S8_S8_S8_S8_S8_EEEEPS9_S9_NSD_9__find_if7functorIS9_EEEE10hipError_tPvRmT1_T2_T3_mT4_P12ihipStream_tbEUlT_E0_NS1_11comp_targetILNS1_3genE4ELNS1_11target_archE910ELNS1_3gpuE8ELNS1_3repE0EEENS1_30default_config_static_selectorELNS0_4arch9wavefront6targetE0EEEvS14_,@function
_ZN7rocprim17ROCPRIM_400000_NS6detail17trampoline_kernelINS0_14default_configENS1_22reduce_config_selectorIN6thrust23THRUST_200600_302600_NS5tupleIblNS6_9null_typeES8_S8_S8_S8_S8_S8_S8_EEEEZNS1_11reduce_implILb1ES3_NS6_12zip_iteratorINS7_INS6_11hip_rocprim26transform_input_iterator_tIbNSD_35transform_pair_of_input_iterators_tIbNS6_6detail15normal_iteratorINS6_10device_ptrIKfEEEESL_NS6_8equal_toIfEEEENSG_9not_fun_tINSD_8identityEEEEENSD_19counting_iterator_tIlEES8_S8_S8_S8_S8_S8_S8_S8_EEEEPS9_S9_NSD_9__find_if7functorIS9_EEEE10hipError_tPvRmT1_T2_T3_mT4_P12ihipStream_tbEUlT_E0_NS1_11comp_targetILNS1_3genE4ELNS1_11target_archE910ELNS1_3gpuE8ELNS1_3repE0EEENS1_30default_config_static_selectorELNS0_4arch9wavefront6targetE0EEEvS14_: ; @_ZN7rocprim17ROCPRIM_400000_NS6detail17trampoline_kernelINS0_14default_configENS1_22reduce_config_selectorIN6thrust23THRUST_200600_302600_NS5tupleIblNS6_9null_typeES8_S8_S8_S8_S8_S8_S8_EEEEZNS1_11reduce_implILb1ES3_NS6_12zip_iteratorINS7_INS6_11hip_rocprim26transform_input_iterator_tIbNSD_35transform_pair_of_input_iterators_tIbNS6_6detail15normal_iteratorINS6_10device_ptrIKfEEEESL_NS6_8equal_toIfEEEENSG_9not_fun_tINSD_8identityEEEEENSD_19counting_iterator_tIlEES8_S8_S8_S8_S8_S8_S8_S8_EEEEPS9_S9_NSD_9__find_if7functorIS9_EEEE10hipError_tPvRmT1_T2_T3_mT4_P12ihipStream_tbEUlT_E0_NS1_11comp_targetILNS1_3genE4ELNS1_11target_archE910ELNS1_3gpuE8ELNS1_3repE0EEENS1_30default_config_static_selectorELNS0_4arch9wavefront6targetE0EEEvS14_
; %bb.0:
	.section	.rodata,"a",@progbits
	.p2align	6, 0x0
	.amdhsa_kernel _ZN7rocprim17ROCPRIM_400000_NS6detail17trampoline_kernelINS0_14default_configENS1_22reduce_config_selectorIN6thrust23THRUST_200600_302600_NS5tupleIblNS6_9null_typeES8_S8_S8_S8_S8_S8_S8_EEEEZNS1_11reduce_implILb1ES3_NS6_12zip_iteratorINS7_INS6_11hip_rocprim26transform_input_iterator_tIbNSD_35transform_pair_of_input_iterators_tIbNS6_6detail15normal_iteratorINS6_10device_ptrIKfEEEESL_NS6_8equal_toIfEEEENSG_9not_fun_tINSD_8identityEEEEENSD_19counting_iterator_tIlEES8_S8_S8_S8_S8_S8_S8_S8_EEEEPS9_S9_NSD_9__find_if7functorIS9_EEEE10hipError_tPvRmT1_T2_T3_mT4_P12ihipStream_tbEUlT_E0_NS1_11comp_targetILNS1_3genE4ELNS1_11target_archE910ELNS1_3gpuE8ELNS1_3repE0EEENS1_30default_config_static_selectorELNS0_4arch9wavefront6targetE0EEEvS14_
		.amdhsa_group_segment_fixed_size 0
		.amdhsa_private_segment_fixed_size 0
		.amdhsa_kernarg_size 104
		.amdhsa_user_sgpr_count 2
		.amdhsa_user_sgpr_dispatch_ptr 0
		.amdhsa_user_sgpr_queue_ptr 0
		.amdhsa_user_sgpr_kernarg_segment_ptr 1
		.amdhsa_user_sgpr_dispatch_id 0
		.amdhsa_user_sgpr_kernarg_preload_length 0
		.amdhsa_user_sgpr_kernarg_preload_offset 0
		.amdhsa_user_sgpr_private_segment_size 0
		.amdhsa_wavefront_size32 1
		.amdhsa_uses_dynamic_stack 0
		.amdhsa_enable_private_segment 0
		.amdhsa_system_sgpr_workgroup_id_x 1
		.amdhsa_system_sgpr_workgroup_id_y 0
		.amdhsa_system_sgpr_workgroup_id_z 0
		.amdhsa_system_sgpr_workgroup_info 0
		.amdhsa_system_vgpr_workitem_id 0
		.amdhsa_next_free_vgpr 1
		.amdhsa_next_free_sgpr 1
		.amdhsa_named_barrier_count 0
		.amdhsa_reserve_vcc 0
		.amdhsa_float_round_mode_32 0
		.amdhsa_float_round_mode_16_64 0
		.amdhsa_float_denorm_mode_32 3
		.amdhsa_float_denorm_mode_16_64 3
		.amdhsa_fp16_overflow 0
		.amdhsa_memory_ordered 1
		.amdhsa_forward_progress 1
		.amdhsa_inst_pref_size 0
		.amdhsa_round_robin_scheduling 0
		.amdhsa_exception_fp_ieee_invalid_op 0
		.amdhsa_exception_fp_denorm_src 0
		.amdhsa_exception_fp_ieee_div_zero 0
		.amdhsa_exception_fp_ieee_overflow 0
		.amdhsa_exception_fp_ieee_underflow 0
		.amdhsa_exception_fp_ieee_inexact 0
		.amdhsa_exception_int_div_zero 0
	.end_amdhsa_kernel
	.section	.text._ZN7rocprim17ROCPRIM_400000_NS6detail17trampoline_kernelINS0_14default_configENS1_22reduce_config_selectorIN6thrust23THRUST_200600_302600_NS5tupleIblNS6_9null_typeES8_S8_S8_S8_S8_S8_S8_EEEEZNS1_11reduce_implILb1ES3_NS6_12zip_iteratorINS7_INS6_11hip_rocprim26transform_input_iterator_tIbNSD_35transform_pair_of_input_iterators_tIbNS6_6detail15normal_iteratorINS6_10device_ptrIKfEEEESL_NS6_8equal_toIfEEEENSG_9not_fun_tINSD_8identityEEEEENSD_19counting_iterator_tIlEES8_S8_S8_S8_S8_S8_S8_S8_EEEEPS9_S9_NSD_9__find_if7functorIS9_EEEE10hipError_tPvRmT1_T2_T3_mT4_P12ihipStream_tbEUlT_E0_NS1_11comp_targetILNS1_3genE4ELNS1_11target_archE910ELNS1_3gpuE8ELNS1_3repE0EEENS1_30default_config_static_selectorELNS0_4arch9wavefront6targetE0EEEvS14_,"axG",@progbits,_ZN7rocprim17ROCPRIM_400000_NS6detail17trampoline_kernelINS0_14default_configENS1_22reduce_config_selectorIN6thrust23THRUST_200600_302600_NS5tupleIblNS6_9null_typeES8_S8_S8_S8_S8_S8_S8_EEEEZNS1_11reduce_implILb1ES3_NS6_12zip_iteratorINS7_INS6_11hip_rocprim26transform_input_iterator_tIbNSD_35transform_pair_of_input_iterators_tIbNS6_6detail15normal_iteratorINS6_10device_ptrIKfEEEESL_NS6_8equal_toIfEEEENSG_9not_fun_tINSD_8identityEEEEENSD_19counting_iterator_tIlEES8_S8_S8_S8_S8_S8_S8_S8_EEEEPS9_S9_NSD_9__find_if7functorIS9_EEEE10hipError_tPvRmT1_T2_T3_mT4_P12ihipStream_tbEUlT_E0_NS1_11comp_targetILNS1_3genE4ELNS1_11target_archE910ELNS1_3gpuE8ELNS1_3repE0EEENS1_30default_config_static_selectorELNS0_4arch9wavefront6targetE0EEEvS14_,comdat
.Lfunc_end79:
	.size	_ZN7rocprim17ROCPRIM_400000_NS6detail17trampoline_kernelINS0_14default_configENS1_22reduce_config_selectorIN6thrust23THRUST_200600_302600_NS5tupleIblNS6_9null_typeES8_S8_S8_S8_S8_S8_S8_EEEEZNS1_11reduce_implILb1ES3_NS6_12zip_iteratorINS7_INS6_11hip_rocprim26transform_input_iterator_tIbNSD_35transform_pair_of_input_iterators_tIbNS6_6detail15normal_iteratorINS6_10device_ptrIKfEEEESL_NS6_8equal_toIfEEEENSG_9not_fun_tINSD_8identityEEEEENSD_19counting_iterator_tIlEES8_S8_S8_S8_S8_S8_S8_S8_EEEEPS9_S9_NSD_9__find_if7functorIS9_EEEE10hipError_tPvRmT1_T2_T3_mT4_P12ihipStream_tbEUlT_E0_NS1_11comp_targetILNS1_3genE4ELNS1_11target_archE910ELNS1_3gpuE8ELNS1_3repE0EEENS1_30default_config_static_selectorELNS0_4arch9wavefront6targetE0EEEvS14_, .Lfunc_end79-_ZN7rocprim17ROCPRIM_400000_NS6detail17trampoline_kernelINS0_14default_configENS1_22reduce_config_selectorIN6thrust23THRUST_200600_302600_NS5tupleIblNS6_9null_typeES8_S8_S8_S8_S8_S8_S8_EEEEZNS1_11reduce_implILb1ES3_NS6_12zip_iteratorINS7_INS6_11hip_rocprim26transform_input_iterator_tIbNSD_35transform_pair_of_input_iterators_tIbNS6_6detail15normal_iteratorINS6_10device_ptrIKfEEEESL_NS6_8equal_toIfEEEENSG_9not_fun_tINSD_8identityEEEEENSD_19counting_iterator_tIlEES8_S8_S8_S8_S8_S8_S8_S8_EEEEPS9_S9_NSD_9__find_if7functorIS9_EEEE10hipError_tPvRmT1_T2_T3_mT4_P12ihipStream_tbEUlT_E0_NS1_11comp_targetILNS1_3genE4ELNS1_11target_archE910ELNS1_3gpuE8ELNS1_3repE0EEENS1_30default_config_static_selectorELNS0_4arch9wavefront6targetE0EEEvS14_
                                        ; -- End function
	.set _ZN7rocprim17ROCPRIM_400000_NS6detail17trampoline_kernelINS0_14default_configENS1_22reduce_config_selectorIN6thrust23THRUST_200600_302600_NS5tupleIblNS6_9null_typeES8_S8_S8_S8_S8_S8_S8_EEEEZNS1_11reduce_implILb1ES3_NS6_12zip_iteratorINS7_INS6_11hip_rocprim26transform_input_iterator_tIbNSD_35transform_pair_of_input_iterators_tIbNS6_6detail15normal_iteratorINS6_10device_ptrIKfEEEESL_NS6_8equal_toIfEEEENSG_9not_fun_tINSD_8identityEEEEENSD_19counting_iterator_tIlEES8_S8_S8_S8_S8_S8_S8_S8_EEEEPS9_S9_NSD_9__find_if7functorIS9_EEEE10hipError_tPvRmT1_T2_T3_mT4_P12ihipStream_tbEUlT_E0_NS1_11comp_targetILNS1_3genE4ELNS1_11target_archE910ELNS1_3gpuE8ELNS1_3repE0EEENS1_30default_config_static_selectorELNS0_4arch9wavefront6targetE0EEEvS14_.num_vgpr, 0
	.set _ZN7rocprim17ROCPRIM_400000_NS6detail17trampoline_kernelINS0_14default_configENS1_22reduce_config_selectorIN6thrust23THRUST_200600_302600_NS5tupleIblNS6_9null_typeES8_S8_S8_S8_S8_S8_S8_EEEEZNS1_11reduce_implILb1ES3_NS6_12zip_iteratorINS7_INS6_11hip_rocprim26transform_input_iterator_tIbNSD_35transform_pair_of_input_iterators_tIbNS6_6detail15normal_iteratorINS6_10device_ptrIKfEEEESL_NS6_8equal_toIfEEEENSG_9not_fun_tINSD_8identityEEEEENSD_19counting_iterator_tIlEES8_S8_S8_S8_S8_S8_S8_S8_EEEEPS9_S9_NSD_9__find_if7functorIS9_EEEE10hipError_tPvRmT1_T2_T3_mT4_P12ihipStream_tbEUlT_E0_NS1_11comp_targetILNS1_3genE4ELNS1_11target_archE910ELNS1_3gpuE8ELNS1_3repE0EEENS1_30default_config_static_selectorELNS0_4arch9wavefront6targetE0EEEvS14_.num_agpr, 0
	.set _ZN7rocprim17ROCPRIM_400000_NS6detail17trampoline_kernelINS0_14default_configENS1_22reduce_config_selectorIN6thrust23THRUST_200600_302600_NS5tupleIblNS6_9null_typeES8_S8_S8_S8_S8_S8_S8_EEEEZNS1_11reduce_implILb1ES3_NS6_12zip_iteratorINS7_INS6_11hip_rocprim26transform_input_iterator_tIbNSD_35transform_pair_of_input_iterators_tIbNS6_6detail15normal_iteratorINS6_10device_ptrIKfEEEESL_NS6_8equal_toIfEEEENSG_9not_fun_tINSD_8identityEEEEENSD_19counting_iterator_tIlEES8_S8_S8_S8_S8_S8_S8_S8_EEEEPS9_S9_NSD_9__find_if7functorIS9_EEEE10hipError_tPvRmT1_T2_T3_mT4_P12ihipStream_tbEUlT_E0_NS1_11comp_targetILNS1_3genE4ELNS1_11target_archE910ELNS1_3gpuE8ELNS1_3repE0EEENS1_30default_config_static_selectorELNS0_4arch9wavefront6targetE0EEEvS14_.numbered_sgpr, 0
	.set _ZN7rocprim17ROCPRIM_400000_NS6detail17trampoline_kernelINS0_14default_configENS1_22reduce_config_selectorIN6thrust23THRUST_200600_302600_NS5tupleIblNS6_9null_typeES8_S8_S8_S8_S8_S8_S8_EEEEZNS1_11reduce_implILb1ES3_NS6_12zip_iteratorINS7_INS6_11hip_rocprim26transform_input_iterator_tIbNSD_35transform_pair_of_input_iterators_tIbNS6_6detail15normal_iteratorINS6_10device_ptrIKfEEEESL_NS6_8equal_toIfEEEENSG_9not_fun_tINSD_8identityEEEEENSD_19counting_iterator_tIlEES8_S8_S8_S8_S8_S8_S8_S8_EEEEPS9_S9_NSD_9__find_if7functorIS9_EEEE10hipError_tPvRmT1_T2_T3_mT4_P12ihipStream_tbEUlT_E0_NS1_11comp_targetILNS1_3genE4ELNS1_11target_archE910ELNS1_3gpuE8ELNS1_3repE0EEENS1_30default_config_static_selectorELNS0_4arch9wavefront6targetE0EEEvS14_.num_named_barrier, 0
	.set _ZN7rocprim17ROCPRIM_400000_NS6detail17trampoline_kernelINS0_14default_configENS1_22reduce_config_selectorIN6thrust23THRUST_200600_302600_NS5tupleIblNS6_9null_typeES8_S8_S8_S8_S8_S8_S8_EEEEZNS1_11reduce_implILb1ES3_NS6_12zip_iteratorINS7_INS6_11hip_rocprim26transform_input_iterator_tIbNSD_35transform_pair_of_input_iterators_tIbNS6_6detail15normal_iteratorINS6_10device_ptrIKfEEEESL_NS6_8equal_toIfEEEENSG_9not_fun_tINSD_8identityEEEEENSD_19counting_iterator_tIlEES8_S8_S8_S8_S8_S8_S8_S8_EEEEPS9_S9_NSD_9__find_if7functorIS9_EEEE10hipError_tPvRmT1_T2_T3_mT4_P12ihipStream_tbEUlT_E0_NS1_11comp_targetILNS1_3genE4ELNS1_11target_archE910ELNS1_3gpuE8ELNS1_3repE0EEENS1_30default_config_static_selectorELNS0_4arch9wavefront6targetE0EEEvS14_.private_seg_size, 0
	.set _ZN7rocprim17ROCPRIM_400000_NS6detail17trampoline_kernelINS0_14default_configENS1_22reduce_config_selectorIN6thrust23THRUST_200600_302600_NS5tupleIblNS6_9null_typeES8_S8_S8_S8_S8_S8_S8_EEEEZNS1_11reduce_implILb1ES3_NS6_12zip_iteratorINS7_INS6_11hip_rocprim26transform_input_iterator_tIbNSD_35transform_pair_of_input_iterators_tIbNS6_6detail15normal_iteratorINS6_10device_ptrIKfEEEESL_NS6_8equal_toIfEEEENSG_9not_fun_tINSD_8identityEEEEENSD_19counting_iterator_tIlEES8_S8_S8_S8_S8_S8_S8_S8_EEEEPS9_S9_NSD_9__find_if7functorIS9_EEEE10hipError_tPvRmT1_T2_T3_mT4_P12ihipStream_tbEUlT_E0_NS1_11comp_targetILNS1_3genE4ELNS1_11target_archE910ELNS1_3gpuE8ELNS1_3repE0EEENS1_30default_config_static_selectorELNS0_4arch9wavefront6targetE0EEEvS14_.uses_vcc, 0
	.set _ZN7rocprim17ROCPRIM_400000_NS6detail17trampoline_kernelINS0_14default_configENS1_22reduce_config_selectorIN6thrust23THRUST_200600_302600_NS5tupleIblNS6_9null_typeES8_S8_S8_S8_S8_S8_S8_EEEEZNS1_11reduce_implILb1ES3_NS6_12zip_iteratorINS7_INS6_11hip_rocprim26transform_input_iterator_tIbNSD_35transform_pair_of_input_iterators_tIbNS6_6detail15normal_iteratorINS6_10device_ptrIKfEEEESL_NS6_8equal_toIfEEEENSG_9not_fun_tINSD_8identityEEEEENSD_19counting_iterator_tIlEES8_S8_S8_S8_S8_S8_S8_S8_EEEEPS9_S9_NSD_9__find_if7functorIS9_EEEE10hipError_tPvRmT1_T2_T3_mT4_P12ihipStream_tbEUlT_E0_NS1_11comp_targetILNS1_3genE4ELNS1_11target_archE910ELNS1_3gpuE8ELNS1_3repE0EEENS1_30default_config_static_selectorELNS0_4arch9wavefront6targetE0EEEvS14_.uses_flat_scratch, 0
	.set _ZN7rocprim17ROCPRIM_400000_NS6detail17trampoline_kernelINS0_14default_configENS1_22reduce_config_selectorIN6thrust23THRUST_200600_302600_NS5tupleIblNS6_9null_typeES8_S8_S8_S8_S8_S8_S8_EEEEZNS1_11reduce_implILb1ES3_NS6_12zip_iteratorINS7_INS6_11hip_rocprim26transform_input_iterator_tIbNSD_35transform_pair_of_input_iterators_tIbNS6_6detail15normal_iteratorINS6_10device_ptrIKfEEEESL_NS6_8equal_toIfEEEENSG_9not_fun_tINSD_8identityEEEEENSD_19counting_iterator_tIlEES8_S8_S8_S8_S8_S8_S8_S8_EEEEPS9_S9_NSD_9__find_if7functorIS9_EEEE10hipError_tPvRmT1_T2_T3_mT4_P12ihipStream_tbEUlT_E0_NS1_11comp_targetILNS1_3genE4ELNS1_11target_archE910ELNS1_3gpuE8ELNS1_3repE0EEENS1_30default_config_static_selectorELNS0_4arch9wavefront6targetE0EEEvS14_.has_dyn_sized_stack, 0
	.set _ZN7rocprim17ROCPRIM_400000_NS6detail17trampoline_kernelINS0_14default_configENS1_22reduce_config_selectorIN6thrust23THRUST_200600_302600_NS5tupleIblNS6_9null_typeES8_S8_S8_S8_S8_S8_S8_EEEEZNS1_11reduce_implILb1ES3_NS6_12zip_iteratorINS7_INS6_11hip_rocprim26transform_input_iterator_tIbNSD_35transform_pair_of_input_iterators_tIbNS6_6detail15normal_iteratorINS6_10device_ptrIKfEEEESL_NS6_8equal_toIfEEEENSG_9not_fun_tINSD_8identityEEEEENSD_19counting_iterator_tIlEES8_S8_S8_S8_S8_S8_S8_S8_EEEEPS9_S9_NSD_9__find_if7functorIS9_EEEE10hipError_tPvRmT1_T2_T3_mT4_P12ihipStream_tbEUlT_E0_NS1_11comp_targetILNS1_3genE4ELNS1_11target_archE910ELNS1_3gpuE8ELNS1_3repE0EEENS1_30default_config_static_selectorELNS0_4arch9wavefront6targetE0EEEvS14_.has_recursion, 0
	.set _ZN7rocprim17ROCPRIM_400000_NS6detail17trampoline_kernelINS0_14default_configENS1_22reduce_config_selectorIN6thrust23THRUST_200600_302600_NS5tupleIblNS6_9null_typeES8_S8_S8_S8_S8_S8_S8_EEEEZNS1_11reduce_implILb1ES3_NS6_12zip_iteratorINS7_INS6_11hip_rocprim26transform_input_iterator_tIbNSD_35transform_pair_of_input_iterators_tIbNS6_6detail15normal_iteratorINS6_10device_ptrIKfEEEESL_NS6_8equal_toIfEEEENSG_9not_fun_tINSD_8identityEEEEENSD_19counting_iterator_tIlEES8_S8_S8_S8_S8_S8_S8_S8_EEEEPS9_S9_NSD_9__find_if7functorIS9_EEEE10hipError_tPvRmT1_T2_T3_mT4_P12ihipStream_tbEUlT_E0_NS1_11comp_targetILNS1_3genE4ELNS1_11target_archE910ELNS1_3gpuE8ELNS1_3repE0EEENS1_30default_config_static_selectorELNS0_4arch9wavefront6targetE0EEEvS14_.has_indirect_call, 0
	.section	.AMDGPU.csdata,"",@progbits
; Kernel info:
; codeLenInByte = 0
; TotalNumSgprs: 0
; NumVgprs: 0
; ScratchSize: 0
; MemoryBound: 0
; FloatMode: 240
; IeeeMode: 1
; LDSByteSize: 0 bytes/workgroup (compile time only)
; SGPRBlocks: 0
; VGPRBlocks: 0
; NumSGPRsForWavesPerEU: 1
; NumVGPRsForWavesPerEU: 1
; NamedBarCnt: 0
; Occupancy: 16
; WaveLimiterHint : 0
; COMPUTE_PGM_RSRC2:SCRATCH_EN: 0
; COMPUTE_PGM_RSRC2:USER_SGPR: 2
; COMPUTE_PGM_RSRC2:TRAP_HANDLER: 0
; COMPUTE_PGM_RSRC2:TGID_X_EN: 1
; COMPUTE_PGM_RSRC2:TGID_Y_EN: 0
; COMPUTE_PGM_RSRC2:TGID_Z_EN: 0
; COMPUTE_PGM_RSRC2:TIDIG_COMP_CNT: 0
	.section	.text._ZN7rocprim17ROCPRIM_400000_NS6detail17trampoline_kernelINS0_14default_configENS1_22reduce_config_selectorIN6thrust23THRUST_200600_302600_NS5tupleIblNS6_9null_typeES8_S8_S8_S8_S8_S8_S8_EEEEZNS1_11reduce_implILb1ES3_NS6_12zip_iteratorINS7_INS6_11hip_rocprim26transform_input_iterator_tIbNSD_35transform_pair_of_input_iterators_tIbNS6_6detail15normal_iteratorINS6_10device_ptrIKfEEEESL_NS6_8equal_toIfEEEENSG_9not_fun_tINSD_8identityEEEEENSD_19counting_iterator_tIlEES8_S8_S8_S8_S8_S8_S8_S8_EEEEPS9_S9_NSD_9__find_if7functorIS9_EEEE10hipError_tPvRmT1_T2_T3_mT4_P12ihipStream_tbEUlT_E0_NS1_11comp_targetILNS1_3genE3ELNS1_11target_archE908ELNS1_3gpuE7ELNS1_3repE0EEENS1_30default_config_static_selectorELNS0_4arch9wavefront6targetE0EEEvS14_,"axG",@progbits,_ZN7rocprim17ROCPRIM_400000_NS6detail17trampoline_kernelINS0_14default_configENS1_22reduce_config_selectorIN6thrust23THRUST_200600_302600_NS5tupleIblNS6_9null_typeES8_S8_S8_S8_S8_S8_S8_EEEEZNS1_11reduce_implILb1ES3_NS6_12zip_iteratorINS7_INS6_11hip_rocprim26transform_input_iterator_tIbNSD_35transform_pair_of_input_iterators_tIbNS6_6detail15normal_iteratorINS6_10device_ptrIKfEEEESL_NS6_8equal_toIfEEEENSG_9not_fun_tINSD_8identityEEEEENSD_19counting_iterator_tIlEES8_S8_S8_S8_S8_S8_S8_S8_EEEEPS9_S9_NSD_9__find_if7functorIS9_EEEE10hipError_tPvRmT1_T2_T3_mT4_P12ihipStream_tbEUlT_E0_NS1_11comp_targetILNS1_3genE3ELNS1_11target_archE908ELNS1_3gpuE7ELNS1_3repE0EEENS1_30default_config_static_selectorELNS0_4arch9wavefront6targetE0EEEvS14_,comdat
	.protected	_ZN7rocprim17ROCPRIM_400000_NS6detail17trampoline_kernelINS0_14default_configENS1_22reduce_config_selectorIN6thrust23THRUST_200600_302600_NS5tupleIblNS6_9null_typeES8_S8_S8_S8_S8_S8_S8_EEEEZNS1_11reduce_implILb1ES3_NS6_12zip_iteratorINS7_INS6_11hip_rocprim26transform_input_iterator_tIbNSD_35transform_pair_of_input_iterators_tIbNS6_6detail15normal_iteratorINS6_10device_ptrIKfEEEESL_NS6_8equal_toIfEEEENSG_9not_fun_tINSD_8identityEEEEENSD_19counting_iterator_tIlEES8_S8_S8_S8_S8_S8_S8_S8_EEEEPS9_S9_NSD_9__find_if7functorIS9_EEEE10hipError_tPvRmT1_T2_T3_mT4_P12ihipStream_tbEUlT_E0_NS1_11comp_targetILNS1_3genE3ELNS1_11target_archE908ELNS1_3gpuE7ELNS1_3repE0EEENS1_30default_config_static_selectorELNS0_4arch9wavefront6targetE0EEEvS14_ ; -- Begin function _ZN7rocprim17ROCPRIM_400000_NS6detail17trampoline_kernelINS0_14default_configENS1_22reduce_config_selectorIN6thrust23THRUST_200600_302600_NS5tupleIblNS6_9null_typeES8_S8_S8_S8_S8_S8_S8_EEEEZNS1_11reduce_implILb1ES3_NS6_12zip_iteratorINS7_INS6_11hip_rocprim26transform_input_iterator_tIbNSD_35transform_pair_of_input_iterators_tIbNS6_6detail15normal_iteratorINS6_10device_ptrIKfEEEESL_NS6_8equal_toIfEEEENSG_9not_fun_tINSD_8identityEEEEENSD_19counting_iterator_tIlEES8_S8_S8_S8_S8_S8_S8_S8_EEEEPS9_S9_NSD_9__find_if7functorIS9_EEEE10hipError_tPvRmT1_T2_T3_mT4_P12ihipStream_tbEUlT_E0_NS1_11comp_targetILNS1_3genE3ELNS1_11target_archE908ELNS1_3gpuE7ELNS1_3repE0EEENS1_30default_config_static_selectorELNS0_4arch9wavefront6targetE0EEEvS14_
	.globl	_ZN7rocprim17ROCPRIM_400000_NS6detail17trampoline_kernelINS0_14default_configENS1_22reduce_config_selectorIN6thrust23THRUST_200600_302600_NS5tupleIblNS6_9null_typeES8_S8_S8_S8_S8_S8_S8_EEEEZNS1_11reduce_implILb1ES3_NS6_12zip_iteratorINS7_INS6_11hip_rocprim26transform_input_iterator_tIbNSD_35transform_pair_of_input_iterators_tIbNS6_6detail15normal_iteratorINS6_10device_ptrIKfEEEESL_NS6_8equal_toIfEEEENSG_9not_fun_tINSD_8identityEEEEENSD_19counting_iterator_tIlEES8_S8_S8_S8_S8_S8_S8_S8_EEEEPS9_S9_NSD_9__find_if7functorIS9_EEEE10hipError_tPvRmT1_T2_T3_mT4_P12ihipStream_tbEUlT_E0_NS1_11comp_targetILNS1_3genE3ELNS1_11target_archE908ELNS1_3gpuE7ELNS1_3repE0EEENS1_30default_config_static_selectorELNS0_4arch9wavefront6targetE0EEEvS14_
	.p2align	8
	.type	_ZN7rocprim17ROCPRIM_400000_NS6detail17trampoline_kernelINS0_14default_configENS1_22reduce_config_selectorIN6thrust23THRUST_200600_302600_NS5tupleIblNS6_9null_typeES8_S8_S8_S8_S8_S8_S8_EEEEZNS1_11reduce_implILb1ES3_NS6_12zip_iteratorINS7_INS6_11hip_rocprim26transform_input_iterator_tIbNSD_35transform_pair_of_input_iterators_tIbNS6_6detail15normal_iteratorINS6_10device_ptrIKfEEEESL_NS6_8equal_toIfEEEENSG_9not_fun_tINSD_8identityEEEEENSD_19counting_iterator_tIlEES8_S8_S8_S8_S8_S8_S8_S8_EEEEPS9_S9_NSD_9__find_if7functorIS9_EEEE10hipError_tPvRmT1_T2_T3_mT4_P12ihipStream_tbEUlT_E0_NS1_11comp_targetILNS1_3genE3ELNS1_11target_archE908ELNS1_3gpuE7ELNS1_3repE0EEENS1_30default_config_static_selectorELNS0_4arch9wavefront6targetE0EEEvS14_,@function
_ZN7rocprim17ROCPRIM_400000_NS6detail17trampoline_kernelINS0_14default_configENS1_22reduce_config_selectorIN6thrust23THRUST_200600_302600_NS5tupleIblNS6_9null_typeES8_S8_S8_S8_S8_S8_S8_EEEEZNS1_11reduce_implILb1ES3_NS6_12zip_iteratorINS7_INS6_11hip_rocprim26transform_input_iterator_tIbNSD_35transform_pair_of_input_iterators_tIbNS6_6detail15normal_iteratorINS6_10device_ptrIKfEEEESL_NS6_8equal_toIfEEEENSG_9not_fun_tINSD_8identityEEEEENSD_19counting_iterator_tIlEES8_S8_S8_S8_S8_S8_S8_S8_EEEEPS9_S9_NSD_9__find_if7functorIS9_EEEE10hipError_tPvRmT1_T2_T3_mT4_P12ihipStream_tbEUlT_E0_NS1_11comp_targetILNS1_3genE3ELNS1_11target_archE908ELNS1_3gpuE7ELNS1_3repE0EEENS1_30default_config_static_selectorELNS0_4arch9wavefront6targetE0EEEvS14_: ; @_ZN7rocprim17ROCPRIM_400000_NS6detail17trampoline_kernelINS0_14default_configENS1_22reduce_config_selectorIN6thrust23THRUST_200600_302600_NS5tupleIblNS6_9null_typeES8_S8_S8_S8_S8_S8_S8_EEEEZNS1_11reduce_implILb1ES3_NS6_12zip_iteratorINS7_INS6_11hip_rocprim26transform_input_iterator_tIbNSD_35transform_pair_of_input_iterators_tIbNS6_6detail15normal_iteratorINS6_10device_ptrIKfEEEESL_NS6_8equal_toIfEEEENSG_9not_fun_tINSD_8identityEEEEENSD_19counting_iterator_tIlEES8_S8_S8_S8_S8_S8_S8_S8_EEEEPS9_S9_NSD_9__find_if7functorIS9_EEEE10hipError_tPvRmT1_T2_T3_mT4_P12ihipStream_tbEUlT_E0_NS1_11comp_targetILNS1_3genE3ELNS1_11target_archE908ELNS1_3gpuE7ELNS1_3repE0EEENS1_30default_config_static_selectorELNS0_4arch9wavefront6targetE0EEEvS14_
; %bb.0:
	.section	.rodata,"a",@progbits
	.p2align	6, 0x0
	.amdhsa_kernel _ZN7rocprim17ROCPRIM_400000_NS6detail17trampoline_kernelINS0_14default_configENS1_22reduce_config_selectorIN6thrust23THRUST_200600_302600_NS5tupleIblNS6_9null_typeES8_S8_S8_S8_S8_S8_S8_EEEEZNS1_11reduce_implILb1ES3_NS6_12zip_iteratorINS7_INS6_11hip_rocprim26transform_input_iterator_tIbNSD_35transform_pair_of_input_iterators_tIbNS6_6detail15normal_iteratorINS6_10device_ptrIKfEEEESL_NS6_8equal_toIfEEEENSG_9not_fun_tINSD_8identityEEEEENSD_19counting_iterator_tIlEES8_S8_S8_S8_S8_S8_S8_S8_EEEEPS9_S9_NSD_9__find_if7functorIS9_EEEE10hipError_tPvRmT1_T2_T3_mT4_P12ihipStream_tbEUlT_E0_NS1_11comp_targetILNS1_3genE3ELNS1_11target_archE908ELNS1_3gpuE7ELNS1_3repE0EEENS1_30default_config_static_selectorELNS0_4arch9wavefront6targetE0EEEvS14_
		.amdhsa_group_segment_fixed_size 0
		.amdhsa_private_segment_fixed_size 0
		.amdhsa_kernarg_size 104
		.amdhsa_user_sgpr_count 2
		.amdhsa_user_sgpr_dispatch_ptr 0
		.amdhsa_user_sgpr_queue_ptr 0
		.amdhsa_user_sgpr_kernarg_segment_ptr 1
		.amdhsa_user_sgpr_dispatch_id 0
		.amdhsa_user_sgpr_kernarg_preload_length 0
		.amdhsa_user_sgpr_kernarg_preload_offset 0
		.amdhsa_user_sgpr_private_segment_size 0
		.amdhsa_wavefront_size32 1
		.amdhsa_uses_dynamic_stack 0
		.amdhsa_enable_private_segment 0
		.amdhsa_system_sgpr_workgroup_id_x 1
		.amdhsa_system_sgpr_workgroup_id_y 0
		.amdhsa_system_sgpr_workgroup_id_z 0
		.amdhsa_system_sgpr_workgroup_info 0
		.amdhsa_system_vgpr_workitem_id 0
		.amdhsa_next_free_vgpr 1
		.amdhsa_next_free_sgpr 1
		.amdhsa_named_barrier_count 0
		.amdhsa_reserve_vcc 0
		.amdhsa_float_round_mode_32 0
		.amdhsa_float_round_mode_16_64 0
		.amdhsa_float_denorm_mode_32 3
		.amdhsa_float_denorm_mode_16_64 3
		.amdhsa_fp16_overflow 0
		.amdhsa_memory_ordered 1
		.amdhsa_forward_progress 1
		.amdhsa_inst_pref_size 0
		.amdhsa_round_robin_scheduling 0
		.amdhsa_exception_fp_ieee_invalid_op 0
		.amdhsa_exception_fp_denorm_src 0
		.amdhsa_exception_fp_ieee_div_zero 0
		.amdhsa_exception_fp_ieee_overflow 0
		.amdhsa_exception_fp_ieee_underflow 0
		.amdhsa_exception_fp_ieee_inexact 0
		.amdhsa_exception_int_div_zero 0
	.end_amdhsa_kernel
	.section	.text._ZN7rocprim17ROCPRIM_400000_NS6detail17trampoline_kernelINS0_14default_configENS1_22reduce_config_selectorIN6thrust23THRUST_200600_302600_NS5tupleIblNS6_9null_typeES8_S8_S8_S8_S8_S8_S8_EEEEZNS1_11reduce_implILb1ES3_NS6_12zip_iteratorINS7_INS6_11hip_rocprim26transform_input_iterator_tIbNSD_35transform_pair_of_input_iterators_tIbNS6_6detail15normal_iteratorINS6_10device_ptrIKfEEEESL_NS6_8equal_toIfEEEENSG_9not_fun_tINSD_8identityEEEEENSD_19counting_iterator_tIlEES8_S8_S8_S8_S8_S8_S8_S8_EEEEPS9_S9_NSD_9__find_if7functorIS9_EEEE10hipError_tPvRmT1_T2_T3_mT4_P12ihipStream_tbEUlT_E0_NS1_11comp_targetILNS1_3genE3ELNS1_11target_archE908ELNS1_3gpuE7ELNS1_3repE0EEENS1_30default_config_static_selectorELNS0_4arch9wavefront6targetE0EEEvS14_,"axG",@progbits,_ZN7rocprim17ROCPRIM_400000_NS6detail17trampoline_kernelINS0_14default_configENS1_22reduce_config_selectorIN6thrust23THRUST_200600_302600_NS5tupleIblNS6_9null_typeES8_S8_S8_S8_S8_S8_S8_EEEEZNS1_11reduce_implILb1ES3_NS6_12zip_iteratorINS7_INS6_11hip_rocprim26transform_input_iterator_tIbNSD_35transform_pair_of_input_iterators_tIbNS6_6detail15normal_iteratorINS6_10device_ptrIKfEEEESL_NS6_8equal_toIfEEEENSG_9not_fun_tINSD_8identityEEEEENSD_19counting_iterator_tIlEES8_S8_S8_S8_S8_S8_S8_S8_EEEEPS9_S9_NSD_9__find_if7functorIS9_EEEE10hipError_tPvRmT1_T2_T3_mT4_P12ihipStream_tbEUlT_E0_NS1_11comp_targetILNS1_3genE3ELNS1_11target_archE908ELNS1_3gpuE7ELNS1_3repE0EEENS1_30default_config_static_selectorELNS0_4arch9wavefront6targetE0EEEvS14_,comdat
.Lfunc_end80:
	.size	_ZN7rocprim17ROCPRIM_400000_NS6detail17trampoline_kernelINS0_14default_configENS1_22reduce_config_selectorIN6thrust23THRUST_200600_302600_NS5tupleIblNS6_9null_typeES8_S8_S8_S8_S8_S8_S8_EEEEZNS1_11reduce_implILb1ES3_NS6_12zip_iteratorINS7_INS6_11hip_rocprim26transform_input_iterator_tIbNSD_35transform_pair_of_input_iterators_tIbNS6_6detail15normal_iteratorINS6_10device_ptrIKfEEEESL_NS6_8equal_toIfEEEENSG_9not_fun_tINSD_8identityEEEEENSD_19counting_iterator_tIlEES8_S8_S8_S8_S8_S8_S8_S8_EEEEPS9_S9_NSD_9__find_if7functorIS9_EEEE10hipError_tPvRmT1_T2_T3_mT4_P12ihipStream_tbEUlT_E0_NS1_11comp_targetILNS1_3genE3ELNS1_11target_archE908ELNS1_3gpuE7ELNS1_3repE0EEENS1_30default_config_static_selectorELNS0_4arch9wavefront6targetE0EEEvS14_, .Lfunc_end80-_ZN7rocprim17ROCPRIM_400000_NS6detail17trampoline_kernelINS0_14default_configENS1_22reduce_config_selectorIN6thrust23THRUST_200600_302600_NS5tupleIblNS6_9null_typeES8_S8_S8_S8_S8_S8_S8_EEEEZNS1_11reduce_implILb1ES3_NS6_12zip_iteratorINS7_INS6_11hip_rocprim26transform_input_iterator_tIbNSD_35transform_pair_of_input_iterators_tIbNS6_6detail15normal_iteratorINS6_10device_ptrIKfEEEESL_NS6_8equal_toIfEEEENSG_9not_fun_tINSD_8identityEEEEENSD_19counting_iterator_tIlEES8_S8_S8_S8_S8_S8_S8_S8_EEEEPS9_S9_NSD_9__find_if7functorIS9_EEEE10hipError_tPvRmT1_T2_T3_mT4_P12ihipStream_tbEUlT_E0_NS1_11comp_targetILNS1_3genE3ELNS1_11target_archE908ELNS1_3gpuE7ELNS1_3repE0EEENS1_30default_config_static_selectorELNS0_4arch9wavefront6targetE0EEEvS14_
                                        ; -- End function
	.set _ZN7rocprim17ROCPRIM_400000_NS6detail17trampoline_kernelINS0_14default_configENS1_22reduce_config_selectorIN6thrust23THRUST_200600_302600_NS5tupleIblNS6_9null_typeES8_S8_S8_S8_S8_S8_S8_EEEEZNS1_11reduce_implILb1ES3_NS6_12zip_iteratorINS7_INS6_11hip_rocprim26transform_input_iterator_tIbNSD_35transform_pair_of_input_iterators_tIbNS6_6detail15normal_iteratorINS6_10device_ptrIKfEEEESL_NS6_8equal_toIfEEEENSG_9not_fun_tINSD_8identityEEEEENSD_19counting_iterator_tIlEES8_S8_S8_S8_S8_S8_S8_S8_EEEEPS9_S9_NSD_9__find_if7functorIS9_EEEE10hipError_tPvRmT1_T2_T3_mT4_P12ihipStream_tbEUlT_E0_NS1_11comp_targetILNS1_3genE3ELNS1_11target_archE908ELNS1_3gpuE7ELNS1_3repE0EEENS1_30default_config_static_selectorELNS0_4arch9wavefront6targetE0EEEvS14_.num_vgpr, 0
	.set _ZN7rocprim17ROCPRIM_400000_NS6detail17trampoline_kernelINS0_14default_configENS1_22reduce_config_selectorIN6thrust23THRUST_200600_302600_NS5tupleIblNS6_9null_typeES8_S8_S8_S8_S8_S8_S8_EEEEZNS1_11reduce_implILb1ES3_NS6_12zip_iteratorINS7_INS6_11hip_rocprim26transform_input_iterator_tIbNSD_35transform_pair_of_input_iterators_tIbNS6_6detail15normal_iteratorINS6_10device_ptrIKfEEEESL_NS6_8equal_toIfEEEENSG_9not_fun_tINSD_8identityEEEEENSD_19counting_iterator_tIlEES8_S8_S8_S8_S8_S8_S8_S8_EEEEPS9_S9_NSD_9__find_if7functorIS9_EEEE10hipError_tPvRmT1_T2_T3_mT4_P12ihipStream_tbEUlT_E0_NS1_11comp_targetILNS1_3genE3ELNS1_11target_archE908ELNS1_3gpuE7ELNS1_3repE0EEENS1_30default_config_static_selectorELNS0_4arch9wavefront6targetE0EEEvS14_.num_agpr, 0
	.set _ZN7rocprim17ROCPRIM_400000_NS6detail17trampoline_kernelINS0_14default_configENS1_22reduce_config_selectorIN6thrust23THRUST_200600_302600_NS5tupleIblNS6_9null_typeES8_S8_S8_S8_S8_S8_S8_EEEEZNS1_11reduce_implILb1ES3_NS6_12zip_iteratorINS7_INS6_11hip_rocprim26transform_input_iterator_tIbNSD_35transform_pair_of_input_iterators_tIbNS6_6detail15normal_iteratorINS6_10device_ptrIKfEEEESL_NS6_8equal_toIfEEEENSG_9not_fun_tINSD_8identityEEEEENSD_19counting_iterator_tIlEES8_S8_S8_S8_S8_S8_S8_S8_EEEEPS9_S9_NSD_9__find_if7functorIS9_EEEE10hipError_tPvRmT1_T2_T3_mT4_P12ihipStream_tbEUlT_E0_NS1_11comp_targetILNS1_3genE3ELNS1_11target_archE908ELNS1_3gpuE7ELNS1_3repE0EEENS1_30default_config_static_selectorELNS0_4arch9wavefront6targetE0EEEvS14_.numbered_sgpr, 0
	.set _ZN7rocprim17ROCPRIM_400000_NS6detail17trampoline_kernelINS0_14default_configENS1_22reduce_config_selectorIN6thrust23THRUST_200600_302600_NS5tupleIblNS6_9null_typeES8_S8_S8_S8_S8_S8_S8_EEEEZNS1_11reduce_implILb1ES3_NS6_12zip_iteratorINS7_INS6_11hip_rocprim26transform_input_iterator_tIbNSD_35transform_pair_of_input_iterators_tIbNS6_6detail15normal_iteratorINS6_10device_ptrIKfEEEESL_NS6_8equal_toIfEEEENSG_9not_fun_tINSD_8identityEEEEENSD_19counting_iterator_tIlEES8_S8_S8_S8_S8_S8_S8_S8_EEEEPS9_S9_NSD_9__find_if7functorIS9_EEEE10hipError_tPvRmT1_T2_T3_mT4_P12ihipStream_tbEUlT_E0_NS1_11comp_targetILNS1_3genE3ELNS1_11target_archE908ELNS1_3gpuE7ELNS1_3repE0EEENS1_30default_config_static_selectorELNS0_4arch9wavefront6targetE0EEEvS14_.num_named_barrier, 0
	.set _ZN7rocprim17ROCPRIM_400000_NS6detail17trampoline_kernelINS0_14default_configENS1_22reduce_config_selectorIN6thrust23THRUST_200600_302600_NS5tupleIblNS6_9null_typeES8_S8_S8_S8_S8_S8_S8_EEEEZNS1_11reduce_implILb1ES3_NS6_12zip_iteratorINS7_INS6_11hip_rocprim26transform_input_iterator_tIbNSD_35transform_pair_of_input_iterators_tIbNS6_6detail15normal_iteratorINS6_10device_ptrIKfEEEESL_NS6_8equal_toIfEEEENSG_9not_fun_tINSD_8identityEEEEENSD_19counting_iterator_tIlEES8_S8_S8_S8_S8_S8_S8_S8_EEEEPS9_S9_NSD_9__find_if7functorIS9_EEEE10hipError_tPvRmT1_T2_T3_mT4_P12ihipStream_tbEUlT_E0_NS1_11comp_targetILNS1_3genE3ELNS1_11target_archE908ELNS1_3gpuE7ELNS1_3repE0EEENS1_30default_config_static_selectorELNS0_4arch9wavefront6targetE0EEEvS14_.private_seg_size, 0
	.set _ZN7rocprim17ROCPRIM_400000_NS6detail17trampoline_kernelINS0_14default_configENS1_22reduce_config_selectorIN6thrust23THRUST_200600_302600_NS5tupleIblNS6_9null_typeES8_S8_S8_S8_S8_S8_S8_EEEEZNS1_11reduce_implILb1ES3_NS6_12zip_iteratorINS7_INS6_11hip_rocprim26transform_input_iterator_tIbNSD_35transform_pair_of_input_iterators_tIbNS6_6detail15normal_iteratorINS6_10device_ptrIKfEEEESL_NS6_8equal_toIfEEEENSG_9not_fun_tINSD_8identityEEEEENSD_19counting_iterator_tIlEES8_S8_S8_S8_S8_S8_S8_S8_EEEEPS9_S9_NSD_9__find_if7functorIS9_EEEE10hipError_tPvRmT1_T2_T3_mT4_P12ihipStream_tbEUlT_E0_NS1_11comp_targetILNS1_3genE3ELNS1_11target_archE908ELNS1_3gpuE7ELNS1_3repE0EEENS1_30default_config_static_selectorELNS0_4arch9wavefront6targetE0EEEvS14_.uses_vcc, 0
	.set _ZN7rocprim17ROCPRIM_400000_NS6detail17trampoline_kernelINS0_14default_configENS1_22reduce_config_selectorIN6thrust23THRUST_200600_302600_NS5tupleIblNS6_9null_typeES8_S8_S8_S8_S8_S8_S8_EEEEZNS1_11reduce_implILb1ES3_NS6_12zip_iteratorINS7_INS6_11hip_rocprim26transform_input_iterator_tIbNSD_35transform_pair_of_input_iterators_tIbNS6_6detail15normal_iteratorINS6_10device_ptrIKfEEEESL_NS6_8equal_toIfEEEENSG_9not_fun_tINSD_8identityEEEEENSD_19counting_iterator_tIlEES8_S8_S8_S8_S8_S8_S8_S8_EEEEPS9_S9_NSD_9__find_if7functorIS9_EEEE10hipError_tPvRmT1_T2_T3_mT4_P12ihipStream_tbEUlT_E0_NS1_11comp_targetILNS1_3genE3ELNS1_11target_archE908ELNS1_3gpuE7ELNS1_3repE0EEENS1_30default_config_static_selectorELNS0_4arch9wavefront6targetE0EEEvS14_.uses_flat_scratch, 0
	.set _ZN7rocprim17ROCPRIM_400000_NS6detail17trampoline_kernelINS0_14default_configENS1_22reduce_config_selectorIN6thrust23THRUST_200600_302600_NS5tupleIblNS6_9null_typeES8_S8_S8_S8_S8_S8_S8_EEEEZNS1_11reduce_implILb1ES3_NS6_12zip_iteratorINS7_INS6_11hip_rocprim26transform_input_iterator_tIbNSD_35transform_pair_of_input_iterators_tIbNS6_6detail15normal_iteratorINS6_10device_ptrIKfEEEESL_NS6_8equal_toIfEEEENSG_9not_fun_tINSD_8identityEEEEENSD_19counting_iterator_tIlEES8_S8_S8_S8_S8_S8_S8_S8_EEEEPS9_S9_NSD_9__find_if7functorIS9_EEEE10hipError_tPvRmT1_T2_T3_mT4_P12ihipStream_tbEUlT_E0_NS1_11comp_targetILNS1_3genE3ELNS1_11target_archE908ELNS1_3gpuE7ELNS1_3repE0EEENS1_30default_config_static_selectorELNS0_4arch9wavefront6targetE0EEEvS14_.has_dyn_sized_stack, 0
	.set _ZN7rocprim17ROCPRIM_400000_NS6detail17trampoline_kernelINS0_14default_configENS1_22reduce_config_selectorIN6thrust23THRUST_200600_302600_NS5tupleIblNS6_9null_typeES8_S8_S8_S8_S8_S8_S8_EEEEZNS1_11reduce_implILb1ES3_NS6_12zip_iteratorINS7_INS6_11hip_rocprim26transform_input_iterator_tIbNSD_35transform_pair_of_input_iterators_tIbNS6_6detail15normal_iteratorINS6_10device_ptrIKfEEEESL_NS6_8equal_toIfEEEENSG_9not_fun_tINSD_8identityEEEEENSD_19counting_iterator_tIlEES8_S8_S8_S8_S8_S8_S8_S8_EEEEPS9_S9_NSD_9__find_if7functorIS9_EEEE10hipError_tPvRmT1_T2_T3_mT4_P12ihipStream_tbEUlT_E0_NS1_11comp_targetILNS1_3genE3ELNS1_11target_archE908ELNS1_3gpuE7ELNS1_3repE0EEENS1_30default_config_static_selectorELNS0_4arch9wavefront6targetE0EEEvS14_.has_recursion, 0
	.set _ZN7rocprim17ROCPRIM_400000_NS6detail17trampoline_kernelINS0_14default_configENS1_22reduce_config_selectorIN6thrust23THRUST_200600_302600_NS5tupleIblNS6_9null_typeES8_S8_S8_S8_S8_S8_S8_EEEEZNS1_11reduce_implILb1ES3_NS6_12zip_iteratorINS7_INS6_11hip_rocprim26transform_input_iterator_tIbNSD_35transform_pair_of_input_iterators_tIbNS6_6detail15normal_iteratorINS6_10device_ptrIKfEEEESL_NS6_8equal_toIfEEEENSG_9not_fun_tINSD_8identityEEEEENSD_19counting_iterator_tIlEES8_S8_S8_S8_S8_S8_S8_S8_EEEEPS9_S9_NSD_9__find_if7functorIS9_EEEE10hipError_tPvRmT1_T2_T3_mT4_P12ihipStream_tbEUlT_E0_NS1_11comp_targetILNS1_3genE3ELNS1_11target_archE908ELNS1_3gpuE7ELNS1_3repE0EEENS1_30default_config_static_selectorELNS0_4arch9wavefront6targetE0EEEvS14_.has_indirect_call, 0
	.section	.AMDGPU.csdata,"",@progbits
; Kernel info:
; codeLenInByte = 0
; TotalNumSgprs: 0
; NumVgprs: 0
; ScratchSize: 0
; MemoryBound: 0
; FloatMode: 240
; IeeeMode: 1
; LDSByteSize: 0 bytes/workgroup (compile time only)
; SGPRBlocks: 0
; VGPRBlocks: 0
; NumSGPRsForWavesPerEU: 1
; NumVGPRsForWavesPerEU: 1
; NamedBarCnt: 0
; Occupancy: 16
; WaveLimiterHint : 0
; COMPUTE_PGM_RSRC2:SCRATCH_EN: 0
; COMPUTE_PGM_RSRC2:USER_SGPR: 2
; COMPUTE_PGM_RSRC2:TRAP_HANDLER: 0
; COMPUTE_PGM_RSRC2:TGID_X_EN: 1
; COMPUTE_PGM_RSRC2:TGID_Y_EN: 0
; COMPUTE_PGM_RSRC2:TGID_Z_EN: 0
; COMPUTE_PGM_RSRC2:TIDIG_COMP_CNT: 0
	.section	.text._ZN7rocprim17ROCPRIM_400000_NS6detail17trampoline_kernelINS0_14default_configENS1_22reduce_config_selectorIN6thrust23THRUST_200600_302600_NS5tupleIblNS6_9null_typeES8_S8_S8_S8_S8_S8_S8_EEEEZNS1_11reduce_implILb1ES3_NS6_12zip_iteratorINS7_INS6_11hip_rocprim26transform_input_iterator_tIbNSD_35transform_pair_of_input_iterators_tIbNS6_6detail15normal_iteratorINS6_10device_ptrIKfEEEESL_NS6_8equal_toIfEEEENSG_9not_fun_tINSD_8identityEEEEENSD_19counting_iterator_tIlEES8_S8_S8_S8_S8_S8_S8_S8_EEEEPS9_S9_NSD_9__find_if7functorIS9_EEEE10hipError_tPvRmT1_T2_T3_mT4_P12ihipStream_tbEUlT_E0_NS1_11comp_targetILNS1_3genE2ELNS1_11target_archE906ELNS1_3gpuE6ELNS1_3repE0EEENS1_30default_config_static_selectorELNS0_4arch9wavefront6targetE0EEEvS14_,"axG",@progbits,_ZN7rocprim17ROCPRIM_400000_NS6detail17trampoline_kernelINS0_14default_configENS1_22reduce_config_selectorIN6thrust23THRUST_200600_302600_NS5tupleIblNS6_9null_typeES8_S8_S8_S8_S8_S8_S8_EEEEZNS1_11reduce_implILb1ES3_NS6_12zip_iteratorINS7_INS6_11hip_rocprim26transform_input_iterator_tIbNSD_35transform_pair_of_input_iterators_tIbNS6_6detail15normal_iteratorINS6_10device_ptrIKfEEEESL_NS6_8equal_toIfEEEENSG_9not_fun_tINSD_8identityEEEEENSD_19counting_iterator_tIlEES8_S8_S8_S8_S8_S8_S8_S8_EEEEPS9_S9_NSD_9__find_if7functorIS9_EEEE10hipError_tPvRmT1_T2_T3_mT4_P12ihipStream_tbEUlT_E0_NS1_11comp_targetILNS1_3genE2ELNS1_11target_archE906ELNS1_3gpuE6ELNS1_3repE0EEENS1_30default_config_static_selectorELNS0_4arch9wavefront6targetE0EEEvS14_,comdat
	.protected	_ZN7rocprim17ROCPRIM_400000_NS6detail17trampoline_kernelINS0_14default_configENS1_22reduce_config_selectorIN6thrust23THRUST_200600_302600_NS5tupleIblNS6_9null_typeES8_S8_S8_S8_S8_S8_S8_EEEEZNS1_11reduce_implILb1ES3_NS6_12zip_iteratorINS7_INS6_11hip_rocprim26transform_input_iterator_tIbNSD_35transform_pair_of_input_iterators_tIbNS6_6detail15normal_iteratorINS6_10device_ptrIKfEEEESL_NS6_8equal_toIfEEEENSG_9not_fun_tINSD_8identityEEEEENSD_19counting_iterator_tIlEES8_S8_S8_S8_S8_S8_S8_S8_EEEEPS9_S9_NSD_9__find_if7functorIS9_EEEE10hipError_tPvRmT1_T2_T3_mT4_P12ihipStream_tbEUlT_E0_NS1_11comp_targetILNS1_3genE2ELNS1_11target_archE906ELNS1_3gpuE6ELNS1_3repE0EEENS1_30default_config_static_selectorELNS0_4arch9wavefront6targetE0EEEvS14_ ; -- Begin function _ZN7rocprim17ROCPRIM_400000_NS6detail17trampoline_kernelINS0_14default_configENS1_22reduce_config_selectorIN6thrust23THRUST_200600_302600_NS5tupleIblNS6_9null_typeES8_S8_S8_S8_S8_S8_S8_EEEEZNS1_11reduce_implILb1ES3_NS6_12zip_iteratorINS7_INS6_11hip_rocprim26transform_input_iterator_tIbNSD_35transform_pair_of_input_iterators_tIbNS6_6detail15normal_iteratorINS6_10device_ptrIKfEEEESL_NS6_8equal_toIfEEEENSG_9not_fun_tINSD_8identityEEEEENSD_19counting_iterator_tIlEES8_S8_S8_S8_S8_S8_S8_S8_EEEEPS9_S9_NSD_9__find_if7functorIS9_EEEE10hipError_tPvRmT1_T2_T3_mT4_P12ihipStream_tbEUlT_E0_NS1_11comp_targetILNS1_3genE2ELNS1_11target_archE906ELNS1_3gpuE6ELNS1_3repE0EEENS1_30default_config_static_selectorELNS0_4arch9wavefront6targetE0EEEvS14_
	.globl	_ZN7rocprim17ROCPRIM_400000_NS6detail17trampoline_kernelINS0_14default_configENS1_22reduce_config_selectorIN6thrust23THRUST_200600_302600_NS5tupleIblNS6_9null_typeES8_S8_S8_S8_S8_S8_S8_EEEEZNS1_11reduce_implILb1ES3_NS6_12zip_iteratorINS7_INS6_11hip_rocprim26transform_input_iterator_tIbNSD_35transform_pair_of_input_iterators_tIbNS6_6detail15normal_iteratorINS6_10device_ptrIKfEEEESL_NS6_8equal_toIfEEEENSG_9not_fun_tINSD_8identityEEEEENSD_19counting_iterator_tIlEES8_S8_S8_S8_S8_S8_S8_S8_EEEEPS9_S9_NSD_9__find_if7functorIS9_EEEE10hipError_tPvRmT1_T2_T3_mT4_P12ihipStream_tbEUlT_E0_NS1_11comp_targetILNS1_3genE2ELNS1_11target_archE906ELNS1_3gpuE6ELNS1_3repE0EEENS1_30default_config_static_selectorELNS0_4arch9wavefront6targetE0EEEvS14_
	.p2align	8
	.type	_ZN7rocprim17ROCPRIM_400000_NS6detail17trampoline_kernelINS0_14default_configENS1_22reduce_config_selectorIN6thrust23THRUST_200600_302600_NS5tupleIblNS6_9null_typeES8_S8_S8_S8_S8_S8_S8_EEEEZNS1_11reduce_implILb1ES3_NS6_12zip_iteratorINS7_INS6_11hip_rocprim26transform_input_iterator_tIbNSD_35transform_pair_of_input_iterators_tIbNS6_6detail15normal_iteratorINS6_10device_ptrIKfEEEESL_NS6_8equal_toIfEEEENSG_9not_fun_tINSD_8identityEEEEENSD_19counting_iterator_tIlEES8_S8_S8_S8_S8_S8_S8_S8_EEEEPS9_S9_NSD_9__find_if7functorIS9_EEEE10hipError_tPvRmT1_T2_T3_mT4_P12ihipStream_tbEUlT_E0_NS1_11comp_targetILNS1_3genE2ELNS1_11target_archE906ELNS1_3gpuE6ELNS1_3repE0EEENS1_30default_config_static_selectorELNS0_4arch9wavefront6targetE0EEEvS14_,@function
_ZN7rocprim17ROCPRIM_400000_NS6detail17trampoline_kernelINS0_14default_configENS1_22reduce_config_selectorIN6thrust23THRUST_200600_302600_NS5tupleIblNS6_9null_typeES8_S8_S8_S8_S8_S8_S8_EEEEZNS1_11reduce_implILb1ES3_NS6_12zip_iteratorINS7_INS6_11hip_rocprim26transform_input_iterator_tIbNSD_35transform_pair_of_input_iterators_tIbNS6_6detail15normal_iteratorINS6_10device_ptrIKfEEEESL_NS6_8equal_toIfEEEENSG_9not_fun_tINSD_8identityEEEEENSD_19counting_iterator_tIlEES8_S8_S8_S8_S8_S8_S8_S8_EEEEPS9_S9_NSD_9__find_if7functorIS9_EEEE10hipError_tPvRmT1_T2_T3_mT4_P12ihipStream_tbEUlT_E0_NS1_11comp_targetILNS1_3genE2ELNS1_11target_archE906ELNS1_3gpuE6ELNS1_3repE0EEENS1_30default_config_static_selectorELNS0_4arch9wavefront6targetE0EEEvS14_: ; @_ZN7rocprim17ROCPRIM_400000_NS6detail17trampoline_kernelINS0_14default_configENS1_22reduce_config_selectorIN6thrust23THRUST_200600_302600_NS5tupleIblNS6_9null_typeES8_S8_S8_S8_S8_S8_S8_EEEEZNS1_11reduce_implILb1ES3_NS6_12zip_iteratorINS7_INS6_11hip_rocprim26transform_input_iterator_tIbNSD_35transform_pair_of_input_iterators_tIbNS6_6detail15normal_iteratorINS6_10device_ptrIKfEEEESL_NS6_8equal_toIfEEEENSG_9not_fun_tINSD_8identityEEEEENSD_19counting_iterator_tIlEES8_S8_S8_S8_S8_S8_S8_S8_EEEEPS9_S9_NSD_9__find_if7functorIS9_EEEE10hipError_tPvRmT1_T2_T3_mT4_P12ihipStream_tbEUlT_E0_NS1_11comp_targetILNS1_3genE2ELNS1_11target_archE906ELNS1_3gpuE6ELNS1_3repE0EEENS1_30default_config_static_selectorELNS0_4arch9wavefront6targetE0EEEvS14_
; %bb.0:
	.section	.rodata,"a",@progbits
	.p2align	6, 0x0
	.amdhsa_kernel _ZN7rocprim17ROCPRIM_400000_NS6detail17trampoline_kernelINS0_14default_configENS1_22reduce_config_selectorIN6thrust23THRUST_200600_302600_NS5tupleIblNS6_9null_typeES8_S8_S8_S8_S8_S8_S8_EEEEZNS1_11reduce_implILb1ES3_NS6_12zip_iteratorINS7_INS6_11hip_rocprim26transform_input_iterator_tIbNSD_35transform_pair_of_input_iterators_tIbNS6_6detail15normal_iteratorINS6_10device_ptrIKfEEEESL_NS6_8equal_toIfEEEENSG_9not_fun_tINSD_8identityEEEEENSD_19counting_iterator_tIlEES8_S8_S8_S8_S8_S8_S8_S8_EEEEPS9_S9_NSD_9__find_if7functorIS9_EEEE10hipError_tPvRmT1_T2_T3_mT4_P12ihipStream_tbEUlT_E0_NS1_11comp_targetILNS1_3genE2ELNS1_11target_archE906ELNS1_3gpuE6ELNS1_3repE0EEENS1_30default_config_static_selectorELNS0_4arch9wavefront6targetE0EEEvS14_
		.amdhsa_group_segment_fixed_size 0
		.amdhsa_private_segment_fixed_size 0
		.amdhsa_kernarg_size 104
		.amdhsa_user_sgpr_count 2
		.amdhsa_user_sgpr_dispatch_ptr 0
		.amdhsa_user_sgpr_queue_ptr 0
		.amdhsa_user_sgpr_kernarg_segment_ptr 1
		.amdhsa_user_sgpr_dispatch_id 0
		.amdhsa_user_sgpr_kernarg_preload_length 0
		.amdhsa_user_sgpr_kernarg_preload_offset 0
		.amdhsa_user_sgpr_private_segment_size 0
		.amdhsa_wavefront_size32 1
		.amdhsa_uses_dynamic_stack 0
		.amdhsa_enable_private_segment 0
		.amdhsa_system_sgpr_workgroup_id_x 1
		.amdhsa_system_sgpr_workgroup_id_y 0
		.amdhsa_system_sgpr_workgroup_id_z 0
		.amdhsa_system_sgpr_workgroup_info 0
		.amdhsa_system_vgpr_workitem_id 0
		.amdhsa_next_free_vgpr 1
		.amdhsa_next_free_sgpr 1
		.amdhsa_named_barrier_count 0
		.amdhsa_reserve_vcc 0
		.amdhsa_float_round_mode_32 0
		.amdhsa_float_round_mode_16_64 0
		.amdhsa_float_denorm_mode_32 3
		.amdhsa_float_denorm_mode_16_64 3
		.amdhsa_fp16_overflow 0
		.amdhsa_memory_ordered 1
		.amdhsa_forward_progress 1
		.amdhsa_inst_pref_size 0
		.amdhsa_round_robin_scheduling 0
		.amdhsa_exception_fp_ieee_invalid_op 0
		.amdhsa_exception_fp_denorm_src 0
		.amdhsa_exception_fp_ieee_div_zero 0
		.amdhsa_exception_fp_ieee_overflow 0
		.amdhsa_exception_fp_ieee_underflow 0
		.amdhsa_exception_fp_ieee_inexact 0
		.amdhsa_exception_int_div_zero 0
	.end_amdhsa_kernel
	.section	.text._ZN7rocprim17ROCPRIM_400000_NS6detail17trampoline_kernelINS0_14default_configENS1_22reduce_config_selectorIN6thrust23THRUST_200600_302600_NS5tupleIblNS6_9null_typeES8_S8_S8_S8_S8_S8_S8_EEEEZNS1_11reduce_implILb1ES3_NS6_12zip_iteratorINS7_INS6_11hip_rocprim26transform_input_iterator_tIbNSD_35transform_pair_of_input_iterators_tIbNS6_6detail15normal_iteratorINS6_10device_ptrIKfEEEESL_NS6_8equal_toIfEEEENSG_9not_fun_tINSD_8identityEEEEENSD_19counting_iterator_tIlEES8_S8_S8_S8_S8_S8_S8_S8_EEEEPS9_S9_NSD_9__find_if7functorIS9_EEEE10hipError_tPvRmT1_T2_T3_mT4_P12ihipStream_tbEUlT_E0_NS1_11comp_targetILNS1_3genE2ELNS1_11target_archE906ELNS1_3gpuE6ELNS1_3repE0EEENS1_30default_config_static_selectorELNS0_4arch9wavefront6targetE0EEEvS14_,"axG",@progbits,_ZN7rocprim17ROCPRIM_400000_NS6detail17trampoline_kernelINS0_14default_configENS1_22reduce_config_selectorIN6thrust23THRUST_200600_302600_NS5tupleIblNS6_9null_typeES8_S8_S8_S8_S8_S8_S8_EEEEZNS1_11reduce_implILb1ES3_NS6_12zip_iteratorINS7_INS6_11hip_rocprim26transform_input_iterator_tIbNSD_35transform_pair_of_input_iterators_tIbNS6_6detail15normal_iteratorINS6_10device_ptrIKfEEEESL_NS6_8equal_toIfEEEENSG_9not_fun_tINSD_8identityEEEEENSD_19counting_iterator_tIlEES8_S8_S8_S8_S8_S8_S8_S8_EEEEPS9_S9_NSD_9__find_if7functorIS9_EEEE10hipError_tPvRmT1_T2_T3_mT4_P12ihipStream_tbEUlT_E0_NS1_11comp_targetILNS1_3genE2ELNS1_11target_archE906ELNS1_3gpuE6ELNS1_3repE0EEENS1_30default_config_static_selectorELNS0_4arch9wavefront6targetE0EEEvS14_,comdat
.Lfunc_end81:
	.size	_ZN7rocprim17ROCPRIM_400000_NS6detail17trampoline_kernelINS0_14default_configENS1_22reduce_config_selectorIN6thrust23THRUST_200600_302600_NS5tupleIblNS6_9null_typeES8_S8_S8_S8_S8_S8_S8_EEEEZNS1_11reduce_implILb1ES3_NS6_12zip_iteratorINS7_INS6_11hip_rocprim26transform_input_iterator_tIbNSD_35transform_pair_of_input_iterators_tIbNS6_6detail15normal_iteratorINS6_10device_ptrIKfEEEESL_NS6_8equal_toIfEEEENSG_9not_fun_tINSD_8identityEEEEENSD_19counting_iterator_tIlEES8_S8_S8_S8_S8_S8_S8_S8_EEEEPS9_S9_NSD_9__find_if7functorIS9_EEEE10hipError_tPvRmT1_T2_T3_mT4_P12ihipStream_tbEUlT_E0_NS1_11comp_targetILNS1_3genE2ELNS1_11target_archE906ELNS1_3gpuE6ELNS1_3repE0EEENS1_30default_config_static_selectorELNS0_4arch9wavefront6targetE0EEEvS14_, .Lfunc_end81-_ZN7rocprim17ROCPRIM_400000_NS6detail17trampoline_kernelINS0_14default_configENS1_22reduce_config_selectorIN6thrust23THRUST_200600_302600_NS5tupleIblNS6_9null_typeES8_S8_S8_S8_S8_S8_S8_EEEEZNS1_11reduce_implILb1ES3_NS6_12zip_iteratorINS7_INS6_11hip_rocprim26transform_input_iterator_tIbNSD_35transform_pair_of_input_iterators_tIbNS6_6detail15normal_iteratorINS6_10device_ptrIKfEEEESL_NS6_8equal_toIfEEEENSG_9not_fun_tINSD_8identityEEEEENSD_19counting_iterator_tIlEES8_S8_S8_S8_S8_S8_S8_S8_EEEEPS9_S9_NSD_9__find_if7functorIS9_EEEE10hipError_tPvRmT1_T2_T3_mT4_P12ihipStream_tbEUlT_E0_NS1_11comp_targetILNS1_3genE2ELNS1_11target_archE906ELNS1_3gpuE6ELNS1_3repE0EEENS1_30default_config_static_selectorELNS0_4arch9wavefront6targetE0EEEvS14_
                                        ; -- End function
	.set _ZN7rocprim17ROCPRIM_400000_NS6detail17trampoline_kernelINS0_14default_configENS1_22reduce_config_selectorIN6thrust23THRUST_200600_302600_NS5tupleIblNS6_9null_typeES8_S8_S8_S8_S8_S8_S8_EEEEZNS1_11reduce_implILb1ES3_NS6_12zip_iteratorINS7_INS6_11hip_rocprim26transform_input_iterator_tIbNSD_35transform_pair_of_input_iterators_tIbNS6_6detail15normal_iteratorINS6_10device_ptrIKfEEEESL_NS6_8equal_toIfEEEENSG_9not_fun_tINSD_8identityEEEEENSD_19counting_iterator_tIlEES8_S8_S8_S8_S8_S8_S8_S8_EEEEPS9_S9_NSD_9__find_if7functorIS9_EEEE10hipError_tPvRmT1_T2_T3_mT4_P12ihipStream_tbEUlT_E0_NS1_11comp_targetILNS1_3genE2ELNS1_11target_archE906ELNS1_3gpuE6ELNS1_3repE0EEENS1_30default_config_static_selectorELNS0_4arch9wavefront6targetE0EEEvS14_.num_vgpr, 0
	.set _ZN7rocprim17ROCPRIM_400000_NS6detail17trampoline_kernelINS0_14default_configENS1_22reduce_config_selectorIN6thrust23THRUST_200600_302600_NS5tupleIblNS6_9null_typeES8_S8_S8_S8_S8_S8_S8_EEEEZNS1_11reduce_implILb1ES3_NS6_12zip_iteratorINS7_INS6_11hip_rocprim26transform_input_iterator_tIbNSD_35transform_pair_of_input_iterators_tIbNS6_6detail15normal_iteratorINS6_10device_ptrIKfEEEESL_NS6_8equal_toIfEEEENSG_9not_fun_tINSD_8identityEEEEENSD_19counting_iterator_tIlEES8_S8_S8_S8_S8_S8_S8_S8_EEEEPS9_S9_NSD_9__find_if7functorIS9_EEEE10hipError_tPvRmT1_T2_T3_mT4_P12ihipStream_tbEUlT_E0_NS1_11comp_targetILNS1_3genE2ELNS1_11target_archE906ELNS1_3gpuE6ELNS1_3repE0EEENS1_30default_config_static_selectorELNS0_4arch9wavefront6targetE0EEEvS14_.num_agpr, 0
	.set _ZN7rocprim17ROCPRIM_400000_NS6detail17trampoline_kernelINS0_14default_configENS1_22reduce_config_selectorIN6thrust23THRUST_200600_302600_NS5tupleIblNS6_9null_typeES8_S8_S8_S8_S8_S8_S8_EEEEZNS1_11reduce_implILb1ES3_NS6_12zip_iteratorINS7_INS6_11hip_rocprim26transform_input_iterator_tIbNSD_35transform_pair_of_input_iterators_tIbNS6_6detail15normal_iteratorINS6_10device_ptrIKfEEEESL_NS6_8equal_toIfEEEENSG_9not_fun_tINSD_8identityEEEEENSD_19counting_iterator_tIlEES8_S8_S8_S8_S8_S8_S8_S8_EEEEPS9_S9_NSD_9__find_if7functorIS9_EEEE10hipError_tPvRmT1_T2_T3_mT4_P12ihipStream_tbEUlT_E0_NS1_11comp_targetILNS1_3genE2ELNS1_11target_archE906ELNS1_3gpuE6ELNS1_3repE0EEENS1_30default_config_static_selectorELNS0_4arch9wavefront6targetE0EEEvS14_.numbered_sgpr, 0
	.set _ZN7rocprim17ROCPRIM_400000_NS6detail17trampoline_kernelINS0_14default_configENS1_22reduce_config_selectorIN6thrust23THRUST_200600_302600_NS5tupleIblNS6_9null_typeES8_S8_S8_S8_S8_S8_S8_EEEEZNS1_11reduce_implILb1ES3_NS6_12zip_iteratorINS7_INS6_11hip_rocprim26transform_input_iterator_tIbNSD_35transform_pair_of_input_iterators_tIbNS6_6detail15normal_iteratorINS6_10device_ptrIKfEEEESL_NS6_8equal_toIfEEEENSG_9not_fun_tINSD_8identityEEEEENSD_19counting_iterator_tIlEES8_S8_S8_S8_S8_S8_S8_S8_EEEEPS9_S9_NSD_9__find_if7functorIS9_EEEE10hipError_tPvRmT1_T2_T3_mT4_P12ihipStream_tbEUlT_E0_NS1_11comp_targetILNS1_3genE2ELNS1_11target_archE906ELNS1_3gpuE6ELNS1_3repE0EEENS1_30default_config_static_selectorELNS0_4arch9wavefront6targetE0EEEvS14_.num_named_barrier, 0
	.set _ZN7rocprim17ROCPRIM_400000_NS6detail17trampoline_kernelINS0_14default_configENS1_22reduce_config_selectorIN6thrust23THRUST_200600_302600_NS5tupleIblNS6_9null_typeES8_S8_S8_S8_S8_S8_S8_EEEEZNS1_11reduce_implILb1ES3_NS6_12zip_iteratorINS7_INS6_11hip_rocprim26transform_input_iterator_tIbNSD_35transform_pair_of_input_iterators_tIbNS6_6detail15normal_iteratorINS6_10device_ptrIKfEEEESL_NS6_8equal_toIfEEEENSG_9not_fun_tINSD_8identityEEEEENSD_19counting_iterator_tIlEES8_S8_S8_S8_S8_S8_S8_S8_EEEEPS9_S9_NSD_9__find_if7functorIS9_EEEE10hipError_tPvRmT1_T2_T3_mT4_P12ihipStream_tbEUlT_E0_NS1_11comp_targetILNS1_3genE2ELNS1_11target_archE906ELNS1_3gpuE6ELNS1_3repE0EEENS1_30default_config_static_selectorELNS0_4arch9wavefront6targetE0EEEvS14_.private_seg_size, 0
	.set _ZN7rocprim17ROCPRIM_400000_NS6detail17trampoline_kernelINS0_14default_configENS1_22reduce_config_selectorIN6thrust23THRUST_200600_302600_NS5tupleIblNS6_9null_typeES8_S8_S8_S8_S8_S8_S8_EEEEZNS1_11reduce_implILb1ES3_NS6_12zip_iteratorINS7_INS6_11hip_rocprim26transform_input_iterator_tIbNSD_35transform_pair_of_input_iterators_tIbNS6_6detail15normal_iteratorINS6_10device_ptrIKfEEEESL_NS6_8equal_toIfEEEENSG_9not_fun_tINSD_8identityEEEEENSD_19counting_iterator_tIlEES8_S8_S8_S8_S8_S8_S8_S8_EEEEPS9_S9_NSD_9__find_if7functorIS9_EEEE10hipError_tPvRmT1_T2_T3_mT4_P12ihipStream_tbEUlT_E0_NS1_11comp_targetILNS1_3genE2ELNS1_11target_archE906ELNS1_3gpuE6ELNS1_3repE0EEENS1_30default_config_static_selectorELNS0_4arch9wavefront6targetE0EEEvS14_.uses_vcc, 0
	.set _ZN7rocprim17ROCPRIM_400000_NS6detail17trampoline_kernelINS0_14default_configENS1_22reduce_config_selectorIN6thrust23THRUST_200600_302600_NS5tupleIblNS6_9null_typeES8_S8_S8_S8_S8_S8_S8_EEEEZNS1_11reduce_implILb1ES3_NS6_12zip_iteratorINS7_INS6_11hip_rocprim26transform_input_iterator_tIbNSD_35transform_pair_of_input_iterators_tIbNS6_6detail15normal_iteratorINS6_10device_ptrIKfEEEESL_NS6_8equal_toIfEEEENSG_9not_fun_tINSD_8identityEEEEENSD_19counting_iterator_tIlEES8_S8_S8_S8_S8_S8_S8_S8_EEEEPS9_S9_NSD_9__find_if7functorIS9_EEEE10hipError_tPvRmT1_T2_T3_mT4_P12ihipStream_tbEUlT_E0_NS1_11comp_targetILNS1_3genE2ELNS1_11target_archE906ELNS1_3gpuE6ELNS1_3repE0EEENS1_30default_config_static_selectorELNS0_4arch9wavefront6targetE0EEEvS14_.uses_flat_scratch, 0
	.set _ZN7rocprim17ROCPRIM_400000_NS6detail17trampoline_kernelINS0_14default_configENS1_22reduce_config_selectorIN6thrust23THRUST_200600_302600_NS5tupleIblNS6_9null_typeES8_S8_S8_S8_S8_S8_S8_EEEEZNS1_11reduce_implILb1ES3_NS6_12zip_iteratorINS7_INS6_11hip_rocprim26transform_input_iterator_tIbNSD_35transform_pair_of_input_iterators_tIbNS6_6detail15normal_iteratorINS6_10device_ptrIKfEEEESL_NS6_8equal_toIfEEEENSG_9not_fun_tINSD_8identityEEEEENSD_19counting_iterator_tIlEES8_S8_S8_S8_S8_S8_S8_S8_EEEEPS9_S9_NSD_9__find_if7functorIS9_EEEE10hipError_tPvRmT1_T2_T3_mT4_P12ihipStream_tbEUlT_E0_NS1_11comp_targetILNS1_3genE2ELNS1_11target_archE906ELNS1_3gpuE6ELNS1_3repE0EEENS1_30default_config_static_selectorELNS0_4arch9wavefront6targetE0EEEvS14_.has_dyn_sized_stack, 0
	.set _ZN7rocprim17ROCPRIM_400000_NS6detail17trampoline_kernelINS0_14default_configENS1_22reduce_config_selectorIN6thrust23THRUST_200600_302600_NS5tupleIblNS6_9null_typeES8_S8_S8_S8_S8_S8_S8_EEEEZNS1_11reduce_implILb1ES3_NS6_12zip_iteratorINS7_INS6_11hip_rocprim26transform_input_iterator_tIbNSD_35transform_pair_of_input_iterators_tIbNS6_6detail15normal_iteratorINS6_10device_ptrIKfEEEESL_NS6_8equal_toIfEEEENSG_9not_fun_tINSD_8identityEEEEENSD_19counting_iterator_tIlEES8_S8_S8_S8_S8_S8_S8_S8_EEEEPS9_S9_NSD_9__find_if7functorIS9_EEEE10hipError_tPvRmT1_T2_T3_mT4_P12ihipStream_tbEUlT_E0_NS1_11comp_targetILNS1_3genE2ELNS1_11target_archE906ELNS1_3gpuE6ELNS1_3repE0EEENS1_30default_config_static_selectorELNS0_4arch9wavefront6targetE0EEEvS14_.has_recursion, 0
	.set _ZN7rocprim17ROCPRIM_400000_NS6detail17trampoline_kernelINS0_14default_configENS1_22reduce_config_selectorIN6thrust23THRUST_200600_302600_NS5tupleIblNS6_9null_typeES8_S8_S8_S8_S8_S8_S8_EEEEZNS1_11reduce_implILb1ES3_NS6_12zip_iteratorINS7_INS6_11hip_rocprim26transform_input_iterator_tIbNSD_35transform_pair_of_input_iterators_tIbNS6_6detail15normal_iteratorINS6_10device_ptrIKfEEEESL_NS6_8equal_toIfEEEENSG_9not_fun_tINSD_8identityEEEEENSD_19counting_iterator_tIlEES8_S8_S8_S8_S8_S8_S8_S8_EEEEPS9_S9_NSD_9__find_if7functorIS9_EEEE10hipError_tPvRmT1_T2_T3_mT4_P12ihipStream_tbEUlT_E0_NS1_11comp_targetILNS1_3genE2ELNS1_11target_archE906ELNS1_3gpuE6ELNS1_3repE0EEENS1_30default_config_static_selectorELNS0_4arch9wavefront6targetE0EEEvS14_.has_indirect_call, 0
	.section	.AMDGPU.csdata,"",@progbits
; Kernel info:
; codeLenInByte = 0
; TotalNumSgprs: 0
; NumVgprs: 0
; ScratchSize: 0
; MemoryBound: 0
; FloatMode: 240
; IeeeMode: 1
; LDSByteSize: 0 bytes/workgroup (compile time only)
; SGPRBlocks: 0
; VGPRBlocks: 0
; NumSGPRsForWavesPerEU: 1
; NumVGPRsForWavesPerEU: 1
; NamedBarCnt: 0
; Occupancy: 16
; WaveLimiterHint : 0
; COMPUTE_PGM_RSRC2:SCRATCH_EN: 0
; COMPUTE_PGM_RSRC2:USER_SGPR: 2
; COMPUTE_PGM_RSRC2:TRAP_HANDLER: 0
; COMPUTE_PGM_RSRC2:TGID_X_EN: 1
; COMPUTE_PGM_RSRC2:TGID_Y_EN: 0
; COMPUTE_PGM_RSRC2:TGID_Z_EN: 0
; COMPUTE_PGM_RSRC2:TIDIG_COMP_CNT: 0
	.section	.text._ZN7rocprim17ROCPRIM_400000_NS6detail17trampoline_kernelINS0_14default_configENS1_22reduce_config_selectorIN6thrust23THRUST_200600_302600_NS5tupleIblNS6_9null_typeES8_S8_S8_S8_S8_S8_S8_EEEEZNS1_11reduce_implILb1ES3_NS6_12zip_iteratorINS7_INS6_11hip_rocprim26transform_input_iterator_tIbNSD_35transform_pair_of_input_iterators_tIbNS6_6detail15normal_iteratorINS6_10device_ptrIKfEEEESL_NS6_8equal_toIfEEEENSG_9not_fun_tINSD_8identityEEEEENSD_19counting_iterator_tIlEES8_S8_S8_S8_S8_S8_S8_S8_EEEEPS9_S9_NSD_9__find_if7functorIS9_EEEE10hipError_tPvRmT1_T2_T3_mT4_P12ihipStream_tbEUlT_E0_NS1_11comp_targetILNS1_3genE10ELNS1_11target_archE1201ELNS1_3gpuE5ELNS1_3repE0EEENS1_30default_config_static_selectorELNS0_4arch9wavefront6targetE0EEEvS14_,"axG",@progbits,_ZN7rocprim17ROCPRIM_400000_NS6detail17trampoline_kernelINS0_14default_configENS1_22reduce_config_selectorIN6thrust23THRUST_200600_302600_NS5tupleIblNS6_9null_typeES8_S8_S8_S8_S8_S8_S8_EEEEZNS1_11reduce_implILb1ES3_NS6_12zip_iteratorINS7_INS6_11hip_rocprim26transform_input_iterator_tIbNSD_35transform_pair_of_input_iterators_tIbNS6_6detail15normal_iteratorINS6_10device_ptrIKfEEEESL_NS6_8equal_toIfEEEENSG_9not_fun_tINSD_8identityEEEEENSD_19counting_iterator_tIlEES8_S8_S8_S8_S8_S8_S8_S8_EEEEPS9_S9_NSD_9__find_if7functorIS9_EEEE10hipError_tPvRmT1_T2_T3_mT4_P12ihipStream_tbEUlT_E0_NS1_11comp_targetILNS1_3genE10ELNS1_11target_archE1201ELNS1_3gpuE5ELNS1_3repE0EEENS1_30default_config_static_selectorELNS0_4arch9wavefront6targetE0EEEvS14_,comdat
	.protected	_ZN7rocprim17ROCPRIM_400000_NS6detail17trampoline_kernelINS0_14default_configENS1_22reduce_config_selectorIN6thrust23THRUST_200600_302600_NS5tupleIblNS6_9null_typeES8_S8_S8_S8_S8_S8_S8_EEEEZNS1_11reduce_implILb1ES3_NS6_12zip_iteratorINS7_INS6_11hip_rocprim26transform_input_iterator_tIbNSD_35transform_pair_of_input_iterators_tIbNS6_6detail15normal_iteratorINS6_10device_ptrIKfEEEESL_NS6_8equal_toIfEEEENSG_9not_fun_tINSD_8identityEEEEENSD_19counting_iterator_tIlEES8_S8_S8_S8_S8_S8_S8_S8_EEEEPS9_S9_NSD_9__find_if7functorIS9_EEEE10hipError_tPvRmT1_T2_T3_mT4_P12ihipStream_tbEUlT_E0_NS1_11comp_targetILNS1_3genE10ELNS1_11target_archE1201ELNS1_3gpuE5ELNS1_3repE0EEENS1_30default_config_static_selectorELNS0_4arch9wavefront6targetE0EEEvS14_ ; -- Begin function _ZN7rocprim17ROCPRIM_400000_NS6detail17trampoline_kernelINS0_14default_configENS1_22reduce_config_selectorIN6thrust23THRUST_200600_302600_NS5tupleIblNS6_9null_typeES8_S8_S8_S8_S8_S8_S8_EEEEZNS1_11reduce_implILb1ES3_NS6_12zip_iteratorINS7_INS6_11hip_rocprim26transform_input_iterator_tIbNSD_35transform_pair_of_input_iterators_tIbNS6_6detail15normal_iteratorINS6_10device_ptrIKfEEEESL_NS6_8equal_toIfEEEENSG_9not_fun_tINSD_8identityEEEEENSD_19counting_iterator_tIlEES8_S8_S8_S8_S8_S8_S8_S8_EEEEPS9_S9_NSD_9__find_if7functorIS9_EEEE10hipError_tPvRmT1_T2_T3_mT4_P12ihipStream_tbEUlT_E0_NS1_11comp_targetILNS1_3genE10ELNS1_11target_archE1201ELNS1_3gpuE5ELNS1_3repE0EEENS1_30default_config_static_selectorELNS0_4arch9wavefront6targetE0EEEvS14_
	.globl	_ZN7rocprim17ROCPRIM_400000_NS6detail17trampoline_kernelINS0_14default_configENS1_22reduce_config_selectorIN6thrust23THRUST_200600_302600_NS5tupleIblNS6_9null_typeES8_S8_S8_S8_S8_S8_S8_EEEEZNS1_11reduce_implILb1ES3_NS6_12zip_iteratorINS7_INS6_11hip_rocprim26transform_input_iterator_tIbNSD_35transform_pair_of_input_iterators_tIbNS6_6detail15normal_iteratorINS6_10device_ptrIKfEEEESL_NS6_8equal_toIfEEEENSG_9not_fun_tINSD_8identityEEEEENSD_19counting_iterator_tIlEES8_S8_S8_S8_S8_S8_S8_S8_EEEEPS9_S9_NSD_9__find_if7functorIS9_EEEE10hipError_tPvRmT1_T2_T3_mT4_P12ihipStream_tbEUlT_E0_NS1_11comp_targetILNS1_3genE10ELNS1_11target_archE1201ELNS1_3gpuE5ELNS1_3repE0EEENS1_30default_config_static_selectorELNS0_4arch9wavefront6targetE0EEEvS14_
	.p2align	8
	.type	_ZN7rocprim17ROCPRIM_400000_NS6detail17trampoline_kernelINS0_14default_configENS1_22reduce_config_selectorIN6thrust23THRUST_200600_302600_NS5tupleIblNS6_9null_typeES8_S8_S8_S8_S8_S8_S8_EEEEZNS1_11reduce_implILb1ES3_NS6_12zip_iteratorINS7_INS6_11hip_rocprim26transform_input_iterator_tIbNSD_35transform_pair_of_input_iterators_tIbNS6_6detail15normal_iteratorINS6_10device_ptrIKfEEEESL_NS6_8equal_toIfEEEENSG_9not_fun_tINSD_8identityEEEEENSD_19counting_iterator_tIlEES8_S8_S8_S8_S8_S8_S8_S8_EEEEPS9_S9_NSD_9__find_if7functorIS9_EEEE10hipError_tPvRmT1_T2_T3_mT4_P12ihipStream_tbEUlT_E0_NS1_11comp_targetILNS1_3genE10ELNS1_11target_archE1201ELNS1_3gpuE5ELNS1_3repE0EEENS1_30default_config_static_selectorELNS0_4arch9wavefront6targetE0EEEvS14_,@function
_ZN7rocprim17ROCPRIM_400000_NS6detail17trampoline_kernelINS0_14default_configENS1_22reduce_config_selectorIN6thrust23THRUST_200600_302600_NS5tupleIblNS6_9null_typeES8_S8_S8_S8_S8_S8_S8_EEEEZNS1_11reduce_implILb1ES3_NS6_12zip_iteratorINS7_INS6_11hip_rocprim26transform_input_iterator_tIbNSD_35transform_pair_of_input_iterators_tIbNS6_6detail15normal_iteratorINS6_10device_ptrIKfEEEESL_NS6_8equal_toIfEEEENSG_9not_fun_tINSD_8identityEEEEENSD_19counting_iterator_tIlEES8_S8_S8_S8_S8_S8_S8_S8_EEEEPS9_S9_NSD_9__find_if7functorIS9_EEEE10hipError_tPvRmT1_T2_T3_mT4_P12ihipStream_tbEUlT_E0_NS1_11comp_targetILNS1_3genE10ELNS1_11target_archE1201ELNS1_3gpuE5ELNS1_3repE0EEENS1_30default_config_static_selectorELNS0_4arch9wavefront6targetE0EEEvS14_: ; @_ZN7rocprim17ROCPRIM_400000_NS6detail17trampoline_kernelINS0_14default_configENS1_22reduce_config_selectorIN6thrust23THRUST_200600_302600_NS5tupleIblNS6_9null_typeES8_S8_S8_S8_S8_S8_S8_EEEEZNS1_11reduce_implILb1ES3_NS6_12zip_iteratorINS7_INS6_11hip_rocprim26transform_input_iterator_tIbNSD_35transform_pair_of_input_iterators_tIbNS6_6detail15normal_iteratorINS6_10device_ptrIKfEEEESL_NS6_8equal_toIfEEEENSG_9not_fun_tINSD_8identityEEEEENSD_19counting_iterator_tIlEES8_S8_S8_S8_S8_S8_S8_S8_EEEEPS9_S9_NSD_9__find_if7functorIS9_EEEE10hipError_tPvRmT1_T2_T3_mT4_P12ihipStream_tbEUlT_E0_NS1_11comp_targetILNS1_3genE10ELNS1_11target_archE1201ELNS1_3gpuE5ELNS1_3repE0EEENS1_30default_config_static_selectorELNS0_4arch9wavefront6targetE0EEEvS14_
; %bb.0:
	.section	.rodata,"a",@progbits
	.p2align	6, 0x0
	.amdhsa_kernel _ZN7rocprim17ROCPRIM_400000_NS6detail17trampoline_kernelINS0_14default_configENS1_22reduce_config_selectorIN6thrust23THRUST_200600_302600_NS5tupleIblNS6_9null_typeES8_S8_S8_S8_S8_S8_S8_EEEEZNS1_11reduce_implILb1ES3_NS6_12zip_iteratorINS7_INS6_11hip_rocprim26transform_input_iterator_tIbNSD_35transform_pair_of_input_iterators_tIbNS6_6detail15normal_iteratorINS6_10device_ptrIKfEEEESL_NS6_8equal_toIfEEEENSG_9not_fun_tINSD_8identityEEEEENSD_19counting_iterator_tIlEES8_S8_S8_S8_S8_S8_S8_S8_EEEEPS9_S9_NSD_9__find_if7functorIS9_EEEE10hipError_tPvRmT1_T2_T3_mT4_P12ihipStream_tbEUlT_E0_NS1_11comp_targetILNS1_3genE10ELNS1_11target_archE1201ELNS1_3gpuE5ELNS1_3repE0EEENS1_30default_config_static_selectorELNS0_4arch9wavefront6targetE0EEEvS14_
		.amdhsa_group_segment_fixed_size 0
		.amdhsa_private_segment_fixed_size 0
		.amdhsa_kernarg_size 104
		.amdhsa_user_sgpr_count 2
		.amdhsa_user_sgpr_dispatch_ptr 0
		.amdhsa_user_sgpr_queue_ptr 0
		.amdhsa_user_sgpr_kernarg_segment_ptr 1
		.amdhsa_user_sgpr_dispatch_id 0
		.amdhsa_user_sgpr_kernarg_preload_length 0
		.amdhsa_user_sgpr_kernarg_preload_offset 0
		.amdhsa_user_sgpr_private_segment_size 0
		.amdhsa_wavefront_size32 1
		.amdhsa_uses_dynamic_stack 0
		.amdhsa_enable_private_segment 0
		.amdhsa_system_sgpr_workgroup_id_x 1
		.amdhsa_system_sgpr_workgroup_id_y 0
		.amdhsa_system_sgpr_workgroup_id_z 0
		.amdhsa_system_sgpr_workgroup_info 0
		.amdhsa_system_vgpr_workitem_id 0
		.amdhsa_next_free_vgpr 1
		.amdhsa_next_free_sgpr 1
		.amdhsa_named_barrier_count 0
		.amdhsa_reserve_vcc 0
		.amdhsa_float_round_mode_32 0
		.amdhsa_float_round_mode_16_64 0
		.amdhsa_float_denorm_mode_32 3
		.amdhsa_float_denorm_mode_16_64 3
		.amdhsa_fp16_overflow 0
		.amdhsa_memory_ordered 1
		.amdhsa_forward_progress 1
		.amdhsa_inst_pref_size 0
		.amdhsa_round_robin_scheduling 0
		.amdhsa_exception_fp_ieee_invalid_op 0
		.amdhsa_exception_fp_denorm_src 0
		.amdhsa_exception_fp_ieee_div_zero 0
		.amdhsa_exception_fp_ieee_overflow 0
		.amdhsa_exception_fp_ieee_underflow 0
		.amdhsa_exception_fp_ieee_inexact 0
		.amdhsa_exception_int_div_zero 0
	.end_amdhsa_kernel
	.section	.text._ZN7rocprim17ROCPRIM_400000_NS6detail17trampoline_kernelINS0_14default_configENS1_22reduce_config_selectorIN6thrust23THRUST_200600_302600_NS5tupleIblNS6_9null_typeES8_S8_S8_S8_S8_S8_S8_EEEEZNS1_11reduce_implILb1ES3_NS6_12zip_iteratorINS7_INS6_11hip_rocprim26transform_input_iterator_tIbNSD_35transform_pair_of_input_iterators_tIbNS6_6detail15normal_iteratorINS6_10device_ptrIKfEEEESL_NS6_8equal_toIfEEEENSG_9not_fun_tINSD_8identityEEEEENSD_19counting_iterator_tIlEES8_S8_S8_S8_S8_S8_S8_S8_EEEEPS9_S9_NSD_9__find_if7functorIS9_EEEE10hipError_tPvRmT1_T2_T3_mT4_P12ihipStream_tbEUlT_E0_NS1_11comp_targetILNS1_3genE10ELNS1_11target_archE1201ELNS1_3gpuE5ELNS1_3repE0EEENS1_30default_config_static_selectorELNS0_4arch9wavefront6targetE0EEEvS14_,"axG",@progbits,_ZN7rocprim17ROCPRIM_400000_NS6detail17trampoline_kernelINS0_14default_configENS1_22reduce_config_selectorIN6thrust23THRUST_200600_302600_NS5tupleIblNS6_9null_typeES8_S8_S8_S8_S8_S8_S8_EEEEZNS1_11reduce_implILb1ES3_NS6_12zip_iteratorINS7_INS6_11hip_rocprim26transform_input_iterator_tIbNSD_35transform_pair_of_input_iterators_tIbNS6_6detail15normal_iteratorINS6_10device_ptrIKfEEEESL_NS6_8equal_toIfEEEENSG_9not_fun_tINSD_8identityEEEEENSD_19counting_iterator_tIlEES8_S8_S8_S8_S8_S8_S8_S8_EEEEPS9_S9_NSD_9__find_if7functorIS9_EEEE10hipError_tPvRmT1_T2_T3_mT4_P12ihipStream_tbEUlT_E0_NS1_11comp_targetILNS1_3genE10ELNS1_11target_archE1201ELNS1_3gpuE5ELNS1_3repE0EEENS1_30default_config_static_selectorELNS0_4arch9wavefront6targetE0EEEvS14_,comdat
.Lfunc_end82:
	.size	_ZN7rocprim17ROCPRIM_400000_NS6detail17trampoline_kernelINS0_14default_configENS1_22reduce_config_selectorIN6thrust23THRUST_200600_302600_NS5tupleIblNS6_9null_typeES8_S8_S8_S8_S8_S8_S8_EEEEZNS1_11reduce_implILb1ES3_NS6_12zip_iteratorINS7_INS6_11hip_rocprim26transform_input_iterator_tIbNSD_35transform_pair_of_input_iterators_tIbNS6_6detail15normal_iteratorINS6_10device_ptrIKfEEEESL_NS6_8equal_toIfEEEENSG_9not_fun_tINSD_8identityEEEEENSD_19counting_iterator_tIlEES8_S8_S8_S8_S8_S8_S8_S8_EEEEPS9_S9_NSD_9__find_if7functorIS9_EEEE10hipError_tPvRmT1_T2_T3_mT4_P12ihipStream_tbEUlT_E0_NS1_11comp_targetILNS1_3genE10ELNS1_11target_archE1201ELNS1_3gpuE5ELNS1_3repE0EEENS1_30default_config_static_selectorELNS0_4arch9wavefront6targetE0EEEvS14_, .Lfunc_end82-_ZN7rocprim17ROCPRIM_400000_NS6detail17trampoline_kernelINS0_14default_configENS1_22reduce_config_selectorIN6thrust23THRUST_200600_302600_NS5tupleIblNS6_9null_typeES8_S8_S8_S8_S8_S8_S8_EEEEZNS1_11reduce_implILb1ES3_NS6_12zip_iteratorINS7_INS6_11hip_rocprim26transform_input_iterator_tIbNSD_35transform_pair_of_input_iterators_tIbNS6_6detail15normal_iteratorINS6_10device_ptrIKfEEEESL_NS6_8equal_toIfEEEENSG_9not_fun_tINSD_8identityEEEEENSD_19counting_iterator_tIlEES8_S8_S8_S8_S8_S8_S8_S8_EEEEPS9_S9_NSD_9__find_if7functorIS9_EEEE10hipError_tPvRmT1_T2_T3_mT4_P12ihipStream_tbEUlT_E0_NS1_11comp_targetILNS1_3genE10ELNS1_11target_archE1201ELNS1_3gpuE5ELNS1_3repE0EEENS1_30default_config_static_selectorELNS0_4arch9wavefront6targetE0EEEvS14_
                                        ; -- End function
	.set _ZN7rocprim17ROCPRIM_400000_NS6detail17trampoline_kernelINS0_14default_configENS1_22reduce_config_selectorIN6thrust23THRUST_200600_302600_NS5tupleIblNS6_9null_typeES8_S8_S8_S8_S8_S8_S8_EEEEZNS1_11reduce_implILb1ES3_NS6_12zip_iteratorINS7_INS6_11hip_rocprim26transform_input_iterator_tIbNSD_35transform_pair_of_input_iterators_tIbNS6_6detail15normal_iteratorINS6_10device_ptrIKfEEEESL_NS6_8equal_toIfEEEENSG_9not_fun_tINSD_8identityEEEEENSD_19counting_iterator_tIlEES8_S8_S8_S8_S8_S8_S8_S8_EEEEPS9_S9_NSD_9__find_if7functorIS9_EEEE10hipError_tPvRmT1_T2_T3_mT4_P12ihipStream_tbEUlT_E0_NS1_11comp_targetILNS1_3genE10ELNS1_11target_archE1201ELNS1_3gpuE5ELNS1_3repE0EEENS1_30default_config_static_selectorELNS0_4arch9wavefront6targetE0EEEvS14_.num_vgpr, 0
	.set _ZN7rocprim17ROCPRIM_400000_NS6detail17trampoline_kernelINS0_14default_configENS1_22reduce_config_selectorIN6thrust23THRUST_200600_302600_NS5tupleIblNS6_9null_typeES8_S8_S8_S8_S8_S8_S8_EEEEZNS1_11reduce_implILb1ES3_NS6_12zip_iteratorINS7_INS6_11hip_rocprim26transform_input_iterator_tIbNSD_35transform_pair_of_input_iterators_tIbNS6_6detail15normal_iteratorINS6_10device_ptrIKfEEEESL_NS6_8equal_toIfEEEENSG_9not_fun_tINSD_8identityEEEEENSD_19counting_iterator_tIlEES8_S8_S8_S8_S8_S8_S8_S8_EEEEPS9_S9_NSD_9__find_if7functorIS9_EEEE10hipError_tPvRmT1_T2_T3_mT4_P12ihipStream_tbEUlT_E0_NS1_11comp_targetILNS1_3genE10ELNS1_11target_archE1201ELNS1_3gpuE5ELNS1_3repE0EEENS1_30default_config_static_selectorELNS0_4arch9wavefront6targetE0EEEvS14_.num_agpr, 0
	.set _ZN7rocprim17ROCPRIM_400000_NS6detail17trampoline_kernelINS0_14default_configENS1_22reduce_config_selectorIN6thrust23THRUST_200600_302600_NS5tupleIblNS6_9null_typeES8_S8_S8_S8_S8_S8_S8_EEEEZNS1_11reduce_implILb1ES3_NS6_12zip_iteratorINS7_INS6_11hip_rocprim26transform_input_iterator_tIbNSD_35transform_pair_of_input_iterators_tIbNS6_6detail15normal_iteratorINS6_10device_ptrIKfEEEESL_NS6_8equal_toIfEEEENSG_9not_fun_tINSD_8identityEEEEENSD_19counting_iterator_tIlEES8_S8_S8_S8_S8_S8_S8_S8_EEEEPS9_S9_NSD_9__find_if7functorIS9_EEEE10hipError_tPvRmT1_T2_T3_mT4_P12ihipStream_tbEUlT_E0_NS1_11comp_targetILNS1_3genE10ELNS1_11target_archE1201ELNS1_3gpuE5ELNS1_3repE0EEENS1_30default_config_static_selectorELNS0_4arch9wavefront6targetE0EEEvS14_.numbered_sgpr, 0
	.set _ZN7rocprim17ROCPRIM_400000_NS6detail17trampoline_kernelINS0_14default_configENS1_22reduce_config_selectorIN6thrust23THRUST_200600_302600_NS5tupleIblNS6_9null_typeES8_S8_S8_S8_S8_S8_S8_EEEEZNS1_11reduce_implILb1ES3_NS6_12zip_iteratorINS7_INS6_11hip_rocprim26transform_input_iterator_tIbNSD_35transform_pair_of_input_iterators_tIbNS6_6detail15normal_iteratorINS6_10device_ptrIKfEEEESL_NS6_8equal_toIfEEEENSG_9not_fun_tINSD_8identityEEEEENSD_19counting_iterator_tIlEES8_S8_S8_S8_S8_S8_S8_S8_EEEEPS9_S9_NSD_9__find_if7functorIS9_EEEE10hipError_tPvRmT1_T2_T3_mT4_P12ihipStream_tbEUlT_E0_NS1_11comp_targetILNS1_3genE10ELNS1_11target_archE1201ELNS1_3gpuE5ELNS1_3repE0EEENS1_30default_config_static_selectorELNS0_4arch9wavefront6targetE0EEEvS14_.num_named_barrier, 0
	.set _ZN7rocprim17ROCPRIM_400000_NS6detail17trampoline_kernelINS0_14default_configENS1_22reduce_config_selectorIN6thrust23THRUST_200600_302600_NS5tupleIblNS6_9null_typeES8_S8_S8_S8_S8_S8_S8_EEEEZNS1_11reduce_implILb1ES3_NS6_12zip_iteratorINS7_INS6_11hip_rocprim26transform_input_iterator_tIbNSD_35transform_pair_of_input_iterators_tIbNS6_6detail15normal_iteratorINS6_10device_ptrIKfEEEESL_NS6_8equal_toIfEEEENSG_9not_fun_tINSD_8identityEEEEENSD_19counting_iterator_tIlEES8_S8_S8_S8_S8_S8_S8_S8_EEEEPS9_S9_NSD_9__find_if7functorIS9_EEEE10hipError_tPvRmT1_T2_T3_mT4_P12ihipStream_tbEUlT_E0_NS1_11comp_targetILNS1_3genE10ELNS1_11target_archE1201ELNS1_3gpuE5ELNS1_3repE0EEENS1_30default_config_static_selectorELNS0_4arch9wavefront6targetE0EEEvS14_.private_seg_size, 0
	.set _ZN7rocprim17ROCPRIM_400000_NS6detail17trampoline_kernelINS0_14default_configENS1_22reduce_config_selectorIN6thrust23THRUST_200600_302600_NS5tupleIblNS6_9null_typeES8_S8_S8_S8_S8_S8_S8_EEEEZNS1_11reduce_implILb1ES3_NS6_12zip_iteratorINS7_INS6_11hip_rocprim26transform_input_iterator_tIbNSD_35transform_pair_of_input_iterators_tIbNS6_6detail15normal_iteratorINS6_10device_ptrIKfEEEESL_NS6_8equal_toIfEEEENSG_9not_fun_tINSD_8identityEEEEENSD_19counting_iterator_tIlEES8_S8_S8_S8_S8_S8_S8_S8_EEEEPS9_S9_NSD_9__find_if7functorIS9_EEEE10hipError_tPvRmT1_T2_T3_mT4_P12ihipStream_tbEUlT_E0_NS1_11comp_targetILNS1_3genE10ELNS1_11target_archE1201ELNS1_3gpuE5ELNS1_3repE0EEENS1_30default_config_static_selectorELNS0_4arch9wavefront6targetE0EEEvS14_.uses_vcc, 0
	.set _ZN7rocprim17ROCPRIM_400000_NS6detail17trampoline_kernelINS0_14default_configENS1_22reduce_config_selectorIN6thrust23THRUST_200600_302600_NS5tupleIblNS6_9null_typeES8_S8_S8_S8_S8_S8_S8_EEEEZNS1_11reduce_implILb1ES3_NS6_12zip_iteratorINS7_INS6_11hip_rocprim26transform_input_iterator_tIbNSD_35transform_pair_of_input_iterators_tIbNS6_6detail15normal_iteratorINS6_10device_ptrIKfEEEESL_NS6_8equal_toIfEEEENSG_9not_fun_tINSD_8identityEEEEENSD_19counting_iterator_tIlEES8_S8_S8_S8_S8_S8_S8_S8_EEEEPS9_S9_NSD_9__find_if7functorIS9_EEEE10hipError_tPvRmT1_T2_T3_mT4_P12ihipStream_tbEUlT_E0_NS1_11comp_targetILNS1_3genE10ELNS1_11target_archE1201ELNS1_3gpuE5ELNS1_3repE0EEENS1_30default_config_static_selectorELNS0_4arch9wavefront6targetE0EEEvS14_.uses_flat_scratch, 0
	.set _ZN7rocprim17ROCPRIM_400000_NS6detail17trampoline_kernelINS0_14default_configENS1_22reduce_config_selectorIN6thrust23THRUST_200600_302600_NS5tupleIblNS6_9null_typeES8_S8_S8_S8_S8_S8_S8_EEEEZNS1_11reduce_implILb1ES3_NS6_12zip_iteratorINS7_INS6_11hip_rocprim26transform_input_iterator_tIbNSD_35transform_pair_of_input_iterators_tIbNS6_6detail15normal_iteratorINS6_10device_ptrIKfEEEESL_NS6_8equal_toIfEEEENSG_9not_fun_tINSD_8identityEEEEENSD_19counting_iterator_tIlEES8_S8_S8_S8_S8_S8_S8_S8_EEEEPS9_S9_NSD_9__find_if7functorIS9_EEEE10hipError_tPvRmT1_T2_T3_mT4_P12ihipStream_tbEUlT_E0_NS1_11comp_targetILNS1_3genE10ELNS1_11target_archE1201ELNS1_3gpuE5ELNS1_3repE0EEENS1_30default_config_static_selectorELNS0_4arch9wavefront6targetE0EEEvS14_.has_dyn_sized_stack, 0
	.set _ZN7rocprim17ROCPRIM_400000_NS6detail17trampoline_kernelINS0_14default_configENS1_22reduce_config_selectorIN6thrust23THRUST_200600_302600_NS5tupleIblNS6_9null_typeES8_S8_S8_S8_S8_S8_S8_EEEEZNS1_11reduce_implILb1ES3_NS6_12zip_iteratorINS7_INS6_11hip_rocprim26transform_input_iterator_tIbNSD_35transform_pair_of_input_iterators_tIbNS6_6detail15normal_iteratorINS6_10device_ptrIKfEEEESL_NS6_8equal_toIfEEEENSG_9not_fun_tINSD_8identityEEEEENSD_19counting_iterator_tIlEES8_S8_S8_S8_S8_S8_S8_S8_EEEEPS9_S9_NSD_9__find_if7functorIS9_EEEE10hipError_tPvRmT1_T2_T3_mT4_P12ihipStream_tbEUlT_E0_NS1_11comp_targetILNS1_3genE10ELNS1_11target_archE1201ELNS1_3gpuE5ELNS1_3repE0EEENS1_30default_config_static_selectorELNS0_4arch9wavefront6targetE0EEEvS14_.has_recursion, 0
	.set _ZN7rocprim17ROCPRIM_400000_NS6detail17trampoline_kernelINS0_14default_configENS1_22reduce_config_selectorIN6thrust23THRUST_200600_302600_NS5tupleIblNS6_9null_typeES8_S8_S8_S8_S8_S8_S8_EEEEZNS1_11reduce_implILb1ES3_NS6_12zip_iteratorINS7_INS6_11hip_rocprim26transform_input_iterator_tIbNSD_35transform_pair_of_input_iterators_tIbNS6_6detail15normal_iteratorINS6_10device_ptrIKfEEEESL_NS6_8equal_toIfEEEENSG_9not_fun_tINSD_8identityEEEEENSD_19counting_iterator_tIlEES8_S8_S8_S8_S8_S8_S8_S8_EEEEPS9_S9_NSD_9__find_if7functorIS9_EEEE10hipError_tPvRmT1_T2_T3_mT4_P12ihipStream_tbEUlT_E0_NS1_11comp_targetILNS1_3genE10ELNS1_11target_archE1201ELNS1_3gpuE5ELNS1_3repE0EEENS1_30default_config_static_selectorELNS0_4arch9wavefront6targetE0EEEvS14_.has_indirect_call, 0
	.section	.AMDGPU.csdata,"",@progbits
; Kernel info:
; codeLenInByte = 0
; TotalNumSgprs: 0
; NumVgprs: 0
; ScratchSize: 0
; MemoryBound: 0
; FloatMode: 240
; IeeeMode: 1
; LDSByteSize: 0 bytes/workgroup (compile time only)
; SGPRBlocks: 0
; VGPRBlocks: 0
; NumSGPRsForWavesPerEU: 1
; NumVGPRsForWavesPerEU: 1
; NamedBarCnt: 0
; Occupancy: 16
; WaveLimiterHint : 0
; COMPUTE_PGM_RSRC2:SCRATCH_EN: 0
; COMPUTE_PGM_RSRC2:USER_SGPR: 2
; COMPUTE_PGM_RSRC2:TRAP_HANDLER: 0
; COMPUTE_PGM_RSRC2:TGID_X_EN: 1
; COMPUTE_PGM_RSRC2:TGID_Y_EN: 0
; COMPUTE_PGM_RSRC2:TGID_Z_EN: 0
; COMPUTE_PGM_RSRC2:TIDIG_COMP_CNT: 0
	.section	.text._ZN7rocprim17ROCPRIM_400000_NS6detail17trampoline_kernelINS0_14default_configENS1_22reduce_config_selectorIN6thrust23THRUST_200600_302600_NS5tupleIblNS6_9null_typeES8_S8_S8_S8_S8_S8_S8_EEEEZNS1_11reduce_implILb1ES3_NS6_12zip_iteratorINS7_INS6_11hip_rocprim26transform_input_iterator_tIbNSD_35transform_pair_of_input_iterators_tIbNS6_6detail15normal_iteratorINS6_10device_ptrIKfEEEESL_NS6_8equal_toIfEEEENSG_9not_fun_tINSD_8identityEEEEENSD_19counting_iterator_tIlEES8_S8_S8_S8_S8_S8_S8_S8_EEEEPS9_S9_NSD_9__find_if7functorIS9_EEEE10hipError_tPvRmT1_T2_T3_mT4_P12ihipStream_tbEUlT_E0_NS1_11comp_targetILNS1_3genE10ELNS1_11target_archE1200ELNS1_3gpuE4ELNS1_3repE0EEENS1_30default_config_static_selectorELNS0_4arch9wavefront6targetE0EEEvS14_,"axG",@progbits,_ZN7rocprim17ROCPRIM_400000_NS6detail17trampoline_kernelINS0_14default_configENS1_22reduce_config_selectorIN6thrust23THRUST_200600_302600_NS5tupleIblNS6_9null_typeES8_S8_S8_S8_S8_S8_S8_EEEEZNS1_11reduce_implILb1ES3_NS6_12zip_iteratorINS7_INS6_11hip_rocprim26transform_input_iterator_tIbNSD_35transform_pair_of_input_iterators_tIbNS6_6detail15normal_iteratorINS6_10device_ptrIKfEEEESL_NS6_8equal_toIfEEEENSG_9not_fun_tINSD_8identityEEEEENSD_19counting_iterator_tIlEES8_S8_S8_S8_S8_S8_S8_S8_EEEEPS9_S9_NSD_9__find_if7functorIS9_EEEE10hipError_tPvRmT1_T2_T3_mT4_P12ihipStream_tbEUlT_E0_NS1_11comp_targetILNS1_3genE10ELNS1_11target_archE1200ELNS1_3gpuE4ELNS1_3repE0EEENS1_30default_config_static_selectorELNS0_4arch9wavefront6targetE0EEEvS14_,comdat
	.protected	_ZN7rocprim17ROCPRIM_400000_NS6detail17trampoline_kernelINS0_14default_configENS1_22reduce_config_selectorIN6thrust23THRUST_200600_302600_NS5tupleIblNS6_9null_typeES8_S8_S8_S8_S8_S8_S8_EEEEZNS1_11reduce_implILb1ES3_NS6_12zip_iteratorINS7_INS6_11hip_rocprim26transform_input_iterator_tIbNSD_35transform_pair_of_input_iterators_tIbNS6_6detail15normal_iteratorINS6_10device_ptrIKfEEEESL_NS6_8equal_toIfEEEENSG_9not_fun_tINSD_8identityEEEEENSD_19counting_iterator_tIlEES8_S8_S8_S8_S8_S8_S8_S8_EEEEPS9_S9_NSD_9__find_if7functorIS9_EEEE10hipError_tPvRmT1_T2_T3_mT4_P12ihipStream_tbEUlT_E0_NS1_11comp_targetILNS1_3genE10ELNS1_11target_archE1200ELNS1_3gpuE4ELNS1_3repE0EEENS1_30default_config_static_selectorELNS0_4arch9wavefront6targetE0EEEvS14_ ; -- Begin function _ZN7rocprim17ROCPRIM_400000_NS6detail17trampoline_kernelINS0_14default_configENS1_22reduce_config_selectorIN6thrust23THRUST_200600_302600_NS5tupleIblNS6_9null_typeES8_S8_S8_S8_S8_S8_S8_EEEEZNS1_11reduce_implILb1ES3_NS6_12zip_iteratorINS7_INS6_11hip_rocprim26transform_input_iterator_tIbNSD_35transform_pair_of_input_iterators_tIbNS6_6detail15normal_iteratorINS6_10device_ptrIKfEEEESL_NS6_8equal_toIfEEEENSG_9not_fun_tINSD_8identityEEEEENSD_19counting_iterator_tIlEES8_S8_S8_S8_S8_S8_S8_S8_EEEEPS9_S9_NSD_9__find_if7functorIS9_EEEE10hipError_tPvRmT1_T2_T3_mT4_P12ihipStream_tbEUlT_E0_NS1_11comp_targetILNS1_3genE10ELNS1_11target_archE1200ELNS1_3gpuE4ELNS1_3repE0EEENS1_30default_config_static_selectorELNS0_4arch9wavefront6targetE0EEEvS14_
	.globl	_ZN7rocprim17ROCPRIM_400000_NS6detail17trampoline_kernelINS0_14default_configENS1_22reduce_config_selectorIN6thrust23THRUST_200600_302600_NS5tupleIblNS6_9null_typeES8_S8_S8_S8_S8_S8_S8_EEEEZNS1_11reduce_implILb1ES3_NS6_12zip_iteratorINS7_INS6_11hip_rocprim26transform_input_iterator_tIbNSD_35transform_pair_of_input_iterators_tIbNS6_6detail15normal_iteratorINS6_10device_ptrIKfEEEESL_NS6_8equal_toIfEEEENSG_9not_fun_tINSD_8identityEEEEENSD_19counting_iterator_tIlEES8_S8_S8_S8_S8_S8_S8_S8_EEEEPS9_S9_NSD_9__find_if7functorIS9_EEEE10hipError_tPvRmT1_T2_T3_mT4_P12ihipStream_tbEUlT_E0_NS1_11comp_targetILNS1_3genE10ELNS1_11target_archE1200ELNS1_3gpuE4ELNS1_3repE0EEENS1_30default_config_static_selectorELNS0_4arch9wavefront6targetE0EEEvS14_
	.p2align	8
	.type	_ZN7rocprim17ROCPRIM_400000_NS6detail17trampoline_kernelINS0_14default_configENS1_22reduce_config_selectorIN6thrust23THRUST_200600_302600_NS5tupleIblNS6_9null_typeES8_S8_S8_S8_S8_S8_S8_EEEEZNS1_11reduce_implILb1ES3_NS6_12zip_iteratorINS7_INS6_11hip_rocprim26transform_input_iterator_tIbNSD_35transform_pair_of_input_iterators_tIbNS6_6detail15normal_iteratorINS6_10device_ptrIKfEEEESL_NS6_8equal_toIfEEEENSG_9not_fun_tINSD_8identityEEEEENSD_19counting_iterator_tIlEES8_S8_S8_S8_S8_S8_S8_S8_EEEEPS9_S9_NSD_9__find_if7functorIS9_EEEE10hipError_tPvRmT1_T2_T3_mT4_P12ihipStream_tbEUlT_E0_NS1_11comp_targetILNS1_3genE10ELNS1_11target_archE1200ELNS1_3gpuE4ELNS1_3repE0EEENS1_30default_config_static_selectorELNS0_4arch9wavefront6targetE0EEEvS14_,@function
_ZN7rocprim17ROCPRIM_400000_NS6detail17trampoline_kernelINS0_14default_configENS1_22reduce_config_selectorIN6thrust23THRUST_200600_302600_NS5tupleIblNS6_9null_typeES8_S8_S8_S8_S8_S8_S8_EEEEZNS1_11reduce_implILb1ES3_NS6_12zip_iteratorINS7_INS6_11hip_rocprim26transform_input_iterator_tIbNSD_35transform_pair_of_input_iterators_tIbNS6_6detail15normal_iteratorINS6_10device_ptrIKfEEEESL_NS6_8equal_toIfEEEENSG_9not_fun_tINSD_8identityEEEEENSD_19counting_iterator_tIlEES8_S8_S8_S8_S8_S8_S8_S8_EEEEPS9_S9_NSD_9__find_if7functorIS9_EEEE10hipError_tPvRmT1_T2_T3_mT4_P12ihipStream_tbEUlT_E0_NS1_11comp_targetILNS1_3genE10ELNS1_11target_archE1200ELNS1_3gpuE4ELNS1_3repE0EEENS1_30default_config_static_selectorELNS0_4arch9wavefront6targetE0EEEvS14_: ; @_ZN7rocprim17ROCPRIM_400000_NS6detail17trampoline_kernelINS0_14default_configENS1_22reduce_config_selectorIN6thrust23THRUST_200600_302600_NS5tupleIblNS6_9null_typeES8_S8_S8_S8_S8_S8_S8_EEEEZNS1_11reduce_implILb1ES3_NS6_12zip_iteratorINS7_INS6_11hip_rocprim26transform_input_iterator_tIbNSD_35transform_pair_of_input_iterators_tIbNS6_6detail15normal_iteratorINS6_10device_ptrIKfEEEESL_NS6_8equal_toIfEEEENSG_9not_fun_tINSD_8identityEEEEENSD_19counting_iterator_tIlEES8_S8_S8_S8_S8_S8_S8_S8_EEEEPS9_S9_NSD_9__find_if7functorIS9_EEEE10hipError_tPvRmT1_T2_T3_mT4_P12ihipStream_tbEUlT_E0_NS1_11comp_targetILNS1_3genE10ELNS1_11target_archE1200ELNS1_3gpuE4ELNS1_3repE0EEENS1_30default_config_static_selectorELNS0_4arch9wavefront6targetE0EEEvS14_
; %bb.0:
	.section	.rodata,"a",@progbits
	.p2align	6, 0x0
	.amdhsa_kernel _ZN7rocprim17ROCPRIM_400000_NS6detail17trampoline_kernelINS0_14default_configENS1_22reduce_config_selectorIN6thrust23THRUST_200600_302600_NS5tupleIblNS6_9null_typeES8_S8_S8_S8_S8_S8_S8_EEEEZNS1_11reduce_implILb1ES3_NS6_12zip_iteratorINS7_INS6_11hip_rocprim26transform_input_iterator_tIbNSD_35transform_pair_of_input_iterators_tIbNS6_6detail15normal_iteratorINS6_10device_ptrIKfEEEESL_NS6_8equal_toIfEEEENSG_9not_fun_tINSD_8identityEEEEENSD_19counting_iterator_tIlEES8_S8_S8_S8_S8_S8_S8_S8_EEEEPS9_S9_NSD_9__find_if7functorIS9_EEEE10hipError_tPvRmT1_T2_T3_mT4_P12ihipStream_tbEUlT_E0_NS1_11comp_targetILNS1_3genE10ELNS1_11target_archE1200ELNS1_3gpuE4ELNS1_3repE0EEENS1_30default_config_static_selectorELNS0_4arch9wavefront6targetE0EEEvS14_
		.amdhsa_group_segment_fixed_size 0
		.amdhsa_private_segment_fixed_size 0
		.amdhsa_kernarg_size 104
		.amdhsa_user_sgpr_count 2
		.amdhsa_user_sgpr_dispatch_ptr 0
		.amdhsa_user_sgpr_queue_ptr 0
		.amdhsa_user_sgpr_kernarg_segment_ptr 1
		.amdhsa_user_sgpr_dispatch_id 0
		.amdhsa_user_sgpr_kernarg_preload_length 0
		.amdhsa_user_sgpr_kernarg_preload_offset 0
		.amdhsa_user_sgpr_private_segment_size 0
		.amdhsa_wavefront_size32 1
		.amdhsa_uses_dynamic_stack 0
		.amdhsa_enable_private_segment 0
		.amdhsa_system_sgpr_workgroup_id_x 1
		.amdhsa_system_sgpr_workgroup_id_y 0
		.amdhsa_system_sgpr_workgroup_id_z 0
		.amdhsa_system_sgpr_workgroup_info 0
		.amdhsa_system_vgpr_workitem_id 0
		.amdhsa_next_free_vgpr 1
		.amdhsa_next_free_sgpr 1
		.amdhsa_named_barrier_count 0
		.amdhsa_reserve_vcc 0
		.amdhsa_float_round_mode_32 0
		.amdhsa_float_round_mode_16_64 0
		.amdhsa_float_denorm_mode_32 3
		.amdhsa_float_denorm_mode_16_64 3
		.amdhsa_fp16_overflow 0
		.amdhsa_memory_ordered 1
		.amdhsa_forward_progress 1
		.amdhsa_inst_pref_size 0
		.amdhsa_round_robin_scheduling 0
		.amdhsa_exception_fp_ieee_invalid_op 0
		.amdhsa_exception_fp_denorm_src 0
		.amdhsa_exception_fp_ieee_div_zero 0
		.amdhsa_exception_fp_ieee_overflow 0
		.amdhsa_exception_fp_ieee_underflow 0
		.amdhsa_exception_fp_ieee_inexact 0
		.amdhsa_exception_int_div_zero 0
	.end_amdhsa_kernel
	.section	.text._ZN7rocprim17ROCPRIM_400000_NS6detail17trampoline_kernelINS0_14default_configENS1_22reduce_config_selectorIN6thrust23THRUST_200600_302600_NS5tupleIblNS6_9null_typeES8_S8_S8_S8_S8_S8_S8_EEEEZNS1_11reduce_implILb1ES3_NS6_12zip_iteratorINS7_INS6_11hip_rocprim26transform_input_iterator_tIbNSD_35transform_pair_of_input_iterators_tIbNS6_6detail15normal_iteratorINS6_10device_ptrIKfEEEESL_NS6_8equal_toIfEEEENSG_9not_fun_tINSD_8identityEEEEENSD_19counting_iterator_tIlEES8_S8_S8_S8_S8_S8_S8_S8_EEEEPS9_S9_NSD_9__find_if7functorIS9_EEEE10hipError_tPvRmT1_T2_T3_mT4_P12ihipStream_tbEUlT_E0_NS1_11comp_targetILNS1_3genE10ELNS1_11target_archE1200ELNS1_3gpuE4ELNS1_3repE0EEENS1_30default_config_static_selectorELNS0_4arch9wavefront6targetE0EEEvS14_,"axG",@progbits,_ZN7rocprim17ROCPRIM_400000_NS6detail17trampoline_kernelINS0_14default_configENS1_22reduce_config_selectorIN6thrust23THRUST_200600_302600_NS5tupleIblNS6_9null_typeES8_S8_S8_S8_S8_S8_S8_EEEEZNS1_11reduce_implILb1ES3_NS6_12zip_iteratorINS7_INS6_11hip_rocprim26transform_input_iterator_tIbNSD_35transform_pair_of_input_iterators_tIbNS6_6detail15normal_iteratorINS6_10device_ptrIKfEEEESL_NS6_8equal_toIfEEEENSG_9not_fun_tINSD_8identityEEEEENSD_19counting_iterator_tIlEES8_S8_S8_S8_S8_S8_S8_S8_EEEEPS9_S9_NSD_9__find_if7functorIS9_EEEE10hipError_tPvRmT1_T2_T3_mT4_P12ihipStream_tbEUlT_E0_NS1_11comp_targetILNS1_3genE10ELNS1_11target_archE1200ELNS1_3gpuE4ELNS1_3repE0EEENS1_30default_config_static_selectorELNS0_4arch9wavefront6targetE0EEEvS14_,comdat
.Lfunc_end83:
	.size	_ZN7rocprim17ROCPRIM_400000_NS6detail17trampoline_kernelINS0_14default_configENS1_22reduce_config_selectorIN6thrust23THRUST_200600_302600_NS5tupleIblNS6_9null_typeES8_S8_S8_S8_S8_S8_S8_EEEEZNS1_11reduce_implILb1ES3_NS6_12zip_iteratorINS7_INS6_11hip_rocprim26transform_input_iterator_tIbNSD_35transform_pair_of_input_iterators_tIbNS6_6detail15normal_iteratorINS6_10device_ptrIKfEEEESL_NS6_8equal_toIfEEEENSG_9not_fun_tINSD_8identityEEEEENSD_19counting_iterator_tIlEES8_S8_S8_S8_S8_S8_S8_S8_EEEEPS9_S9_NSD_9__find_if7functorIS9_EEEE10hipError_tPvRmT1_T2_T3_mT4_P12ihipStream_tbEUlT_E0_NS1_11comp_targetILNS1_3genE10ELNS1_11target_archE1200ELNS1_3gpuE4ELNS1_3repE0EEENS1_30default_config_static_selectorELNS0_4arch9wavefront6targetE0EEEvS14_, .Lfunc_end83-_ZN7rocprim17ROCPRIM_400000_NS6detail17trampoline_kernelINS0_14default_configENS1_22reduce_config_selectorIN6thrust23THRUST_200600_302600_NS5tupleIblNS6_9null_typeES8_S8_S8_S8_S8_S8_S8_EEEEZNS1_11reduce_implILb1ES3_NS6_12zip_iteratorINS7_INS6_11hip_rocprim26transform_input_iterator_tIbNSD_35transform_pair_of_input_iterators_tIbNS6_6detail15normal_iteratorINS6_10device_ptrIKfEEEESL_NS6_8equal_toIfEEEENSG_9not_fun_tINSD_8identityEEEEENSD_19counting_iterator_tIlEES8_S8_S8_S8_S8_S8_S8_S8_EEEEPS9_S9_NSD_9__find_if7functorIS9_EEEE10hipError_tPvRmT1_T2_T3_mT4_P12ihipStream_tbEUlT_E0_NS1_11comp_targetILNS1_3genE10ELNS1_11target_archE1200ELNS1_3gpuE4ELNS1_3repE0EEENS1_30default_config_static_selectorELNS0_4arch9wavefront6targetE0EEEvS14_
                                        ; -- End function
	.set _ZN7rocprim17ROCPRIM_400000_NS6detail17trampoline_kernelINS0_14default_configENS1_22reduce_config_selectorIN6thrust23THRUST_200600_302600_NS5tupleIblNS6_9null_typeES8_S8_S8_S8_S8_S8_S8_EEEEZNS1_11reduce_implILb1ES3_NS6_12zip_iteratorINS7_INS6_11hip_rocprim26transform_input_iterator_tIbNSD_35transform_pair_of_input_iterators_tIbNS6_6detail15normal_iteratorINS6_10device_ptrIKfEEEESL_NS6_8equal_toIfEEEENSG_9not_fun_tINSD_8identityEEEEENSD_19counting_iterator_tIlEES8_S8_S8_S8_S8_S8_S8_S8_EEEEPS9_S9_NSD_9__find_if7functorIS9_EEEE10hipError_tPvRmT1_T2_T3_mT4_P12ihipStream_tbEUlT_E0_NS1_11comp_targetILNS1_3genE10ELNS1_11target_archE1200ELNS1_3gpuE4ELNS1_3repE0EEENS1_30default_config_static_selectorELNS0_4arch9wavefront6targetE0EEEvS14_.num_vgpr, 0
	.set _ZN7rocprim17ROCPRIM_400000_NS6detail17trampoline_kernelINS0_14default_configENS1_22reduce_config_selectorIN6thrust23THRUST_200600_302600_NS5tupleIblNS6_9null_typeES8_S8_S8_S8_S8_S8_S8_EEEEZNS1_11reduce_implILb1ES3_NS6_12zip_iteratorINS7_INS6_11hip_rocprim26transform_input_iterator_tIbNSD_35transform_pair_of_input_iterators_tIbNS6_6detail15normal_iteratorINS6_10device_ptrIKfEEEESL_NS6_8equal_toIfEEEENSG_9not_fun_tINSD_8identityEEEEENSD_19counting_iterator_tIlEES8_S8_S8_S8_S8_S8_S8_S8_EEEEPS9_S9_NSD_9__find_if7functorIS9_EEEE10hipError_tPvRmT1_T2_T3_mT4_P12ihipStream_tbEUlT_E0_NS1_11comp_targetILNS1_3genE10ELNS1_11target_archE1200ELNS1_3gpuE4ELNS1_3repE0EEENS1_30default_config_static_selectorELNS0_4arch9wavefront6targetE0EEEvS14_.num_agpr, 0
	.set _ZN7rocprim17ROCPRIM_400000_NS6detail17trampoline_kernelINS0_14default_configENS1_22reduce_config_selectorIN6thrust23THRUST_200600_302600_NS5tupleIblNS6_9null_typeES8_S8_S8_S8_S8_S8_S8_EEEEZNS1_11reduce_implILb1ES3_NS6_12zip_iteratorINS7_INS6_11hip_rocprim26transform_input_iterator_tIbNSD_35transform_pair_of_input_iterators_tIbNS6_6detail15normal_iteratorINS6_10device_ptrIKfEEEESL_NS6_8equal_toIfEEEENSG_9not_fun_tINSD_8identityEEEEENSD_19counting_iterator_tIlEES8_S8_S8_S8_S8_S8_S8_S8_EEEEPS9_S9_NSD_9__find_if7functorIS9_EEEE10hipError_tPvRmT1_T2_T3_mT4_P12ihipStream_tbEUlT_E0_NS1_11comp_targetILNS1_3genE10ELNS1_11target_archE1200ELNS1_3gpuE4ELNS1_3repE0EEENS1_30default_config_static_selectorELNS0_4arch9wavefront6targetE0EEEvS14_.numbered_sgpr, 0
	.set _ZN7rocprim17ROCPRIM_400000_NS6detail17trampoline_kernelINS0_14default_configENS1_22reduce_config_selectorIN6thrust23THRUST_200600_302600_NS5tupleIblNS6_9null_typeES8_S8_S8_S8_S8_S8_S8_EEEEZNS1_11reduce_implILb1ES3_NS6_12zip_iteratorINS7_INS6_11hip_rocprim26transform_input_iterator_tIbNSD_35transform_pair_of_input_iterators_tIbNS6_6detail15normal_iteratorINS6_10device_ptrIKfEEEESL_NS6_8equal_toIfEEEENSG_9not_fun_tINSD_8identityEEEEENSD_19counting_iterator_tIlEES8_S8_S8_S8_S8_S8_S8_S8_EEEEPS9_S9_NSD_9__find_if7functorIS9_EEEE10hipError_tPvRmT1_T2_T3_mT4_P12ihipStream_tbEUlT_E0_NS1_11comp_targetILNS1_3genE10ELNS1_11target_archE1200ELNS1_3gpuE4ELNS1_3repE0EEENS1_30default_config_static_selectorELNS0_4arch9wavefront6targetE0EEEvS14_.num_named_barrier, 0
	.set _ZN7rocprim17ROCPRIM_400000_NS6detail17trampoline_kernelINS0_14default_configENS1_22reduce_config_selectorIN6thrust23THRUST_200600_302600_NS5tupleIblNS6_9null_typeES8_S8_S8_S8_S8_S8_S8_EEEEZNS1_11reduce_implILb1ES3_NS6_12zip_iteratorINS7_INS6_11hip_rocprim26transform_input_iterator_tIbNSD_35transform_pair_of_input_iterators_tIbNS6_6detail15normal_iteratorINS6_10device_ptrIKfEEEESL_NS6_8equal_toIfEEEENSG_9not_fun_tINSD_8identityEEEEENSD_19counting_iterator_tIlEES8_S8_S8_S8_S8_S8_S8_S8_EEEEPS9_S9_NSD_9__find_if7functorIS9_EEEE10hipError_tPvRmT1_T2_T3_mT4_P12ihipStream_tbEUlT_E0_NS1_11comp_targetILNS1_3genE10ELNS1_11target_archE1200ELNS1_3gpuE4ELNS1_3repE0EEENS1_30default_config_static_selectorELNS0_4arch9wavefront6targetE0EEEvS14_.private_seg_size, 0
	.set _ZN7rocprim17ROCPRIM_400000_NS6detail17trampoline_kernelINS0_14default_configENS1_22reduce_config_selectorIN6thrust23THRUST_200600_302600_NS5tupleIblNS6_9null_typeES8_S8_S8_S8_S8_S8_S8_EEEEZNS1_11reduce_implILb1ES3_NS6_12zip_iteratorINS7_INS6_11hip_rocprim26transform_input_iterator_tIbNSD_35transform_pair_of_input_iterators_tIbNS6_6detail15normal_iteratorINS6_10device_ptrIKfEEEESL_NS6_8equal_toIfEEEENSG_9not_fun_tINSD_8identityEEEEENSD_19counting_iterator_tIlEES8_S8_S8_S8_S8_S8_S8_S8_EEEEPS9_S9_NSD_9__find_if7functorIS9_EEEE10hipError_tPvRmT1_T2_T3_mT4_P12ihipStream_tbEUlT_E0_NS1_11comp_targetILNS1_3genE10ELNS1_11target_archE1200ELNS1_3gpuE4ELNS1_3repE0EEENS1_30default_config_static_selectorELNS0_4arch9wavefront6targetE0EEEvS14_.uses_vcc, 0
	.set _ZN7rocprim17ROCPRIM_400000_NS6detail17trampoline_kernelINS0_14default_configENS1_22reduce_config_selectorIN6thrust23THRUST_200600_302600_NS5tupleIblNS6_9null_typeES8_S8_S8_S8_S8_S8_S8_EEEEZNS1_11reduce_implILb1ES3_NS6_12zip_iteratorINS7_INS6_11hip_rocprim26transform_input_iterator_tIbNSD_35transform_pair_of_input_iterators_tIbNS6_6detail15normal_iteratorINS6_10device_ptrIKfEEEESL_NS6_8equal_toIfEEEENSG_9not_fun_tINSD_8identityEEEEENSD_19counting_iterator_tIlEES8_S8_S8_S8_S8_S8_S8_S8_EEEEPS9_S9_NSD_9__find_if7functorIS9_EEEE10hipError_tPvRmT1_T2_T3_mT4_P12ihipStream_tbEUlT_E0_NS1_11comp_targetILNS1_3genE10ELNS1_11target_archE1200ELNS1_3gpuE4ELNS1_3repE0EEENS1_30default_config_static_selectorELNS0_4arch9wavefront6targetE0EEEvS14_.uses_flat_scratch, 0
	.set _ZN7rocprim17ROCPRIM_400000_NS6detail17trampoline_kernelINS0_14default_configENS1_22reduce_config_selectorIN6thrust23THRUST_200600_302600_NS5tupleIblNS6_9null_typeES8_S8_S8_S8_S8_S8_S8_EEEEZNS1_11reduce_implILb1ES3_NS6_12zip_iteratorINS7_INS6_11hip_rocprim26transform_input_iterator_tIbNSD_35transform_pair_of_input_iterators_tIbNS6_6detail15normal_iteratorINS6_10device_ptrIKfEEEESL_NS6_8equal_toIfEEEENSG_9not_fun_tINSD_8identityEEEEENSD_19counting_iterator_tIlEES8_S8_S8_S8_S8_S8_S8_S8_EEEEPS9_S9_NSD_9__find_if7functorIS9_EEEE10hipError_tPvRmT1_T2_T3_mT4_P12ihipStream_tbEUlT_E0_NS1_11comp_targetILNS1_3genE10ELNS1_11target_archE1200ELNS1_3gpuE4ELNS1_3repE0EEENS1_30default_config_static_selectorELNS0_4arch9wavefront6targetE0EEEvS14_.has_dyn_sized_stack, 0
	.set _ZN7rocprim17ROCPRIM_400000_NS6detail17trampoline_kernelINS0_14default_configENS1_22reduce_config_selectorIN6thrust23THRUST_200600_302600_NS5tupleIblNS6_9null_typeES8_S8_S8_S8_S8_S8_S8_EEEEZNS1_11reduce_implILb1ES3_NS6_12zip_iteratorINS7_INS6_11hip_rocprim26transform_input_iterator_tIbNSD_35transform_pair_of_input_iterators_tIbNS6_6detail15normal_iteratorINS6_10device_ptrIKfEEEESL_NS6_8equal_toIfEEEENSG_9not_fun_tINSD_8identityEEEEENSD_19counting_iterator_tIlEES8_S8_S8_S8_S8_S8_S8_S8_EEEEPS9_S9_NSD_9__find_if7functorIS9_EEEE10hipError_tPvRmT1_T2_T3_mT4_P12ihipStream_tbEUlT_E0_NS1_11comp_targetILNS1_3genE10ELNS1_11target_archE1200ELNS1_3gpuE4ELNS1_3repE0EEENS1_30default_config_static_selectorELNS0_4arch9wavefront6targetE0EEEvS14_.has_recursion, 0
	.set _ZN7rocprim17ROCPRIM_400000_NS6detail17trampoline_kernelINS0_14default_configENS1_22reduce_config_selectorIN6thrust23THRUST_200600_302600_NS5tupleIblNS6_9null_typeES8_S8_S8_S8_S8_S8_S8_EEEEZNS1_11reduce_implILb1ES3_NS6_12zip_iteratorINS7_INS6_11hip_rocprim26transform_input_iterator_tIbNSD_35transform_pair_of_input_iterators_tIbNS6_6detail15normal_iteratorINS6_10device_ptrIKfEEEESL_NS6_8equal_toIfEEEENSG_9not_fun_tINSD_8identityEEEEENSD_19counting_iterator_tIlEES8_S8_S8_S8_S8_S8_S8_S8_EEEEPS9_S9_NSD_9__find_if7functorIS9_EEEE10hipError_tPvRmT1_T2_T3_mT4_P12ihipStream_tbEUlT_E0_NS1_11comp_targetILNS1_3genE10ELNS1_11target_archE1200ELNS1_3gpuE4ELNS1_3repE0EEENS1_30default_config_static_selectorELNS0_4arch9wavefront6targetE0EEEvS14_.has_indirect_call, 0
	.section	.AMDGPU.csdata,"",@progbits
; Kernel info:
; codeLenInByte = 0
; TotalNumSgprs: 0
; NumVgprs: 0
; ScratchSize: 0
; MemoryBound: 0
; FloatMode: 240
; IeeeMode: 1
; LDSByteSize: 0 bytes/workgroup (compile time only)
; SGPRBlocks: 0
; VGPRBlocks: 0
; NumSGPRsForWavesPerEU: 1
; NumVGPRsForWavesPerEU: 1
; NamedBarCnt: 0
; Occupancy: 16
; WaveLimiterHint : 0
; COMPUTE_PGM_RSRC2:SCRATCH_EN: 0
; COMPUTE_PGM_RSRC2:USER_SGPR: 2
; COMPUTE_PGM_RSRC2:TRAP_HANDLER: 0
; COMPUTE_PGM_RSRC2:TGID_X_EN: 1
; COMPUTE_PGM_RSRC2:TGID_Y_EN: 0
; COMPUTE_PGM_RSRC2:TGID_Z_EN: 0
; COMPUTE_PGM_RSRC2:TIDIG_COMP_CNT: 0
	.section	.text._ZN7rocprim17ROCPRIM_400000_NS6detail17trampoline_kernelINS0_14default_configENS1_22reduce_config_selectorIN6thrust23THRUST_200600_302600_NS5tupleIblNS6_9null_typeES8_S8_S8_S8_S8_S8_S8_EEEEZNS1_11reduce_implILb1ES3_NS6_12zip_iteratorINS7_INS6_11hip_rocprim26transform_input_iterator_tIbNSD_35transform_pair_of_input_iterators_tIbNS6_6detail15normal_iteratorINS6_10device_ptrIKfEEEESL_NS6_8equal_toIfEEEENSG_9not_fun_tINSD_8identityEEEEENSD_19counting_iterator_tIlEES8_S8_S8_S8_S8_S8_S8_S8_EEEEPS9_S9_NSD_9__find_if7functorIS9_EEEE10hipError_tPvRmT1_T2_T3_mT4_P12ihipStream_tbEUlT_E0_NS1_11comp_targetILNS1_3genE9ELNS1_11target_archE1100ELNS1_3gpuE3ELNS1_3repE0EEENS1_30default_config_static_selectorELNS0_4arch9wavefront6targetE0EEEvS14_,"axG",@progbits,_ZN7rocprim17ROCPRIM_400000_NS6detail17trampoline_kernelINS0_14default_configENS1_22reduce_config_selectorIN6thrust23THRUST_200600_302600_NS5tupleIblNS6_9null_typeES8_S8_S8_S8_S8_S8_S8_EEEEZNS1_11reduce_implILb1ES3_NS6_12zip_iteratorINS7_INS6_11hip_rocprim26transform_input_iterator_tIbNSD_35transform_pair_of_input_iterators_tIbNS6_6detail15normal_iteratorINS6_10device_ptrIKfEEEESL_NS6_8equal_toIfEEEENSG_9not_fun_tINSD_8identityEEEEENSD_19counting_iterator_tIlEES8_S8_S8_S8_S8_S8_S8_S8_EEEEPS9_S9_NSD_9__find_if7functorIS9_EEEE10hipError_tPvRmT1_T2_T3_mT4_P12ihipStream_tbEUlT_E0_NS1_11comp_targetILNS1_3genE9ELNS1_11target_archE1100ELNS1_3gpuE3ELNS1_3repE0EEENS1_30default_config_static_selectorELNS0_4arch9wavefront6targetE0EEEvS14_,comdat
	.protected	_ZN7rocprim17ROCPRIM_400000_NS6detail17trampoline_kernelINS0_14default_configENS1_22reduce_config_selectorIN6thrust23THRUST_200600_302600_NS5tupleIblNS6_9null_typeES8_S8_S8_S8_S8_S8_S8_EEEEZNS1_11reduce_implILb1ES3_NS6_12zip_iteratorINS7_INS6_11hip_rocprim26transform_input_iterator_tIbNSD_35transform_pair_of_input_iterators_tIbNS6_6detail15normal_iteratorINS6_10device_ptrIKfEEEESL_NS6_8equal_toIfEEEENSG_9not_fun_tINSD_8identityEEEEENSD_19counting_iterator_tIlEES8_S8_S8_S8_S8_S8_S8_S8_EEEEPS9_S9_NSD_9__find_if7functorIS9_EEEE10hipError_tPvRmT1_T2_T3_mT4_P12ihipStream_tbEUlT_E0_NS1_11comp_targetILNS1_3genE9ELNS1_11target_archE1100ELNS1_3gpuE3ELNS1_3repE0EEENS1_30default_config_static_selectorELNS0_4arch9wavefront6targetE0EEEvS14_ ; -- Begin function _ZN7rocprim17ROCPRIM_400000_NS6detail17trampoline_kernelINS0_14default_configENS1_22reduce_config_selectorIN6thrust23THRUST_200600_302600_NS5tupleIblNS6_9null_typeES8_S8_S8_S8_S8_S8_S8_EEEEZNS1_11reduce_implILb1ES3_NS6_12zip_iteratorINS7_INS6_11hip_rocprim26transform_input_iterator_tIbNSD_35transform_pair_of_input_iterators_tIbNS6_6detail15normal_iteratorINS6_10device_ptrIKfEEEESL_NS6_8equal_toIfEEEENSG_9not_fun_tINSD_8identityEEEEENSD_19counting_iterator_tIlEES8_S8_S8_S8_S8_S8_S8_S8_EEEEPS9_S9_NSD_9__find_if7functorIS9_EEEE10hipError_tPvRmT1_T2_T3_mT4_P12ihipStream_tbEUlT_E0_NS1_11comp_targetILNS1_3genE9ELNS1_11target_archE1100ELNS1_3gpuE3ELNS1_3repE0EEENS1_30default_config_static_selectorELNS0_4arch9wavefront6targetE0EEEvS14_
	.globl	_ZN7rocprim17ROCPRIM_400000_NS6detail17trampoline_kernelINS0_14default_configENS1_22reduce_config_selectorIN6thrust23THRUST_200600_302600_NS5tupleIblNS6_9null_typeES8_S8_S8_S8_S8_S8_S8_EEEEZNS1_11reduce_implILb1ES3_NS6_12zip_iteratorINS7_INS6_11hip_rocprim26transform_input_iterator_tIbNSD_35transform_pair_of_input_iterators_tIbNS6_6detail15normal_iteratorINS6_10device_ptrIKfEEEESL_NS6_8equal_toIfEEEENSG_9not_fun_tINSD_8identityEEEEENSD_19counting_iterator_tIlEES8_S8_S8_S8_S8_S8_S8_S8_EEEEPS9_S9_NSD_9__find_if7functorIS9_EEEE10hipError_tPvRmT1_T2_T3_mT4_P12ihipStream_tbEUlT_E0_NS1_11comp_targetILNS1_3genE9ELNS1_11target_archE1100ELNS1_3gpuE3ELNS1_3repE0EEENS1_30default_config_static_selectorELNS0_4arch9wavefront6targetE0EEEvS14_
	.p2align	8
	.type	_ZN7rocprim17ROCPRIM_400000_NS6detail17trampoline_kernelINS0_14default_configENS1_22reduce_config_selectorIN6thrust23THRUST_200600_302600_NS5tupleIblNS6_9null_typeES8_S8_S8_S8_S8_S8_S8_EEEEZNS1_11reduce_implILb1ES3_NS6_12zip_iteratorINS7_INS6_11hip_rocprim26transform_input_iterator_tIbNSD_35transform_pair_of_input_iterators_tIbNS6_6detail15normal_iteratorINS6_10device_ptrIKfEEEESL_NS6_8equal_toIfEEEENSG_9not_fun_tINSD_8identityEEEEENSD_19counting_iterator_tIlEES8_S8_S8_S8_S8_S8_S8_S8_EEEEPS9_S9_NSD_9__find_if7functorIS9_EEEE10hipError_tPvRmT1_T2_T3_mT4_P12ihipStream_tbEUlT_E0_NS1_11comp_targetILNS1_3genE9ELNS1_11target_archE1100ELNS1_3gpuE3ELNS1_3repE0EEENS1_30default_config_static_selectorELNS0_4arch9wavefront6targetE0EEEvS14_,@function
_ZN7rocprim17ROCPRIM_400000_NS6detail17trampoline_kernelINS0_14default_configENS1_22reduce_config_selectorIN6thrust23THRUST_200600_302600_NS5tupleIblNS6_9null_typeES8_S8_S8_S8_S8_S8_S8_EEEEZNS1_11reduce_implILb1ES3_NS6_12zip_iteratorINS7_INS6_11hip_rocprim26transform_input_iterator_tIbNSD_35transform_pair_of_input_iterators_tIbNS6_6detail15normal_iteratorINS6_10device_ptrIKfEEEESL_NS6_8equal_toIfEEEENSG_9not_fun_tINSD_8identityEEEEENSD_19counting_iterator_tIlEES8_S8_S8_S8_S8_S8_S8_S8_EEEEPS9_S9_NSD_9__find_if7functorIS9_EEEE10hipError_tPvRmT1_T2_T3_mT4_P12ihipStream_tbEUlT_E0_NS1_11comp_targetILNS1_3genE9ELNS1_11target_archE1100ELNS1_3gpuE3ELNS1_3repE0EEENS1_30default_config_static_selectorELNS0_4arch9wavefront6targetE0EEEvS14_: ; @_ZN7rocprim17ROCPRIM_400000_NS6detail17trampoline_kernelINS0_14default_configENS1_22reduce_config_selectorIN6thrust23THRUST_200600_302600_NS5tupleIblNS6_9null_typeES8_S8_S8_S8_S8_S8_S8_EEEEZNS1_11reduce_implILb1ES3_NS6_12zip_iteratorINS7_INS6_11hip_rocprim26transform_input_iterator_tIbNSD_35transform_pair_of_input_iterators_tIbNS6_6detail15normal_iteratorINS6_10device_ptrIKfEEEESL_NS6_8equal_toIfEEEENSG_9not_fun_tINSD_8identityEEEEENSD_19counting_iterator_tIlEES8_S8_S8_S8_S8_S8_S8_S8_EEEEPS9_S9_NSD_9__find_if7functorIS9_EEEE10hipError_tPvRmT1_T2_T3_mT4_P12ihipStream_tbEUlT_E0_NS1_11comp_targetILNS1_3genE9ELNS1_11target_archE1100ELNS1_3gpuE3ELNS1_3repE0EEENS1_30default_config_static_selectorELNS0_4arch9wavefront6targetE0EEEvS14_
; %bb.0:
	.section	.rodata,"a",@progbits
	.p2align	6, 0x0
	.amdhsa_kernel _ZN7rocprim17ROCPRIM_400000_NS6detail17trampoline_kernelINS0_14default_configENS1_22reduce_config_selectorIN6thrust23THRUST_200600_302600_NS5tupleIblNS6_9null_typeES8_S8_S8_S8_S8_S8_S8_EEEEZNS1_11reduce_implILb1ES3_NS6_12zip_iteratorINS7_INS6_11hip_rocprim26transform_input_iterator_tIbNSD_35transform_pair_of_input_iterators_tIbNS6_6detail15normal_iteratorINS6_10device_ptrIKfEEEESL_NS6_8equal_toIfEEEENSG_9not_fun_tINSD_8identityEEEEENSD_19counting_iterator_tIlEES8_S8_S8_S8_S8_S8_S8_S8_EEEEPS9_S9_NSD_9__find_if7functorIS9_EEEE10hipError_tPvRmT1_T2_T3_mT4_P12ihipStream_tbEUlT_E0_NS1_11comp_targetILNS1_3genE9ELNS1_11target_archE1100ELNS1_3gpuE3ELNS1_3repE0EEENS1_30default_config_static_selectorELNS0_4arch9wavefront6targetE0EEEvS14_
		.amdhsa_group_segment_fixed_size 0
		.amdhsa_private_segment_fixed_size 0
		.amdhsa_kernarg_size 104
		.amdhsa_user_sgpr_count 2
		.amdhsa_user_sgpr_dispatch_ptr 0
		.amdhsa_user_sgpr_queue_ptr 0
		.amdhsa_user_sgpr_kernarg_segment_ptr 1
		.amdhsa_user_sgpr_dispatch_id 0
		.amdhsa_user_sgpr_kernarg_preload_length 0
		.amdhsa_user_sgpr_kernarg_preload_offset 0
		.amdhsa_user_sgpr_private_segment_size 0
		.amdhsa_wavefront_size32 1
		.amdhsa_uses_dynamic_stack 0
		.amdhsa_enable_private_segment 0
		.amdhsa_system_sgpr_workgroup_id_x 1
		.amdhsa_system_sgpr_workgroup_id_y 0
		.amdhsa_system_sgpr_workgroup_id_z 0
		.amdhsa_system_sgpr_workgroup_info 0
		.amdhsa_system_vgpr_workitem_id 0
		.amdhsa_next_free_vgpr 1
		.amdhsa_next_free_sgpr 1
		.amdhsa_named_barrier_count 0
		.amdhsa_reserve_vcc 0
		.amdhsa_float_round_mode_32 0
		.amdhsa_float_round_mode_16_64 0
		.amdhsa_float_denorm_mode_32 3
		.amdhsa_float_denorm_mode_16_64 3
		.amdhsa_fp16_overflow 0
		.amdhsa_memory_ordered 1
		.amdhsa_forward_progress 1
		.amdhsa_inst_pref_size 0
		.amdhsa_round_robin_scheduling 0
		.amdhsa_exception_fp_ieee_invalid_op 0
		.amdhsa_exception_fp_denorm_src 0
		.amdhsa_exception_fp_ieee_div_zero 0
		.amdhsa_exception_fp_ieee_overflow 0
		.amdhsa_exception_fp_ieee_underflow 0
		.amdhsa_exception_fp_ieee_inexact 0
		.amdhsa_exception_int_div_zero 0
	.end_amdhsa_kernel
	.section	.text._ZN7rocprim17ROCPRIM_400000_NS6detail17trampoline_kernelINS0_14default_configENS1_22reduce_config_selectorIN6thrust23THRUST_200600_302600_NS5tupleIblNS6_9null_typeES8_S8_S8_S8_S8_S8_S8_EEEEZNS1_11reduce_implILb1ES3_NS6_12zip_iteratorINS7_INS6_11hip_rocprim26transform_input_iterator_tIbNSD_35transform_pair_of_input_iterators_tIbNS6_6detail15normal_iteratorINS6_10device_ptrIKfEEEESL_NS6_8equal_toIfEEEENSG_9not_fun_tINSD_8identityEEEEENSD_19counting_iterator_tIlEES8_S8_S8_S8_S8_S8_S8_S8_EEEEPS9_S9_NSD_9__find_if7functorIS9_EEEE10hipError_tPvRmT1_T2_T3_mT4_P12ihipStream_tbEUlT_E0_NS1_11comp_targetILNS1_3genE9ELNS1_11target_archE1100ELNS1_3gpuE3ELNS1_3repE0EEENS1_30default_config_static_selectorELNS0_4arch9wavefront6targetE0EEEvS14_,"axG",@progbits,_ZN7rocprim17ROCPRIM_400000_NS6detail17trampoline_kernelINS0_14default_configENS1_22reduce_config_selectorIN6thrust23THRUST_200600_302600_NS5tupleIblNS6_9null_typeES8_S8_S8_S8_S8_S8_S8_EEEEZNS1_11reduce_implILb1ES3_NS6_12zip_iteratorINS7_INS6_11hip_rocprim26transform_input_iterator_tIbNSD_35transform_pair_of_input_iterators_tIbNS6_6detail15normal_iteratorINS6_10device_ptrIKfEEEESL_NS6_8equal_toIfEEEENSG_9not_fun_tINSD_8identityEEEEENSD_19counting_iterator_tIlEES8_S8_S8_S8_S8_S8_S8_S8_EEEEPS9_S9_NSD_9__find_if7functorIS9_EEEE10hipError_tPvRmT1_T2_T3_mT4_P12ihipStream_tbEUlT_E0_NS1_11comp_targetILNS1_3genE9ELNS1_11target_archE1100ELNS1_3gpuE3ELNS1_3repE0EEENS1_30default_config_static_selectorELNS0_4arch9wavefront6targetE0EEEvS14_,comdat
.Lfunc_end84:
	.size	_ZN7rocprim17ROCPRIM_400000_NS6detail17trampoline_kernelINS0_14default_configENS1_22reduce_config_selectorIN6thrust23THRUST_200600_302600_NS5tupleIblNS6_9null_typeES8_S8_S8_S8_S8_S8_S8_EEEEZNS1_11reduce_implILb1ES3_NS6_12zip_iteratorINS7_INS6_11hip_rocprim26transform_input_iterator_tIbNSD_35transform_pair_of_input_iterators_tIbNS6_6detail15normal_iteratorINS6_10device_ptrIKfEEEESL_NS6_8equal_toIfEEEENSG_9not_fun_tINSD_8identityEEEEENSD_19counting_iterator_tIlEES8_S8_S8_S8_S8_S8_S8_S8_EEEEPS9_S9_NSD_9__find_if7functorIS9_EEEE10hipError_tPvRmT1_T2_T3_mT4_P12ihipStream_tbEUlT_E0_NS1_11comp_targetILNS1_3genE9ELNS1_11target_archE1100ELNS1_3gpuE3ELNS1_3repE0EEENS1_30default_config_static_selectorELNS0_4arch9wavefront6targetE0EEEvS14_, .Lfunc_end84-_ZN7rocprim17ROCPRIM_400000_NS6detail17trampoline_kernelINS0_14default_configENS1_22reduce_config_selectorIN6thrust23THRUST_200600_302600_NS5tupleIblNS6_9null_typeES8_S8_S8_S8_S8_S8_S8_EEEEZNS1_11reduce_implILb1ES3_NS6_12zip_iteratorINS7_INS6_11hip_rocprim26transform_input_iterator_tIbNSD_35transform_pair_of_input_iterators_tIbNS6_6detail15normal_iteratorINS6_10device_ptrIKfEEEESL_NS6_8equal_toIfEEEENSG_9not_fun_tINSD_8identityEEEEENSD_19counting_iterator_tIlEES8_S8_S8_S8_S8_S8_S8_S8_EEEEPS9_S9_NSD_9__find_if7functorIS9_EEEE10hipError_tPvRmT1_T2_T3_mT4_P12ihipStream_tbEUlT_E0_NS1_11comp_targetILNS1_3genE9ELNS1_11target_archE1100ELNS1_3gpuE3ELNS1_3repE0EEENS1_30default_config_static_selectorELNS0_4arch9wavefront6targetE0EEEvS14_
                                        ; -- End function
	.set _ZN7rocprim17ROCPRIM_400000_NS6detail17trampoline_kernelINS0_14default_configENS1_22reduce_config_selectorIN6thrust23THRUST_200600_302600_NS5tupleIblNS6_9null_typeES8_S8_S8_S8_S8_S8_S8_EEEEZNS1_11reduce_implILb1ES3_NS6_12zip_iteratorINS7_INS6_11hip_rocprim26transform_input_iterator_tIbNSD_35transform_pair_of_input_iterators_tIbNS6_6detail15normal_iteratorINS6_10device_ptrIKfEEEESL_NS6_8equal_toIfEEEENSG_9not_fun_tINSD_8identityEEEEENSD_19counting_iterator_tIlEES8_S8_S8_S8_S8_S8_S8_S8_EEEEPS9_S9_NSD_9__find_if7functorIS9_EEEE10hipError_tPvRmT1_T2_T3_mT4_P12ihipStream_tbEUlT_E0_NS1_11comp_targetILNS1_3genE9ELNS1_11target_archE1100ELNS1_3gpuE3ELNS1_3repE0EEENS1_30default_config_static_selectorELNS0_4arch9wavefront6targetE0EEEvS14_.num_vgpr, 0
	.set _ZN7rocprim17ROCPRIM_400000_NS6detail17trampoline_kernelINS0_14default_configENS1_22reduce_config_selectorIN6thrust23THRUST_200600_302600_NS5tupleIblNS6_9null_typeES8_S8_S8_S8_S8_S8_S8_EEEEZNS1_11reduce_implILb1ES3_NS6_12zip_iteratorINS7_INS6_11hip_rocprim26transform_input_iterator_tIbNSD_35transform_pair_of_input_iterators_tIbNS6_6detail15normal_iteratorINS6_10device_ptrIKfEEEESL_NS6_8equal_toIfEEEENSG_9not_fun_tINSD_8identityEEEEENSD_19counting_iterator_tIlEES8_S8_S8_S8_S8_S8_S8_S8_EEEEPS9_S9_NSD_9__find_if7functorIS9_EEEE10hipError_tPvRmT1_T2_T3_mT4_P12ihipStream_tbEUlT_E0_NS1_11comp_targetILNS1_3genE9ELNS1_11target_archE1100ELNS1_3gpuE3ELNS1_3repE0EEENS1_30default_config_static_selectorELNS0_4arch9wavefront6targetE0EEEvS14_.num_agpr, 0
	.set _ZN7rocprim17ROCPRIM_400000_NS6detail17trampoline_kernelINS0_14default_configENS1_22reduce_config_selectorIN6thrust23THRUST_200600_302600_NS5tupleIblNS6_9null_typeES8_S8_S8_S8_S8_S8_S8_EEEEZNS1_11reduce_implILb1ES3_NS6_12zip_iteratorINS7_INS6_11hip_rocprim26transform_input_iterator_tIbNSD_35transform_pair_of_input_iterators_tIbNS6_6detail15normal_iteratorINS6_10device_ptrIKfEEEESL_NS6_8equal_toIfEEEENSG_9not_fun_tINSD_8identityEEEEENSD_19counting_iterator_tIlEES8_S8_S8_S8_S8_S8_S8_S8_EEEEPS9_S9_NSD_9__find_if7functorIS9_EEEE10hipError_tPvRmT1_T2_T3_mT4_P12ihipStream_tbEUlT_E0_NS1_11comp_targetILNS1_3genE9ELNS1_11target_archE1100ELNS1_3gpuE3ELNS1_3repE0EEENS1_30default_config_static_selectorELNS0_4arch9wavefront6targetE0EEEvS14_.numbered_sgpr, 0
	.set _ZN7rocprim17ROCPRIM_400000_NS6detail17trampoline_kernelINS0_14default_configENS1_22reduce_config_selectorIN6thrust23THRUST_200600_302600_NS5tupleIblNS6_9null_typeES8_S8_S8_S8_S8_S8_S8_EEEEZNS1_11reduce_implILb1ES3_NS6_12zip_iteratorINS7_INS6_11hip_rocprim26transform_input_iterator_tIbNSD_35transform_pair_of_input_iterators_tIbNS6_6detail15normal_iteratorINS6_10device_ptrIKfEEEESL_NS6_8equal_toIfEEEENSG_9not_fun_tINSD_8identityEEEEENSD_19counting_iterator_tIlEES8_S8_S8_S8_S8_S8_S8_S8_EEEEPS9_S9_NSD_9__find_if7functorIS9_EEEE10hipError_tPvRmT1_T2_T3_mT4_P12ihipStream_tbEUlT_E0_NS1_11comp_targetILNS1_3genE9ELNS1_11target_archE1100ELNS1_3gpuE3ELNS1_3repE0EEENS1_30default_config_static_selectorELNS0_4arch9wavefront6targetE0EEEvS14_.num_named_barrier, 0
	.set _ZN7rocprim17ROCPRIM_400000_NS6detail17trampoline_kernelINS0_14default_configENS1_22reduce_config_selectorIN6thrust23THRUST_200600_302600_NS5tupleIblNS6_9null_typeES8_S8_S8_S8_S8_S8_S8_EEEEZNS1_11reduce_implILb1ES3_NS6_12zip_iteratorINS7_INS6_11hip_rocprim26transform_input_iterator_tIbNSD_35transform_pair_of_input_iterators_tIbNS6_6detail15normal_iteratorINS6_10device_ptrIKfEEEESL_NS6_8equal_toIfEEEENSG_9not_fun_tINSD_8identityEEEEENSD_19counting_iterator_tIlEES8_S8_S8_S8_S8_S8_S8_S8_EEEEPS9_S9_NSD_9__find_if7functorIS9_EEEE10hipError_tPvRmT1_T2_T3_mT4_P12ihipStream_tbEUlT_E0_NS1_11comp_targetILNS1_3genE9ELNS1_11target_archE1100ELNS1_3gpuE3ELNS1_3repE0EEENS1_30default_config_static_selectorELNS0_4arch9wavefront6targetE0EEEvS14_.private_seg_size, 0
	.set _ZN7rocprim17ROCPRIM_400000_NS6detail17trampoline_kernelINS0_14default_configENS1_22reduce_config_selectorIN6thrust23THRUST_200600_302600_NS5tupleIblNS6_9null_typeES8_S8_S8_S8_S8_S8_S8_EEEEZNS1_11reduce_implILb1ES3_NS6_12zip_iteratorINS7_INS6_11hip_rocprim26transform_input_iterator_tIbNSD_35transform_pair_of_input_iterators_tIbNS6_6detail15normal_iteratorINS6_10device_ptrIKfEEEESL_NS6_8equal_toIfEEEENSG_9not_fun_tINSD_8identityEEEEENSD_19counting_iterator_tIlEES8_S8_S8_S8_S8_S8_S8_S8_EEEEPS9_S9_NSD_9__find_if7functorIS9_EEEE10hipError_tPvRmT1_T2_T3_mT4_P12ihipStream_tbEUlT_E0_NS1_11comp_targetILNS1_3genE9ELNS1_11target_archE1100ELNS1_3gpuE3ELNS1_3repE0EEENS1_30default_config_static_selectorELNS0_4arch9wavefront6targetE0EEEvS14_.uses_vcc, 0
	.set _ZN7rocprim17ROCPRIM_400000_NS6detail17trampoline_kernelINS0_14default_configENS1_22reduce_config_selectorIN6thrust23THRUST_200600_302600_NS5tupleIblNS6_9null_typeES8_S8_S8_S8_S8_S8_S8_EEEEZNS1_11reduce_implILb1ES3_NS6_12zip_iteratorINS7_INS6_11hip_rocprim26transform_input_iterator_tIbNSD_35transform_pair_of_input_iterators_tIbNS6_6detail15normal_iteratorINS6_10device_ptrIKfEEEESL_NS6_8equal_toIfEEEENSG_9not_fun_tINSD_8identityEEEEENSD_19counting_iterator_tIlEES8_S8_S8_S8_S8_S8_S8_S8_EEEEPS9_S9_NSD_9__find_if7functorIS9_EEEE10hipError_tPvRmT1_T2_T3_mT4_P12ihipStream_tbEUlT_E0_NS1_11comp_targetILNS1_3genE9ELNS1_11target_archE1100ELNS1_3gpuE3ELNS1_3repE0EEENS1_30default_config_static_selectorELNS0_4arch9wavefront6targetE0EEEvS14_.uses_flat_scratch, 0
	.set _ZN7rocprim17ROCPRIM_400000_NS6detail17trampoline_kernelINS0_14default_configENS1_22reduce_config_selectorIN6thrust23THRUST_200600_302600_NS5tupleIblNS6_9null_typeES8_S8_S8_S8_S8_S8_S8_EEEEZNS1_11reduce_implILb1ES3_NS6_12zip_iteratorINS7_INS6_11hip_rocprim26transform_input_iterator_tIbNSD_35transform_pair_of_input_iterators_tIbNS6_6detail15normal_iteratorINS6_10device_ptrIKfEEEESL_NS6_8equal_toIfEEEENSG_9not_fun_tINSD_8identityEEEEENSD_19counting_iterator_tIlEES8_S8_S8_S8_S8_S8_S8_S8_EEEEPS9_S9_NSD_9__find_if7functorIS9_EEEE10hipError_tPvRmT1_T2_T3_mT4_P12ihipStream_tbEUlT_E0_NS1_11comp_targetILNS1_3genE9ELNS1_11target_archE1100ELNS1_3gpuE3ELNS1_3repE0EEENS1_30default_config_static_selectorELNS0_4arch9wavefront6targetE0EEEvS14_.has_dyn_sized_stack, 0
	.set _ZN7rocprim17ROCPRIM_400000_NS6detail17trampoline_kernelINS0_14default_configENS1_22reduce_config_selectorIN6thrust23THRUST_200600_302600_NS5tupleIblNS6_9null_typeES8_S8_S8_S8_S8_S8_S8_EEEEZNS1_11reduce_implILb1ES3_NS6_12zip_iteratorINS7_INS6_11hip_rocprim26transform_input_iterator_tIbNSD_35transform_pair_of_input_iterators_tIbNS6_6detail15normal_iteratorINS6_10device_ptrIKfEEEESL_NS6_8equal_toIfEEEENSG_9not_fun_tINSD_8identityEEEEENSD_19counting_iterator_tIlEES8_S8_S8_S8_S8_S8_S8_S8_EEEEPS9_S9_NSD_9__find_if7functorIS9_EEEE10hipError_tPvRmT1_T2_T3_mT4_P12ihipStream_tbEUlT_E0_NS1_11comp_targetILNS1_3genE9ELNS1_11target_archE1100ELNS1_3gpuE3ELNS1_3repE0EEENS1_30default_config_static_selectorELNS0_4arch9wavefront6targetE0EEEvS14_.has_recursion, 0
	.set _ZN7rocprim17ROCPRIM_400000_NS6detail17trampoline_kernelINS0_14default_configENS1_22reduce_config_selectorIN6thrust23THRUST_200600_302600_NS5tupleIblNS6_9null_typeES8_S8_S8_S8_S8_S8_S8_EEEEZNS1_11reduce_implILb1ES3_NS6_12zip_iteratorINS7_INS6_11hip_rocprim26transform_input_iterator_tIbNSD_35transform_pair_of_input_iterators_tIbNS6_6detail15normal_iteratorINS6_10device_ptrIKfEEEESL_NS6_8equal_toIfEEEENSG_9not_fun_tINSD_8identityEEEEENSD_19counting_iterator_tIlEES8_S8_S8_S8_S8_S8_S8_S8_EEEEPS9_S9_NSD_9__find_if7functorIS9_EEEE10hipError_tPvRmT1_T2_T3_mT4_P12ihipStream_tbEUlT_E0_NS1_11comp_targetILNS1_3genE9ELNS1_11target_archE1100ELNS1_3gpuE3ELNS1_3repE0EEENS1_30default_config_static_selectorELNS0_4arch9wavefront6targetE0EEEvS14_.has_indirect_call, 0
	.section	.AMDGPU.csdata,"",@progbits
; Kernel info:
; codeLenInByte = 0
; TotalNumSgprs: 0
; NumVgprs: 0
; ScratchSize: 0
; MemoryBound: 0
; FloatMode: 240
; IeeeMode: 1
; LDSByteSize: 0 bytes/workgroup (compile time only)
; SGPRBlocks: 0
; VGPRBlocks: 0
; NumSGPRsForWavesPerEU: 1
; NumVGPRsForWavesPerEU: 1
; NamedBarCnt: 0
; Occupancy: 16
; WaveLimiterHint : 0
; COMPUTE_PGM_RSRC2:SCRATCH_EN: 0
; COMPUTE_PGM_RSRC2:USER_SGPR: 2
; COMPUTE_PGM_RSRC2:TRAP_HANDLER: 0
; COMPUTE_PGM_RSRC2:TGID_X_EN: 1
; COMPUTE_PGM_RSRC2:TGID_Y_EN: 0
; COMPUTE_PGM_RSRC2:TGID_Z_EN: 0
; COMPUTE_PGM_RSRC2:TIDIG_COMP_CNT: 0
	.section	.text._ZN7rocprim17ROCPRIM_400000_NS6detail17trampoline_kernelINS0_14default_configENS1_22reduce_config_selectorIN6thrust23THRUST_200600_302600_NS5tupleIblNS6_9null_typeES8_S8_S8_S8_S8_S8_S8_EEEEZNS1_11reduce_implILb1ES3_NS6_12zip_iteratorINS7_INS6_11hip_rocprim26transform_input_iterator_tIbNSD_35transform_pair_of_input_iterators_tIbNS6_6detail15normal_iteratorINS6_10device_ptrIKfEEEESL_NS6_8equal_toIfEEEENSG_9not_fun_tINSD_8identityEEEEENSD_19counting_iterator_tIlEES8_S8_S8_S8_S8_S8_S8_S8_EEEEPS9_S9_NSD_9__find_if7functorIS9_EEEE10hipError_tPvRmT1_T2_T3_mT4_P12ihipStream_tbEUlT_E0_NS1_11comp_targetILNS1_3genE8ELNS1_11target_archE1030ELNS1_3gpuE2ELNS1_3repE0EEENS1_30default_config_static_selectorELNS0_4arch9wavefront6targetE0EEEvS14_,"axG",@progbits,_ZN7rocprim17ROCPRIM_400000_NS6detail17trampoline_kernelINS0_14default_configENS1_22reduce_config_selectorIN6thrust23THRUST_200600_302600_NS5tupleIblNS6_9null_typeES8_S8_S8_S8_S8_S8_S8_EEEEZNS1_11reduce_implILb1ES3_NS6_12zip_iteratorINS7_INS6_11hip_rocprim26transform_input_iterator_tIbNSD_35transform_pair_of_input_iterators_tIbNS6_6detail15normal_iteratorINS6_10device_ptrIKfEEEESL_NS6_8equal_toIfEEEENSG_9not_fun_tINSD_8identityEEEEENSD_19counting_iterator_tIlEES8_S8_S8_S8_S8_S8_S8_S8_EEEEPS9_S9_NSD_9__find_if7functorIS9_EEEE10hipError_tPvRmT1_T2_T3_mT4_P12ihipStream_tbEUlT_E0_NS1_11comp_targetILNS1_3genE8ELNS1_11target_archE1030ELNS1_3gpuE2ELNS1_3repE0EEENS1_30default_config_static_selectorELNS0_4arch9wavefront6targetE0EEEvS14_,comdat
	.protected	_ZN7rocprim17ROCPRIM_400000_NS6detail17trampoline_kernelINS0_14default_configENS1_22reduce_config_selectorIN6thrust23THRUST_200600_302600_NS5tupleIblNS6_9null_typeES8_S8_S8_S8_S8_S8_S8_EEEEZNS1_11reduce_implILb1ES3_NS6_12zip_iteratorINS7_INS6_11hip_rocprim26transform_input_iterator_tIbNSD_35transform_pair_of_input_iterators_tIbNS6_6detail15normal_iteratorINS6_10device_ptrIKfEEEESL_NS6_8equal_toIfEEEENSG_9not_fun_tINSD_8identityEEEEENSD_19counting_iterator_tIlEES8_S8_S8_S8_S8_S8_S8_S8_EEEEPS9_S9_NSD_9__find_if7functorIS9_EEEE10hipError_tPvRmT1_T2_T3_mT4_P12ihipStream_tbEUlT_E0_NS1_11comp_targetILNS1_3genE8ELNS1_11target_archE1030ELNS1_3gpuE2ELNS1_3repE0EEENS1_30default_config_static_selectorELNS0_4arch9wavefront6targetE0EEEvS14_ ; -- Begin function _ZN7rocprim17ROCPRIM_400000_NS6detail17trampoline_kernelINS0_14default_configENS1_22reduce_config_selectorIN6thrust23THRUST_200600_302600_NS5tupleIblNS6_9null_typeES8_S8_S8_S8_S8_S8_S8_EEEEZNS1_11reduce_implILb1ES3_NS6_12zip_iteratorINS7_INS6_11hip_rocprim26transform_input_iterator_tIbNSD_35transform_pair_of_input_iterators_tIbNS6_6detail15normal_iteratorINS6_10device_ptrIKfEEEESL_NS6_8equal_toIfEEEENSG_9not_fun_tINSD_8identityEEEEENSD_19counting_iterator_tIlEES8_S8_S8_S8_S8_S8_S8_S8_EEEEPS9_S9_NSD_9__find_if7functorIS9_EEEE10hipError_tPvRmT1_T2_T3_mT4_P12ihipStream_tbEUlT_E0_NS1_11comp_targetILNS1_3genE8ELNS1_11target_archE1030ELNS1_3gpuE2ELNS1_3repE0EEENS1_30default_config_static_selectorELNS0_4arch9wavefront6targetE0EEEvS14_
	.globl	_ZN7rocprim17ROCPRIM_400000_NS6detail17trampoline_kernelINS0_14default_configENS1_22reduce_config_selectorIN6thrust23THRUST_200600_302600_NS5tupleIblNS6_9null_typeES8_S8_S8_S8_S8_S8_S8_EEEEZNS1_11reduce_implILb1ES3_NS6_12zip_iteratorINS7_INS6_11hip_rocprim26transform_input_iterator_tIbNSD_35transform_pair_of_input_iterators_tIbNS6_6detail15normal_iteratorINS6_10device_ptrIKfEEEESL_NS6_8equal_toIfEEEENSG_9not_fun_tINSD_8identityEEEEENSD_19counting_iterator_tIlEES8_S8_S8_S8_S8_S8_S8_S8_EEEEPS9_S9_NSD_9__find_if7functorIS9_EEEE10hipError_tPvRmT1_T2_T3_mT4_P12ihipStream_tbEUlT_E0_NS1_11comp_targetILNS1_3genE8ELNS1_11target_archE1030ELNS1_3gpuE2ELNS1_3repE0EEENS1_30default_config_static_selectorELNS0_4arch9wavefront6targetE0EEEvS14_
	.p2align	8
	.type	_ZN7rocprim17ROCPRIM_400000_NS6detail17trampoline_kernelINS0_14default_configENS1_22reduce_config_selectorIN6thrust23THRUST_200600_302600_NS5tupleIblNS6_9null_typeES8_S8_S8_S8_S8_S8_S8_EEEEZNS1_11reduce_implILb1ES3_NS6_12zip_iteratorINS7_INS6_11hip_rocprim26transform_input_iterator_tIbNSD_35transform_pair_of_input_iterators_tIbNS6_6detail15normal_iteratorINS6_10device_ptrIKfEEEESL_NS6_8equal_toIfEEEENSG_9not_fun_tINSD_8identityEEEEENSD_19counting_iterator_tIlEES8_S8_S8_S8_S8_S8_S8_S8_EEEEPS9_S9_NSD_9__find_if7functorIS9_EEEE10hipError_tPvRmT1_T2_T3_mT4_P12ihipStream_tbEUlT_E0_NS1_11comp_targetILNS1_3genE8ELNS1_11target_archE1030ELNS1_3gpuE2ELNS1_3repE0EEENS1_30default_config_static_selectorELNS0_4arch9wavefront6targetE0EEEvS14_,@function
_ZN7rocprim17ROCPRIM_400000_NS6detail17trampoline_kernelINS0_14default_configENS1_22reduce_config_selectorIN6thrust23THRUST_200600_302600_NS5tupleIblNS6_9null_typeES8_S8_S8_S8_S8_S8_S8_EEEEZNS1_11reduce_implILb1ES3_NS6_12zip_iteratorINS7_INS6_11hip_rocprim26transform_input_iterator_tIbNSD_35transform_pair_of_input_iterators_tIbNS6_6detail15normal_iteratorINS6_10device_ptrIKfEEEESL_NS6_8equal_toIfEEEENSG_9not_fun_tINSD_8identityEEEEENSD_19counting_iterator_tIlEES8_S8_S8_S8_S8_S8_S8_S8_EEEEPS9_S9_NSD_9__find_if7functorIS9_EEEE10hipError_tPvRmT1_T2_T3_mT4_P12ihipStream_tbEUlT_E0_NS1_11comp_targetILNS1_3genE8ELNS1_11target_archE1030ELNS1_3gpuE2ELNS1_3repE0EEENS1_30default_config_static_selectorELNS0_4arch9wavefront6targetE0EEEvS14_: ; @_ZN7rocprim17ROCPRIM_400000_NS6detail17trampoline_kernelINS0_14default_configENS1_22reduce_config_selectorIN6thrust23THRUST_200600_302600_NS5tupleIblNS6_9null_typeES8_S8_S8_S8_S8_S8_S8_EEEEZNS1_11reduce_implILb1ES3_NS6_12zip_iteratorINS7_INS6_11hip_rocprim26transform_input_iterator_tIbNSD_35transform_pair_of_input_iterators_tIbNS6_6detail15normal_iteratorINS6_10device_ptrIKfEEEESL_NS6_8equal_toIfEEEENSG_9not_fun_tINSD_8identityEEEEENSD_19counting_iterator_tIlEES8_S8_S8_S8_S8_S8_S8_S8_EEEEPS9_S9_NSD_9__find_if7functorIS9_EEEE10hipError_tPvRmT1_T2_T3_mT4_P12ihipStream_tbEUlT_E0_NS1_11comp_targetILNS1_3genE8ELNS1_11target_archE1030ELNS1_3gpuE2ELNS1_3repE0EEENS1_30default_config_static_selectorELNS0_4arch9wavefront6targetE0EEEvS14_
; %bb.0:
	.section	.rodata,"a",@progbits
	.p2align	6, 0x0
	.amdhsa_kernel _ZN7rocprim17ROCPRIM_400000_NS6detail17trampoline_kernelINS0_14default_configENS1_22reduce_config_selectorIN6thrust23THRUST_200600_302600_NS5tupleIblNS6_9null_typeES8_S8_S8_S8_S8_S8_S8_EEEEZNS1_11reduce_implILb1ES3_NS6_12zip_iteratorINS7_INS6_11hip_rocprim26transform_input_iterator_tIbNSD_35transform_pair_of_input_iterators_tIbNS6_6detail15normal_iteratorINS6_10device_ptrIKfEEEESL_NS6_8equal_toIfEEEENSG_9not_fun_tINSD_8identityEEEEENSD_19counting_iterator_tIlEES8_S8_S8_S8_S8_S8_S8_S8_EEEEPS9_S9_NSD_9__find_if7functorIS9_EEEE10hipError_tPvRmT1_T2_T3_mT4_P12ihipStream_tbEUlT_E0_NS1_11comp_targetILNS1_3genE8ELNS1_11target_archE1030ELNS1_3gpuE2ELNS1_3repE0EEENS1_30default_config_static_selectorELNS0_4arch9wavefront6targetE0EEEvS14_
		.amdhsa_group_segment_fixed_size 0
		.amdhsa_private_segment_fixed_size 0
		.amdhsa_kernarg_size 104
		.amdhsa_user_sgpr_count 2
		.amdhsa_user_sgpr_dispatch_ptr 0
		.amdhsa_user_sgpr_queue_ptr 0
		.amdhsa_user_sgpr_kernarg_segment_ptr 1
		.amdhsa_user_sgpr_dispatch_id 0
		.amdhsa_user_sgpr_kernarg_preload_length 0
		.amdhsa_user_sgpr_kernarg_preload_offset 0
		.amdhsa_user_sgpr_private_segment_size 0
		.amdhsa_wavefront_size32 1
		.amdhsa_uses_dynamic_stack 0
		.amdhsa_enable_private_segment 0
		.amdhsa_system_sgpr_workgroup_id_x 1
		.amdhsa_system_sgpr_workgroup_id_y 0
		.amdhsa_system_sgpr_workgroup_id_z 0
		.amdhsa_system_sgpr_workgroup_info 0
		.amdhsa_system_vgpr_workitem_id 0
		.amdhsa_next_free_vgpr 1
		.amdhsa_next_free_sgpr 1
		.amdhsa_named_barrier_count 0
		.amdhsa_reserve_vcc 0
		.amdhsa_float_round_mode_32 0
		.amdhsa_float_round_mode_16_64 0
		.amdhsa_float_denorm_mode_32 3
		.amdhsa_float_denorm_mode_16_64 3
		.amdhsa_fp16_overflow 0
		.amdhsa_memory_ordered 1
		.amdhsa_forward_progress 1
		.amdhsa_inst_pref_size 0
		.amdhsa_round_robin_scheduling 0
		.amdhsa_exception_fp_ieee_invalid_op 0
		.amdhsa_exception_fp_denorm_src 0
		.amdhsa_exception_fp_ieee_div_zero 0
		.amdhsa_exception_fp_ieee_overflow 0
		.amdhsa_exception_fp_ieee_underflow 0
		.amdhsa_exception_fp_ieee_inexact 0
		.amdhsa_exception_int_div_zero 0
	.end_amdhsa_kernel
	.section	.text._ZN7rocprim17ROCPRIM_400000_NS6detail17trampoline_kernelINS0_14default_configENS1_22reduce_config_selectorIN6thrust23THRUST_200600_302600_NS5tupleIblNS6_9null_typeES8_S8_S8_S8_S8_S8_S8_EEEEZNS1_11reduce_implILb1ES3_NS6_12zip_iteratorINS7_INS6_11hip_rocprim26transform_input_iterator_tIbNSD_35transform_pair_of_input_iterators_tIbNS6_6detail15normal_iteratorINS6_10device_ptrIKfEEEESL_NS6_8equal_toIfEEEENSG_9not_fun_tINSD_8identityEEEEENSD_19counting_iterator_tIlEES8_S8_S8_S8_S8_S8_S8_S8_EEEEPS9_S9_NSD_9__find_if7functorIS9_EEEE10hipError_tPvRmT1_T2_T3_mT4_P12ihipStream_tbEUlT_E0_NS1_11comp_targetILNS1_3genE8ELNS1_11target_archE1030ELNS1_3gpuE2ELNS1_3repE0EEENS1_30default_config_static_selectorELNS0_4arch9wavefront6targetE0EEEvS14_,"axG",@progbits,_ZN7rocprim17ROCPRIM_400000_NS6detail17trampoline_kernelINS0_14default_configENS1_22reduce_config_selectorIN6thrust23THRUST_200600_302600_NS5tupleIblNS6_9null_typeES8_S8_S8_S8_S8_S8_S8_EEEEZNS1_11reduce_implILb1ES3_NS6_12zip_iteratorINS7_INS6_11hip_rocprim26transform_input_iterator_tIbNSD_35transform_pair_of_input_iterators_tIbNS6_6detail15normal_iteratorINS6_10device_ptrIKfEEEESL_NS6_8equal_toIfEEEENSG_9not_fun_tINSD_8identityEEEEENSD_19counting_iterator_tIlEES8_S8_S8_S8_S8_S8_S8_S8_EEEEPS9_S9_NSD_9__find_if7functorIS9_EEEE10hipError_tPvRmT1_T2_T3_mT4_P12ihipStream_tbEUlT_E0_NS1_11comp_targetILNS1_3genE8ELNS1_11target_archE1030ELNS1_3gpuE2ELNS1_3repE0EEENS1_30default_config_static_selectorELNS0_4arch9wavefront6targetE0EEEvS14_,comdat
.Lfunc_end85:
	.size	_ZN7rocprim17ROCPRIM_400000_NS6detail17trampoline_kernelINS0_14default_configENS1_22reduce_config_selectorIN6thrust23THRUST_200600_302600_NS5tupleIblNS6_9null_typeES8_S8_S8_S8_S8_S8_S8_EEEEZNS1_11reduce_implILb1ES3_NS6_12zip_iteratorINS7_INS6_11hip_rocprim26transform_input_iterator_tIbNSD_35transform_pair_of_input_iterators_tIbNS6_6detail15normal_iteratorINS6_10device_ptrIKfEEEESL_NS6_8equal_toIfEEEENSG_9not_fun_tINSD_8identityEEEEENSD_19counting_iterator_tIlEES8_S8_S8_S8_S8_S8_S8_S8_EEEEPS9_S9_NSD_9__find_if7functorIS9_EEEE10hipError_tPvRmT1_T2_T3_mT4_P12ihipStream_tbEUlT_E0_NS1_11comp_targetILNS1_3genE8ELNS1_11target_archE1030ELNS1_3gpuE2ELNS1_3repE0EEENS1_30default_config_static_selectorELNS0_4arch9wavefront6targetE0EEEvS14_, .Lfunc_end85-_ZN7rocprim17ROCPRIM_400000_NS6detail17trampoline_kernelINS0_14default_configENS1_22reduce_config_selectorIN6thrust23THRUST_200600_302600_NS5tupleIblNS6_9null_typeES8_S8_S8_S8_S8_S8_S8_EEEEZNS1_11reduce_implILb1ES3_NS6_12zip_iteratorINS7_INS6_11hip_rocprim26transform_input_iterator_tIbNSD_35transform_pair_of_input_iterators_tIbNS6_6detail15normal_iteratorINS6_10device_ptrIKfEEEESL_NS6_8equal_toIfEEEENSG_9not_fun_tINSD_8identityEEEEENSD_19counting_iterator_tIlEES8_S8_S8_S8_S8_S8_S8_S8_EEEEPS9_S9_NSD_9__find_if7functorIS9_EEEE10hipError_tPvRmT1_T2_T3_mT4_P12ihipStream_tbEUlT_E0_NS1_11comp_targetILNS1_3genE8ELNS1_11target_archE1030ELNS1_3gpuE2ELNS1_3repE0EEENS1_30default_config_static_selectorELNS0_4arch9wavefront6targetE0EEEvS14_
                                        ; -- End function
	.set _ZN7rocprim17ROCPRIM_400000_NS6detail17trampoline_kernelINS0_14default_configENS1_22reduce_config_selectorIN6thrust23THRUST_200600_302600_NS5tupleIblNS6_9null_typeES8_S8_S8_S8_S8_S8_S8_EEEEZNS1_11reduce_implILb1ES3_NS6_12zip_iteratorINS7_INS6_11hip_rocprim26transform_input_iterator_tIbNSD_35transform_pair_of_input_iterators_tIbNS6_6detail15normal_iteratorINS6_10device_ptrIKfEEEESL_NS6_8equal_toIfEEEENSG_9not_fun_tINSD_8identityEEEEENSD_19counting_iterator_tIlEES8_S8_S8_S8_S8_S8_S8_S8_EEEEPS9_S9_NSD_9__find_if7functorIS9_EEEE10hipError_tPvRmT1_T2_T3_mT4_P12ihipStream_tbEUlT_E0_NS1_11comp_targetILNS1_3genE8ELNS1_11target_archE1030ELNS1_3gpuE2ELNS1_3repE0EEENS1_30default_config_static_selectorELNS0_4arch9wavefront6targetE0EEEvS14_.num_vgpr, 0
	.set _ZN7rocprim17ROCPRIM_400000_NS6detail17trampoline_kernelINS0_14default_configENS1_22reduce_config_selectorIN6thrust23THRUST_200600_302600_NS5tupleIblNS6_9null_typeES8_S8_S8_S8_S8_S8_S8_EEEEZNS1_11reduce_implILb1ES3_NS6_12zip_iteratorINS7_INS6_11hip_rocprim26transform_input_iterator_tIbNSD_35transform_pair_of_input_iterators_tIbNS6_6detail15normal_iteratorINS6_10device_ptrIKfEEEESL_NS6_8equal_toIfEEEENSG_9not_fun_tINSD_8identityEEEEENSD_19counting_iterator_tIlEES8_S8_S8_S8_S8_S8_S8_S8_EEEEPS9_S9_NSD_9__find_if7functorIS9_EEEE10hipError_tPvRmT1_T2_T3_mT4_P12ihipStream_tbEUlT_E0_NS1_11comp_targetILNS1_3genE8ELNS1_11target_archE1030ELNS1_3gpuE2ELNS1_3repE0EEENS1_30default_config_static_selectorELNS0_4arch9wavefront6targetE0EEEvS14_.num_agpr, 0
	.set _ZN7rocprim17ROCPRIM_400000_NS6detail17trampoline_kernelINS0_14default_configENS1_22reduce_config_selectorIN6thrust23THRUST_200600_302600_NS5tupleIblNS6_9null_typeES8_S8_S8_S8_S8_S8_S8_EEEEZNS1_11reduce_implILb1ES3_NS6_12zip_iteratorINS7_INS6_11hip_rocprim26transform_input_iterator_tIbNSD_35transform_pair_of_input_iterators_tIbNS6_6detail15normal_iteratorINS6_10device_ptrIKfEEEESL_NS6_8equal_toIfEEEENSG_9not_fun_tINSD_8identityEEEEENSD_19counting_iterator_tIlEES8_S8_S8_S8_S8_S8_S8_S8_EEEEPS9_S9_NSD_9__find_if7functorIS9_EEEE10hipError_tPvRmT1_T2_T3_mT4_P12ihipStream_tbEUlT_E0_NS1_11comp_targetILNS1_3genE8ELNS1_11target_archE1030ELNS1_3gpuE2ELNS1_3repE0EEENS1_30default_config_static_selectorELNS0_4arch9wavefront6targetE0EEEvS14_.numbered_sgpr, 0
	.set _ZN7rocprim17ROCPRIM_400000_NS6detail17trampoline_kernelINS0_14default_configENS1_22reduce_config_selectorIN6thrust23THRUST_200600_302600_NS5tupleIblNS6_9null_typeES8_S8_S8_S8_S8_S8_S8_EEEEZNS1_11reduce_implILb1ES3_NS6_12zip_iteratorINS7_INS6_11hip_rocprim26transform_input_iterator_tIbNSD_35transform_pair_of_input_iterators_tIbNS6_6detail15normal_iteratorINS6_10device_ptrIKfEEEESL_NS6_8equal_toIfEEEENSG_9not_fun_tINSD_8identityEEEEENSD_19counting_iterator_tIlEES8_S8_S8_S8_S8_S8_S8_S8_EEEEPS9_S9_NSD_9__find_if7functorIS9_EEEE10hipError_tPvRmT1_T2_T3_mT4_P12ihipStream_tbEUlT_E0_NS1_11comp_targetILNS1_3genE8ELNS1_11target_archE1030ELNS1_3gpuE2ELNS1_3repE0EEENS1_30default_config_static_selectorELNS0_4arch9wavefront6targetE0EEEvS14_.num_named_barrier, 0
	.set _ZN7rocprim17ROCPRIM_400000_NS6detail17trampoline_kernelINS0_14default_configENS1_22reduce_config_selectorIN6thrust23THRUST_200600_302600_NS5tupleIblNS6_9null_typeES8_S8_S8_S8_S8_S8_S8_EEEEZNS1_11reduce_implILb1ES3_NS6_12zip_iteratorINS7_INS6_11hip_rocprim26transform_input_iterator_tIbNSD_35transform_pair_of_input_iterators_tIbNS6_6detail15normal_iteratorINS6_10device_ptrIKfEEEESL_NS6_8equal_toIfEEEENSG_9not_fun_tINSD_8identityEEEEENSD_19counting_iterator_tIlEES8_S8_S8_S8_S8_S8_S8_S8_EEEEPS9_S9_NSD_9__find_if7functorIS9_EEEE10hipError_tPvRmT1_T2_T3_mT4_P12ihipStream_tbEUlT_E0_NS1_11comp_targetILNS1_3genE8ELNS1_11target_archE1030ELNS1_3gpuE2ELNS1_3repE0EEENS1_30default_config_static_selectorELNS0_4arch9wavefront6targetE0EEEvS14_.private_seg_size, 0
	.set _ZN7rocprim17ROCPRIM_400000_NS6detail17trampoline_kernelINS0_14default_configENS1_22reduce_config_selectorIN6thrust23THRUST_200600_302600_NS5tupleIblNS6_9null_typeES8_S8_S8_S8_S8_S8_S8_EEEEZNS1_11reduce_implILb1ES3_NS6_12zip_iteratorINS7_INS6_11hip_rocprim26transform_input_iterator_tIbNSD_35transform_pair_of_input_iterators_tIbNS6_6detail15normal_iteratorINS6_10device_ptrIKfEEEESL_NS6_8equal_toIfEEEENSG_9not_fun_tINSD_8identityEEEEENSD_19counting_iterator_tIlEES8_S8_S8_S8_S8_S8_S8_S8_EEEEPS9_S9_NSD_9__find_if7functorIS9_EEEE10hipError_tPvRmT1_T2_T3_mT4_P12ihipStream_tbEUlT_E0_NS1_11comp_targetILNS1_3genE8ELNS1_11target_archE1030ELNS1_3gpuE2ELNS1_3repE0EEENS1_30default_config_static_selectorELNS0_4arch9wavefront6targetE0EEEvS14_.uses_vcc, 0
	.set _ZN7rocprim17ROCPRIM_400000_NS6detail17trampoline_kernelINS0_14default_configENS1_22reduce_config_selectorIN6thrust23THRUST_200600_302600_NS5tupleIblNS6_9null_typeES8_S8_S8_S8_S8_S8_S8_EEEEZNS1_11reduce_implILb1ES3_NS6_12zip_iteratorINS7_INS6_11hip_rocprim26transform_input_iterator_tIbNSD_35transform_pair_of_input_iterators_tIbNS6_6detail15normal_iteratorINS6_10device_ptrIKfEEEESL_NS6_8equal_toIfEEEENSG_9not_fun_tINSD_8identityEEEEENSD_19counting_iterator_tIlEES8_S8_S8_S8_S8_S8_S8_S8_EEEEPS9_S9_NSD_9__find_if7functorIS9_EEEE10hipError_tPvRmT1_T2_T3_mT4_P12ihipStream_tbEUlT_E0_NS1_11comp_targetILNS1_3genE8ELNS1_11target_archE1030ELNS1_3gpuE2ELNS1_3repE0EEENS1_30default_config_static_selectorELNS0_4arch9wavefront6targetE0EEEvS14_.uses_flat_scratch, 0
	.set _ZN7rocprim17ROCPRIM_400000_NS6detail17trampoline_kernelINS0_14default_configENS1_22reduce_config_selectorIN6thrust23THRUST_200600_302600_NS5tupleIblNS6_9null_typeES8_S8_S8_S8_S8_S8_S8_EEEEZNS1_11reduce_implILb1ES3_NS6_12zip_iteratorINS7_INS6_11hip_rocprim26transform_input_iterator_tIbNSD_35transform_pair_of_input_iterators_tIbNS6_6detail15normal_iteratorINS6_10device_ptrIKfEEEESL_NS6_8equal_toIfEEEENSG_9not_fun_tINSD_8identityEEEEENSD_19counting_iterator_tIlEES8_S8_S8_S8_S8_S8_S8_S8_EEEEPS9_S9_NSD_9__find_if7functorIS9_EEEE10hipError_tPvRmT1_T2_T3_mT4_P12ihipStream_tbEUlT_E0_NS1_11comp_targetILNS1_3genE8ELNS1_11target_archE1030ELNS1_3gpuE2ELNS1_3repE0EEENS1_30default_config_static_selectorELNS0_4arch9wavefront6targetE0EEEvS14_.has_dyn_sized_stack, 0
	.set _ZN7rocprim17ROCPRIM_400000_NS6detail17trampoline_kernelINS0_14default_configENS1_22reduce_config_selectorIN6thrust23THRUST_200600_302600_NS5tupleIblNS6_9null_typeES8_S8_S8_S8_S8_S8_S8_EEEEZNS1_11reduce_implILb1ES3_NS6_12zip_iteratorINS7_INS6_11hip_rocprim26transform_input_iterator_tIbNSD_35transform_pair_of_input_iterators_tIbNS6_6detail15normal_iteratorINS6_10device_ptrIKfEEEESL_NS6_8equal_toIfEEEENSG_9not_fun_tINSD_8identityEEEEENSD_19counting_iterator_tIlEES8_S8_S8_S8_S8_S8_S8_S8_EEEEPS9_S9_NSD_9__find_if7functorIS9_EEEE10hipError_tPvRmT1_T2_T3_mT4_P12ihipStream_tbEUlT_E0_NS1_11comp_targetILNS1_3genE8ELNS1_11target_archE1030ELNS1_3gpuE2ELNS1_3repE0EEENS1_30default_config_static_selectorELNS0_4arch9wavefront6targetE0EEEvS14_.has_recursion, 0
	.set _ZN7rocprim17ROCPRIM_400000_NS6detail17trampoline_kernelINS0_14default_configENS1_22reduce_config_selectorIN6thrust23THRUST_200600_302600_NS5tupleIblNS6_9null_typeES8_S8_S8_S8_S8_S8_S8_EEEEZNS1_11reduce_implILb1ES3_NS6_12zip_iteratorINS7_INS6_11hip_rocprim26transform_input_iterator_tIbNSD_35transform_pair_of_input_iterators_tIbNS6_6detail15normal_iteratorINS6_10device_ptrIKfEEEESL_NS6_8equal_toIfEEEENSG_9not_fun_tINSD_8identityEEEEENSD_19counting_iterator_tIlEES8_S8_S8_S8_S8_S8_S8_S8_EEEEPS9_S9_NSD_9__find_if7functorIS9_EEEE10hipError_tPvRmT1_T2_T3_mT4_P12ihipStream_tbEUlT_E0_NS1_11comp_targetILNS1_3genE8ELNS1_11target_archE1030ELNS1_3gpuE2ELNS1_3repE0EEENS1_30default_config_static_selectorELNS0_4arch9wavefront6targetE0EEEvS14_.has_indirect_call, 0
	.section	.AMDGPU.csdata,"",@progbits
; Kernel info:
; codeLenInByte = 0
; TotalNumSgprs: 0
; NumVgprs: 0
; ScratchSize: 0
; MemoryBound: 0
; FloatMode: 240
; IeeeMode: 1
; LDSByteSize: 0 bytes/workgroup (compile time only)
; SGPRBlocks: 0
; VGPRBlocks: 0
; NumSGPRsForWavesPerEU: 1
; NumVGPRsForWavesPerEU: 1
; NamedBarCnt: 0
; Occupancy: 16
; WaveLimiterHint : 0
; COMPUTE_PGM_RSRC2:SCRATCH_EN: 0
; COMPUTE_PGM_RSRC2:USER_SGPR: 2
; COMPUTE_PGM_RSRC2:TRAP_HANDLER: 0
; COMPUTE_PGM_RSRC2:TGID_X_EN: 1
; COMPUTE_PGM_RSRC2:TGID_Y_EN: 0
; COMPUTE_PGM_RSRC2:TGID_Z_EN: 0
; COMPUTE_PGM_RSRC2:TIDIG_COMP_CNT: 0
	.section	.text._ZN7rocprim17ROCPRIM_400000_NS6detail17trampoline_kernelINS0_14default_configENS1_22reduce_config_selectorIN6thrust23THRUST_200600_302600_NS5tupleIblNS6_9null_typeES8_S8_S8_S8_S8_S8_S8_EEEEZNS1_11reduce_implILb1ES3_NS6_12zip_iteratorINS7_INS6_11hip_rocprim26transform_input_iterator_tIbNSD_35transform_pair_of_input_iterators_tIbNS6_6detail15normal_iteratorINS6_10device_ptrIKfEEEESL_NS6_8equal_toIfEEEENSG_9not_fun_tINSD_8identityEEEEENSD_19counting_iterator_tIlEES8_S8_S8_S8_S8_S8_S8_S8_EEEEPS9_S9_NSD_9__find_if7functorIS9_EEEE10hipError_tPvRmT1_T2_T3_mT4_P12ihipStream_tbEUlT_E1_NS1_11comp_targetILNS1_3genE0ELNS1_11target_archE4294967295ELNS1_3gpuE0ELNS1_3repE0EEENS1_30default_config_static_selectorELNS0_4arch9wavefront6targetE0EEEvS14_,"axG",@progbits,_ZN7rocprim17ROCPRIM_400000_NS6detail17trampoline_kernelINS0_14default_configENS1_22reduce_config_selectorIN6thrust23THRUST_200600_302600_NS5tupleIblNS6_9null_typeES8_S8_S8_S8_S8_S8_S8_EEEEZNS1_11reduce_implILb1ES3_NS6_12zip_iteratorINS7_INS6_11hip_rocprim26transform_input_iterator_tIbNSD_35transform_pair_of_input_iterators_tIbNS6_6detail15normal_iteratorINS6_10device_ptrIKfEEEESL_NS6_8equal_toIfEEEENSG_9not_fun_tINSD_8identityEEEEENSD_19counting_iterator_tIlEES8_S8_S8_S8_S8_S8_S8_S8_EEEEPS9_S9_NSD_9__find_if7functorIS9_EEEE10hipError_tPvRmT1_T2_T3_mT4_P12ihipStream_tbEUlT_E1_NS1_11comp_targetILNS1_3genE0ELNS1_11target_archE4294967295ELNS1_3gpuE0ELNS1_3repE0EEENS1_30default_config_static_selectorELNS0_4arch9wavefront6targetE0EEEvS14_,comdat
	.protected	_ZN7rocprim17ROCPRIM_400000_NS6detail17trampoline_kernelINS0_14default_configENS1_22reduce_config_selectorIN6thrust23THRUST_200600_302600_NS5tupleIblNS6_9null_typeES8_S8_S8_S8_S8_S8_S8_EEEEZNS1_11reduce_implILb1ES3_NS6_12zip_iteratorINS7_INS6_11hip_rocprim26transform_input_iterator_tIbNSD_35transform_pair_of_input_iterators_tIbNS6_6detail15normal_iteratorINS6_10device_ptrIKfEEEESL_NS6_8equal_toIfEEEENSG_9not_fun_tINSD_8identityEEEEENSD_19counting_iterator_tIlEES8_S8_S8_S8_S8_S8_S8_S8_EEEEPS9_S9_NSD_9__find_if7functorIS9_EEEE10hipError_tPvRmT1_T2_T3_mT4_P12ihipStream_tbEUlT_E1_NS1_11comp_targetILNS1_3genE0ELNS1_11target_archE4294967295ELNS1_3gpuE0ELNS1_3repE0EEENS1_30default_config_static_selectorELNS0_4arch9wavefront6targetE0EEEvS14_ ; -- Begin function _ZN7rocprim17ROCPRIM_400000_NS6detail17trampoline_kernelINS0_14default_configENS1_22reduce_config_selectorIN6thrust23THRUST_200600_302600_NS5tupleIblNS6_9null_typeES8_S8_S8_S8_S8_S8_S8_EEEEZNS1_11reduce_implILb1ES3_NS6_12zip_iteratorINS7_INS6_11hip_rocprim26transform_input_iterator_tIbNSD_35transform_pair_of_input_iterators_tIbNS6_6detail15normal_iteratorINS6_10device_ptrIKfEEEESL_NS6_8equal_toIfEEEENSG_9not_fun_tINSD_8identityEEEEENSD_19counting_iterator_tIlEES8_S8_S8_S8_S8_S8_S8_S8_EEEEPS9_S9_NSD_9__find_if7functorIS9_EEEE10hipError_tPvRmT1_T2_T3_mT4_P12ihipStream_tbEUlT_E1_NS1_11comp_targetILNS1_3genE0ELNS1_11target_archE4294967295ELNS1_3gpuE0ELNS1_3repE0EEENS1_30default_config_static_selectorELNS0_4arch9wavefront6targetE0EEEvS14_
	.globl	_ZN7rocprim17ROCPRIM_400000_NS6detail17trampoline_kernelINS0_14default_configENS1_22reduce_config_selectorIN6thrust23THRUST_200600_302600_NS5tupleIblNS6_9null_typeES8_S8_S8_S8_S8_S8_S8_EEEEZNS1_11reduce_implILb1ES3_NS6_12zip_iteratorINS7_INS6_11hip_rocprim26transform_input_iterator_tIbNSD_35transform_pair_of_input_iterators_tIbNS6_6detail15normal_iteratorINS6_10device_ptrIKfEEEESL_NS6_8equal_toIfEEEENSG_9not_fun_tINSD_8identityEEEEENSD_19counting_iterator_tIlEES8_S8_S8_S8_S8_S8_S8_S8_EEEEPS9_S9_NSD_9__find_if7functorIS9_EEEE10hipError_tPvRmT1_T2_T3_mT4_P12ihipStream_tbEUlT_E1_NS1_11comp_targetILNS1_3genE0ELNS1_11target_archE4294967295ELNS1_3gpuE0ELNS1_3repE0EEENS1_30default_config_static_selectorELNS0_4arch9wavefront6targetE0EEEvS14_
	.p2align	8
	.type	_ZN7rocprim17ROCPRIM_400000_NS6detail17trampoline_kernelINS0_14default_configENS1_22reduce_config_selectorIN6thrust23THRUST_200600_302600_NS5tupleIblNS6_9null_typeES8_S8_S8_S8_S8_S8_S8_EEEEZNS1_11reduce_implILb1ES3_NS6_12zip_iteratorINS7_INS6_11hip_rocprim26transform_input_iterator_tIbNSD_35transform_pair_of_input_iterators_tIbNS6_6detail15normal_iteratorINS6_10device_ptrIKfEEEESL_NS6_8equal_toIfEEEENSG_9not_fun_tINSD_8identityEEEEENSD_19counting_iterator_tIlEES8_S8_S8_S8_S8_S8_S8_S8_EEEEPS9_S9_NSD_9__find_if7functorIS9_EEEE10hipError_tPvRmT1_T2_T3_mT4_P12ihipStream_tbEUlT_E1_NS1_11comp_targetILNS1_3genE0ELNS1_11target_archE4294967295ELNS1_3gpuE0ELNS1_3repE0EEENS1_30default_config_static_selectorELNS0_4arch9wavefront6targetE0EEEvS14_,@function
_ZN7rocprim17ROCPRIM_400000_NS6detail17trampoline_kernelINS0_14default_configENS1_22reduce_config_selectorIN6thrust23THRUST_200600_302600_NS5tupleIblNS6_9null_typeES8_S8_S8_S8_S8_S8_S8_EEEEZNS1_11reduce_implILb1ES3_NS6_12zip_iteratorINS7_INS6_11hip_rocprim26transform_input_iterator_tIbNSD_35transform_pair_of_input_iterators_tIbNS6_6detail15normal_iteratorINS6_10device_ptrIKfEEEESL_NS6_8equal_toIfEEEENSG_9not_fun_tINSD_8identityEEEEENSD_19counting_iterator_tIlEES8_S8_S8_S8_S8_S8_S8_S8_EEEEPS9_S9_NSD_9__find_if7functorIS9_EEEE10hipError_tPvRmT1_T2_T3_mT4_P12ihipStream_tbEUlT_E1_NS1_11comp_targetILNS1_3genE0ELNS1_11target_archE4294967295ELNS1_3gpuE0ELNS1_3repE0EEENS1_30default_config_static_selectorELNS0_4arch9wavefront6targetE0EEEvS14_: ; @_ZN7rocprim17ROCPRIM_400000_NS6detail17trampoline_kernelINS0_14default_configENS1_22reduce_config_selectorIN6thrust23THRUST_200600_302600_NS5tupleIblNS6_9null_typeES8_S8_S8_S8_S8_S8_S8_EEEEZNS1_11reduce_implILb1ES3_NS6_12zip_iteratorINS7_INS6_11hip_rocprim26transform_input_iterator_tIbNSD_35transform_pair_of_input_iterators_tIbNS6_6detail15normal_iteratorINS6_10device_ptrIKfEEEESL_NS6_8equal_toIfEEEENSG_9not_fun_tINSD_8identityEEEEENSD_19counting_iterator_tIlEES8_S8_S8_S8_S8_S8_S8_S8_EEEEPS9_S9_NSD_9__find_if7functorIS9_EEEE10hipError_tPvRmT1_T2_T3_mT4_P12ihipStream_tbEUlT_E1_NS1_11comp_targetILNS1_3genE0ELNS1_11target_archE4294967295ELNS1_3gpuE0ELNS1_3repE0EEENS1_30default_config_static_selectorELNS0_4arch9wavefront6targetE0EEEvS14_
; %bb.0:
	s_clause 0x2
	s_load_b32 s24, s[0:1], 0x4
	s_load_b128 s[16:19], s[0:1], 0x8
	s_load_b128 s[12:15], s[0:1], 0x28
	s_wait_kmcnt 0x0
	s_cmp_lt_i32 s24, 4
	s_cbranch_scc1 .LBB86_14
; %bb.1:
	s_cmp_gt_i32 s24, 7
	s_cbranch_scc0 .LBB86_15
; %bb.2:
	s_cmp_eq_u32 s24, 8
	s_mov_b32 s25, 0
	s_cbranch_scc0 .LBB86_16
; %bb.3:
	s_bfe_u32 s2, ttmp6, 0x4000c
	s_and_b32 s3, ttmp6, 15
	s_add_co_i32 s2, s2, 1
	s_getreg_b32 s4, hwreg(HW_REG_IB_STS2, 6, 4)
	s_mul_i32 s2, ttmp9, s2
	s_mov_b32 s11, 0
	s_add_co_i32 s3, s3, s2
	s_cmp_eq_u32 s4, 0
	s_mov_b32 s7, s11
	s_cselect_b32 s10, ttmp9, s3
	s_lshr_b64 s[2:3], s[14:15], 10
	s_lshl_b32 s6, s10, 10
	s_delay_alu instid0(SALU_CYCLE_1)
	s_lshl_b64 s[4:5], s[6:7], 2
	s_cmp_lg_u64 s[2:3], s[10:11]
	s_add_nc_u64 s[8:9], s[16:17], s[4:5]
	s_add_nc_u64 s[22:23], s[18:19], s[4:5]
	s_add_nc_u64 s[20:21], s[12:13], s[6:7]
	s_cbranch_scc0 .LBB86_29
; %bb.4:
	s_clause 0xf
	global_load_b32 v1, v0, s[8:9] offset:512 scale_offset
	global_load_b32 v2, v0, s[22:23] scale_offset
	global_load_b32 v3, v0, s[22:23] offset:512 scale_offset
	global_load_b32 v4, v0, s[22:23] offset:1024 scale_offset
	;; [unrolled: 1-line block ×4, first 2 shown]
	global_load_b32 v7, v0, s[8:9] scale_offset
	global_load_b32 v8, v0, s[8:9] offset:1024 scale_offset
	global_load_b32 v9, v0, s[8:9] offset:2048 scale_offset
	;; [unrolled: 1-line block ×9, first 2 shown]
	v_mov_b32_e32 v17, 0x80
	v_mov_b32_e32 v18, 0x180
	;; [unrolled: 1-line block ×3, first 2 shown]
	s_wait_loadcnt 0xd
	v_cmp_neq_f32_e32 vcc_lo, v1, v3
	s_wait_loadcnt 0x9
	v_cmp_neq_f32_e64 s2, v7, v2
	v_cndmask_b32_e32 v1, 0x100, v17, vcc_lo
	s_wait_loadcnt 0x8
	v_cmp_neq_f32_e64 s3, v8, v4
	s_wait_loadcnt 0x6
	v_cmp_neq_f32_e64 s5, v10, v5
	v_cmp_neq_f32_e64 s4, v9, v6
	v_cndmask_b32_e64 v1, v1, 0, s2
	s_or_b32 s2, s2, vcc_lo
	v_cndmask_b32_e64 v2, 0x200, v18, s5
	s_wait_loadcnt 0x4
	v_cmp_neq_f32_e32 vcc_lo, v11, v12
	s_or_b32 s2, s2, s3
	s_delay_alu instid0(SALU_CYCLE_1)
	s_or_b32 s3, s2, s5
	v_cndmask_b32_e64 v2, v2, v1, s2
	v_cndmask_b32_e32 v3, 0x300, v19, vcc_lo
	v_mov_b32_e32 v1, 0
	s_wait_loadcnt 0x2
	v_cmp_neq_f32_e64 s2, v14, v13
	s_or_b32 s3, s3, s4
	s_delay_alu instid0(SALU_CYCLE_1)
	v_dual_mov_b32 v5, v1 :: v_dual_cndmask_b32 v4, v3, v2, s3
	s_or_b32 s3, s3, vcc_lo
	v_add_nc_u64_e32 v[2:3], s[20:21], v[0:1]
	s_or_b32 vcc_lo, s3, s2
	s_wait_loadcnt 0x0
	v_cmp_neq_f32_e64 s2, v15, v16
	v_cndmask_b32_e32 v4, 0x380, v4, vcc_lo
	s_or_b32 vcc_lo, vcc_lo, s2
	s_delay_alu instid0(VALU_DEP_1) | instskip(SKIP_2) | instid1(VALU_DEP_1)
	v_add_nc_u64_e32 v[2:3], v[2:3], v[4:5]
	v_cndmask_b32_e64 v8, 0, 1, vcc_lo
	s_mov_b32 s2, exec_lo
	v_mov_b32_dpp v9, v8 quad_perm:[1,0,3,2] row_mask:0xf bank_mask:0xf
	s_delay_alu instid0(VALU_DEP_3) | instskip(NEXT) | instid1(VALU_DEP_4)
	v_mov_b32_dpp v4, v2 quad_perm:[1,0,3,2] row_mask:0xf bank_mask:0xf
	v_mov_b32_dpp v5, v3 quad_perm:[1,0,3,2] row_mask:0xf bank_mask:0xf
	s_delay_alu instid0(VALU_DEP_3) | instskip(NEXT) | instid1(VALU_DEP_2)
	v_and_b32_e32 v9, 1, v9
	v_min_i64 v[6:7], v[2:3], v[4:5]
	s_delay_alu instid0(VALU_DEP_1) | instskip(NEXT) | instid1(VALU_DEP_3)
	v_dual_cndmask_b32 v4, v4, v6 :: v_dual_cndmask_b32 v5, v5, v7
	v_cmp_eq_u32_e32 vcc_lo, 1, v9
	v_cndmask_b32_e64 v8, v8, 1, vcc_lo
	s_delay_alu instid0(VALU_DEP_3) | instskip(NEXT) | instid1(VALU_DEP_2)
	v_cndmask_b32_e32 v2, v2, v4, vcc_lo
	v_and_b32_e32 v9, 1, v8
	v_mov_b32_dpp v10, v8 quad_perm:[2,3,0,1] row_mask:0xf bank_mask:0xf
	v_cndmask_b32_e32 v3, v3, v5, vcc_lo
	s_delay_alu instid0(VALU_DEP_4) | instskip(NEXT) | instid1(VALU_DEP_4)
	v_mov_b32_dpp v4, v2 quad_perm:[2,3,0,1] row_mask:0xf bank_mask:0xf
	v_cmp_eq_u32_e32 vcc_lo, 1, v9
	s_delay_alu instid0(VALU_DEP_4) | instskip(NEXT) | instid1(VALU_DEP_4)
	v_and_b32_e32 v9, 1, v10
	v_mov_b32_dpp v5, v3 quad_perm:[2,3,0,1] row_mask:0xf bank_mask:0xf
	s_delay_alu instid0(VALU_DEP_1) | instskip(NEXT) | instid1(VALU_DEP_1)
	v_min_i64 v[6:7], v[2:3], v[4:5]
	v_dual_cndmask_b32 v4, v4, v6 :: v_dual_cndmask_b32 v5, v5, v7
	s_delay_alu instid0(VALU_DEP_4) | instskip(NEXT) | instid1(VALU_DEP_2)
	v_cmp_eq_u32_e32 vcc_lo, 1, v9
	v_dual_cndmask_b32 v3, v3, v5 :: v_dual_cndmask_b32 v2, v2, v4
	v_cndmask_b32_e64 v8, v8, 1, vcc_lo
	s_delay_alu instid0(VALU_DEP_2) | instskip(NEXT) | instid1(VALU_DEP_3)
	v_mov_b32_dpp v5, v3 row_ror:4 row_mask:0xf bank_mask:0xf
	v_mov_b32_dpp v4, v2 row_ror:4 row_mask:0xf bank_mask:0xf
	s_delay_alu instid0(VALU_DEP_3) | instskip(NEXT) | instid1(VALU_DEP_2)
	v_mov_b32_dpp v10, v8 row_ror:4 row_mask:0xf bank_mask:0xf
	v_min_i64 v[6:7], v[2:3], v[4:5]
	v_and_b32_e32 v9, 1, v8
	s_delay_alu instid0(VALU_DEP_1) | instskip(NEXT) | instid1(VALU_DEP_3)
	v_cmp_eq_u32_e32 vcc_lo, 1, v9
	v_dual_cndmask_b32 v5, v5, v7, vcc_lo :: v_dual_bitop2_b32 v9, 1, v10 bitop3:0x40
	s_delay_alu instid0(VALU_DEP_4) | instskip(NEXT) | instid1(VALU_DEP_2)
	v_cndmask_b32_e32 v4, v4, v6, vcc_lo
	v_cmp_eq_u32_e32 vcc_lo, 1, v9
	s_delay_alu instid0(VALU_DEP_2) | instskip(SKIP_1) | instid1(VALU_DEP_2)
	v_dual_cndmask_b32 v3, v3, v5 :: v_dual_cndmask_b32 v2, v2, v4
	v_cndmask_b32_e64 v8, v8, 1, vcc_lo
	v_mov_b32_dpp v5, v3 row_ror:8 row_mask:0xf bank_mask:0xf
	s_delay_alu instid0(VALU_DEP_3) | instskip(NEXT) | instid1(VALU_DEP_3)
	v_mov_b32_dpp v4, v2 row_ror:8 row_mask:0xf bank_mask:0xf
	v_mov_b32_dpp v10, v8 row_ror:8 row_mask:0xf bank_mask:0xf
	s_delay_alu instid0(VALU_DEP_2) | instskip(SKIP_1) | instid1(VALU_DEP_1)
	v_min_i64 v[6:7], v[2:3], v[4:5]
	v_and_b32_e32 v9, 1, v8
	v_cmp_eq_u32_e32 vcc_lo, 1, v9
	s_delay_alu instid0(VALU_DEP_3) | instskip(NEXT) | instid1(VALU_DEP_4)
	v_dual_cndmask_b32 v5, v5, v7, vcc_lo :: v_dual_bitop2_b32 v9, 1, v10 bitop3:0x40
	v_cndmask_b32_e32 v4, v4, v6, vcc_lo
	s_delay_alu instid0(VALU_DEP_2) | instskip(NEXT) | instid1(VALU_DEP_2)
	v_cmp_eq_u32_e32 vcc_lo, 1, v9
	v_dual_cndmask_b32 v3, v3, v5 :: v_dual_cndmask_b32 v2, v2, v4
	v_cndmask_b32_e64 v8, v8, 1, vcc_lo
	ds_swizzle_b32 v5, v3 offset:swizzle(BROADCAST,32,15)
	ds_swizzle_b32 v4, v2 offset:swizzle(BROADCAST,32,15)
	;; [unrolled: 1-line block ×3, first 2 shown]
	s_wait_dscnt 0x1
	v_min_i64 v[6:7], v[2:3], v[4:5]
	v_and_b32_e32 v10, 1, v8
	s_delay_alu instid0(VALU_DEP_1) | instskip(SKIP_1) | instid1(VALU_DEP_3)
	v_cmp_eq_u32_e32 vcc_lo, 1, v10
	s_wait_dscnt 0x0
	v_dual_cndmask_b32 v5, v5, v7, vcc_lo :: v_dual_bitop2_b32 v9, 1, v9 bitop3:0x40
	s_delay_alu instid0(VALU_DEP_4) | instskip(NEXT) | instid1(VALU_DEP_2)
	v_cndmask_b32_e32 v4, v4, v6, vcc_lo
	v_cmp_eq_u32_e32 vcc_lo, 1, v9
	s_delay_alu instid0(VALU_DEP_2)
	v_dual_cndmask_b32 v3, v3, v5 :: v_dual_cndmask_b32 v2, v2, v4
	v_cndmask_b32_e64 v5, v8, 1, vcc_lo
	ds_bpermute_b32 v3, v1, v3 offset:124
	ds_bpermute_b32 v2, v1, v2 offset:124
	;; [unrolled: 1-line block ×3, first 2 shown]
	v_mbcnt_lo_u32_b32 v1, -1, 0
	s_delay_alu instid0(VALU_DEP_1)
	v_cmpx_eq_u32_e32 0, v1
	s_cbranch_execz .LBB86_6
; %bb.5:
	v_lshrrev_b32_e32 v4, 1, v0
	s_delay_alu instid0(VALU_DEP_1)
	v_and_b32_e32 v4, 48, v4
	s_wait_dscnt 0x0
	ds_store_b8 v4, v20 offset:192
	ds_store_b64 v4, v[2:3] offset:200
.LBB86_6:
	s_or_b32 exec_lo, exec_lo, s2
	s_delay_alu instid0(SALU_CYCLE_1)
	s_mov_b32 s2, exec_lo
	s_wait_dscnt 0x0
	s_barrier_signal -1
	s_barrier_wait -1
	v_cmpx_gt_u32_e32 32, v0
	s_cbranch_execz .LBB86_12
; %bb.7:
	v_and_b32_e32 v2, 3, v1
	s_delay_alu instid0(VALU_DEP_1) | instskip(SKIP_2) | instid1(VALU_DEP_1)
	v_cmp_ne_u32_e32 vcc_lo, 3, v2
	v_lshlrev_b32_e32 v3, 4, v2
	v_add_co_ci_u32_e64 v2, null, 0, v1, vcc_lo
	v_lshlrev_b32_e32 v2, 2, v2
	ds_load_u8 v8, v3 offset:192
	ds_load_b64 v[4:5], v3 offset:200
	s_wait_dscnt 0x1
	v_and_b32_e32 v3, 0xff, v8
	s_wait_dscnt 0x0
	ds_bpermute_b32 v6, v2, v4
	ds_bpermute_b32 v7, v2, v5
	;; [unrolled: 1-line block ×3, first 2 shown]
	s_wait_dscnt 0x0
	v_and_b32_e32 v2, v8, v9
	s_delay_alu instid0(VALU_DEP_1) | instskip(NEXT) | instid1(VALU_DEP_1)
	v_and_b32_e32 v2, 1, v2
	v_cmp_eq_u32_e32 vcc_lo, 1, v2
                                        ; implicit-def: $vgpr2_vgpr3
	s_and_saveexec_b32 s3, vcc_lo
	s_delay_alu instid0(SALU_CYCLE_1)
	s_xor_b32 s3, exec_lo, s3
; %bb.8:
	v_min_i64 v[2:3], v[6:7], v[4:5]
                                        ; implicit-def: $vgpr8
                                        ; implicit-def: $vgpr6_vgpr7
                                        ; implicit-def: $vgpr4_vgpr5
                                        ; implicit-def: $vgpr9
; %bb.9:
	s_or_saveexec_b32 s3, s3
	v_dual_mov_b32 v10, 1 :: v_dual_lshlrev_b32 v1, 2, v1
	s_xor_b32 exec_lo, exec_lo, s3
; %bb.10:
	v_and_b32_e32 v2, 1, v8
	v_and_b32_e32 v8, 0xff, v9
	s_delay_alu instid0(VALU_DEP_2) | instskip(SKIP_1) | instid1(VALU_DEP_3)
	v_cmp_eq_u32_e32 vcc_lo, 1, v2
	v_dual_cndmask_b32 v3, v7, v5 :: v_dual_cndmask_b32 v2, v6, v4
	v_cndmask_b32_e64 v10, v8, 1, vcc_lo
; %bb.11:
	s_or_b32 exec_lo, exec_lo, s3
	s_delay_alu instid0(VALU_DEP_1) | instskip(NEXT) | instid1(VALU_DEP_1)
	v_and_b32_e32 v8, 1, v10
	v_cmp_eq_u32_e32 vcc_lo, 1, v8
	v_or_b32_e32 v1, 8, v1
	ds_bpermute_b32 v4, v1, v2
	ds_bpermute_b32 v5, v1, v3
	s_wait_dscnt 0x0
	v_min_i64 v[6:7], v[4:5], v[2:3]
	v_cndmask_b32_e32 v2, v4, v2, vcc_lo
	ds_bpermute_b32 v1, v1, v10
	v_cndmask_b32_e32 v3, v5, v3, vcc_lo
	s_wait_dscnt 0x0
	v_bitop3_b32 v8, v10, 1, v1 bitop3:0x80
	v_cndmask_b32_e64 v1, v1, 1, vcc_lo
	s_delay_alu instid0(VALU_DEP_2) | instskip(NEXT) | instid1(VALU_DEP_2)
	v_cmp_eq_u32_e32 vcc_lo, 0, v8
	v_dual_cndmask_b32 v20, 1, v1 :: v_dual_cndmask_b32 v3, v7, v3
	v_cndmask_b32_e32 v2, v6, v2, vcc_lo
.LBB86_12:
	s_or_b32 exec_lo, exec_lo, s2
.LBB86_13:
	v_cmp_eq_u32_e64 s2, 0, v0
	s_and_b32 vcc_lo, exec_lo, s25
	s_cbranch_vccnz .LBB86_17
	s_branch .LBB86_118
.LBB86_14:
	s_mov_b32 s2, 0
                                        ; implicit-def: $sgpr10_sgpr11
                                        ; implicit-def: $vgpr2_vgpr3
                                        ; implicit-def: $vgpr20
	s_cbranch_execnz .LBB86_155
	s_branch .LBB86_211
.LBB86_15:
	s_mov_b32 s25, -1
.LBB86_16:
	s_mov_b32 s2, 0
                                        ; implicit-def: $sgpr10_sgpr11
                                        ; implicit-def: $vgpr2_vgpr3
                                        ; implicit-def: $vgpr20
	s_and_b32 vcc_lo, exec_lo, s25
	s_cbranch_vccz .LBB86_118
.LBB86_17:
	s_cmp_eq_u32 s24, 4
	s_cbranch_scc0 .LBB86_28
; %bb.18:
	s_bfe_u32 s2, ttmp6, 0x4000c
	s_and_b32 s3, ttmp6, 15
	s_add_co_i32 s2, s2, 1
	s_getreg_b32 s4, hwreg(HW_REG_IB_STS2, 6, 4)
	s_mul_i32 s2, ttmp9, s2
	s_mov_b32 s11, 0
	s_add_co_i32 s3, s3, s2
	s_cmp_eq_u32 s4, 0
	s_mov_b32 s21, s11
	s_cselect_b32 s10, ttmp9, s3
	s_lshr_b64 s[2:3], s[14:15], 9
	s_lshl_b32 s20, s10, 9
	s_delay_alu instid0(SALU_CYCLE_1)
	s_lshl_b64 s[4:5], s[20:21], 2
	s_cmp_lg_u64 s[2:3], s[10:11]
	s_add_nc_u64 s[6:7], s[16:17], s[4:5]
	s_add_nc_u64 s[8:9], s[18:19], s[4:5]
	;; [unrolled: 1-line block ×3, first 2 shown]
	s_cbranch_scc0 .LBB86_52
; %bb.19:
	s_wait_dscnt 0x2
	s_clause 0x2
	global_load_b32 v1, v0, s[6:7] offset:512 scale_offset
	global_load_b32 v2, v0, s[8:9] offset:512 scale_offset
	global_load_b32 v3, v0, s[6:7] scale_offset
	s_wait_dscnt 0x1
	global_load_b32 v4, v0, s[8:9] scale_offset
	s_wait_dscnt 0x0
	s_clause 0x3
	global_load_b32 v5, v0, s[6:7] offset:1024 scale_offset
	global_load_b32 v6, v0, s[8:9] offset:1024 scale_offset
	;; [unrolled: 1-line block ×4, first 2 shown]
	v_mov_b32_e32 v7, 0x80
	s_wait_loadcnt 0x6
	v_cmp_neq_f32_e32 vcc_lo, v1, v2
	v_mov_b32_e32 v1, 0
	s_wait_loadcnt 0x4
	v_cmp_neq_f32_e64 s2, v3, v4
	s_wait_loadcnt 0x2
	v_cmp_neq_f32_e64 s3, v5, v6
	v_cndmask_b32_e32 v2, 0x100, v7, vcc_lo
	s_delay_alu instid0(VALU_DEP_1) | instskip(SKIP_3) | instid1(VALU_DEP_2)
	v_cndmask_b32_e64 v4, v2, 0, s2
	s_or_b32 s2, s2, vcc_lo
	v_add_nc_u64_e32 v[2:3], s[4:5], v[0:1]
	s_or_b32 vcc_lo, s2, s3
	v_dual_mov_b32 v5, v1 :: v_dual_cndmask_b32 v4, 0x180, v4
	s_wait_loadcnt 0x0
	v_cmp_neq_f32_e64 s2, v9, v8
	s_delay_alu instid0(VALU_DEP_2) | instskip(SKIP_3) | instid1(VALU_DEP_2)
	v_add_nc_u64_e32 v[2:3], v[2:3], v[4:5]
	s_or_b32 vcc_lo, vcc_lo, s2
	s_mov_b32 s2, exec_lo
	v_cndmask_b32_e64 v8, 0, 1, vcc_lo
	v_mov_b32_dpp v4, v2 quad_perm:[1,0,3,2] row_mask:0xf bank_mask:0xf
	s_delay_alu instid0(VALU_DEP_3) | instskip(NEXT) | instid1(VALU_DEP_3)
	v_mov_b32_dpp v5, v3 quad_perm:[1,0,3,2] row_mask:0xf bank_mask:0xf
	v_mov_b32_dpp v9, v8 quad_perm:[1,0,3,2] row_mask:0xf bank_mask:0xf
	s_delay_alu instid0(VALU_DEP_2) | instskip(NEXT) | instid1(VALU_DEP_1)
	v_min_i64 v[6:7], v[2:3], v[4:5]
	v_dual_cndmask_b32 v5, v5, v7, vcc_lo :: v_dual_bitop2_b32 v9, 1, v9 bitop3:0x40
	s_delay_alu instid0(VALU_DEP_2) | instskip(NEXT) | instid1(VALU_DEP_2)
	v_cndmask_b32_e32 v4, v4, v6, vcc_lo
	v_cmp_eq_u32_e32 vcc_lo, 1, v9
	s_delay_alu instid0(VALU_DEP_2) | instskip(SKIP_1) | instid1(VALU_DEP_2)
	v_dual_cndmask_b32 v3, v3, v5 :: v_dual_cndmask_b32 v2, v2, v4
	v_cndmask_b32_e64 v8, v8, 1, vcc_lo
	v_mov_b32_dpp v5, v3 quad_perm:[2,3,0,1] row_mask:0xf bank_mask:0xf
	s_delay_alu instid0(VALU_DEP_3) | instskip(NEXT) | instid1(VALU_DEP_3)
	v_mov_b32_dpp v4, v2 quad_perm:[2,3,0,1] row_mask:0xf bank_mask:0xf
	v_mov_b32_dpp v10, v8 quad_perm:[2,3,0,1] row_mask:0xf bank_mask:0xf
	s_delay_alu instid0(VALU_DEP_2) | instskip(SKIP_1) | instid1(VALU_DEP_1)
	v_min_i64 v[6:7], v[2:3], v[4:5]
	v_and_b32_e32 v9, 1, v8
	v_cmp_eq_u32_e32 vcc_lo, 1, v9
	s_delay_alu instid0(VALU_DEP_3) | instskip(NEXT) | instid1(VALU_DEP_4)
	v_dual_cndmask_b32 v5, v5, v7, vcc_lo :: v_dual_bitop2_b32 v9, 1, v10 bitop3:0x40
	v_cndmask_b32_e32 v4, v4, v6, vcc_lo
	s_delay_alu instid0(VALU_DEP_2) | instskip(NEXT) | instid1(VALU_DEP_2)
	v_cmp_eq_u32_e32 vcc_lo, 1, v9
	v_dual_cndmask_b32 v3, v3, v5 :: v_dual_cndmask_b32 v2, v2, v4
	v_cndmask_b32_e64 v8, v8, 1, vcc_lo
	s_delay_alu instid0(VALU_DEP_2) | instskip(NEXT) | instid1(VALU_DEP_3)
	v_mov_b32_dpp v5, v3 row_ror:4 row_mask:0xf bank_mask:0xf
	v_mov_b32_dpp v4, v2 row_ror:4 row_mask:0xf bank_mask:0xf
	s_delay_alu instid0(VALU_DEP_3) | instskip(NEXT) | instid1(VALU_DEP_2)
	v_mov_b32_dpp v10, v8 row_ror:4 row_mask:0xf bank_mask:0xf
	v_min_i64 v[6:7], v[2:3], v[4:5]
	v_and_b32_e32 v9, 1, v8
	s_delay_alu instid0(VALU_DEP_1) | instskip(NEXT) | instid1(VALU_DEP_3)
	v_cmp_eq_u32_e32 vcc_lo, 1, v9
	v_dual_cndmask_b32 v5, v5, v7, vcc_lo :: v_dual_bitop2_b32 v9, 1, v10 bitop3:0x40
	s_delay_alu instid0(VALU_DEP_4) | instskip(NEXT) | instid1(VALU_DEP_2)
	v_cndmask_b32_e32 v4, v4, v6, vcc_lo
	v_cmp_eq_u32_e32 vcc_lo, 1, v9
	s_delay_alu instid0(VALU_DEP_2) | instskip(SKIP_1) | instid1(VALU_DEP_2)
	v_dual_cndmask_b32 v3, v3, v5 :: v_dual_cndmask_b32 v2, v2, v4
	v_cndmask_b32_e64 v8, v8, 1, vcc_lo
	v_mov_b32_dpp v5, v3 row_ror:8 row_mask:0xf bank_mask:0xf
	s_delay_alu instid0(VALU_DEP_3) | instskip(NEXT) | instid1(VALU_DEP_3)
	v_mov_b32_dpp v4, v2 row_ror:8 row_mask:0xf bank_mask:0xf
	v_mov_b32_dpp v10, v8 row_ror:8 row_mask:0xf bank_mask:0xf
	s_delay_alu instid0(VALU_DEP_2) | instskip(SKIP_1) | instid1(VALU_DEP_1)
	v_min_i64 v[6:7], v[2:3], v[4:5]
	v_and_b32_e32 v9, 1, v8
	v_cmp_eq_u32_e32 vcc_lo, 1, v9
	s_delay_alu instid0(VALU_DEP_3) | instskip(NEXT) | instid1(VALU_DEP_4)
	v_dual_cndmask_b32 v5, v5, v7, vcc_lo :: v_dual_bitop2_b32 v9, 1, v10 bitop3:0x40
	v_cndmask_b32_e32 v4, v4, v6, vcc_lo
	s_delay_alu instid0(VALU_DEP_2) | instskip(NEXT) | instid1(VALU_DEP_2)
	v_cmp_eq_u32_e32 vcc_lo, 1, v9
	v_dual_cndmask_b32 v3, v3, v5 :: v_dual_cndmask_b32 v2, v2, v4
	v_cndmask_b32_e64 v8, v8, 1, vcc_lo
	ds_swizzle_b32 v5, v3 offset:swizzle(BROADCAST,32,15)
	ds_swizzle_b32 v4, v2 offset:swizzle(BROADCAST,32,15)
	;; [unrolled: 1-line block ×3, first 2 shown]
	s_wait_dscnt 0x1
	v_min_i64 v[6:7], v[2:3], v[4:5]
	v_and_b32_e32 v10, 1, v8
	s_delay_alu instid0(VALU_DEP_1) | instskip(SKIP_1) | instid1(VALU_DEP_3)
	v_cmp_eq_u32_e32 vcc_lo, 1, v10
	s_wait_dscnt 0x0
	v_dual_cndmask_b32 v5, v5, v7, vcc_lo :: v_dual_bitop2_b32 v9, 1, v9 bitop3:0x40
	s_delay_alu instid0(VALU_DEP_4) | instskip(NEXT) | instid1(VALU_DEP_2)
	v_cndmask_b32_e32 v4, v4, v6, vcc_lo
	v_cmp_eq_u32_e32 vcc_lo, 1, v9
	s_delay_alu instid0(VALU_DEP_2)
	v_dual_cndmask_b32 v3, v3, v5 :: v_dual_cndmask_b32 v2, v2, v4
	v_cndmask_b32_e64 v5, v8, 1, vcc_lo
	ds_bpermute_b32 v3, v1, v3 offset:124
	ds_bpermute_b32 v2, v1, v2 offset:124
	ds_bpermute_b32 v20, v1, v5 offset:124
	v_mbcnt_lo_u32_b32 v1, -1, 0
	s_delay_alu instid0(VALU_DEP_1)
	v_cmpx_eq_u32_e32 0, v1
	s_cbranch_execz .LBB86_21
; %bb.20:
	v_lshrrev_b32_e32 v4, 1, v0
	s_delay_alu instid0(VALU_DEP_1)
	v_and_b32_e32 v4, 48, v4
	s_wait_dscnt 0x0
	ds_store_b8 v4, v20 offset:128
	ds_store_b64 v4, v[2:3] offset:136
.LBB86_21:
	s_or_b32 exec_lo, exec_lo, s2
	s_delay_alu instid0(SALU_CYCLE_1)
	s_mov_b32 s2, exec_lo
	s_wait_dscnt 0x0
	s_barrier_signal -1
	s_barrier_wait -1
	v_cmpx_gt_u32_e32 32, v0
	s_cbranch_execz .LBB86_27
; %bb.22:
	v_and_b32_e32 v2, 3, v1
	s_delay_alu instid0(VALU_DEP_1) | instskip(SKIP_2) | instid1(VALU_DEP_1)
	v_cmp_ne_u32_e32 vcc_lo, 3, v2
	v_lshlrev_b32_e32 v3, 4, v2
	v_add_co_ci_u32_e64 v2, null, 0, v1, vcc_lo
	v_lshlrev_b32_e32 v2, 2, v2
	ds_load_u8 v8, v3 offset:128
	ds_load_b64 v[4:5], v3 offset:136
	s_wait_dscnt 0x1
	v_and_b32_e32 v3, 0xff, v8
	s_wait_dscnt 0x0
	ds_bpermute_b32 v6, v2, v4
	ds_bpermute_b32 v7, v2, v5
	;; [unrolled: 1-line block ×3, first 2 shown]
	s_wait_dscnt 0x0
	v_and_b32_e32 v2, v8, v9
	s_delay_alu instid0(VALU_DEP_1) | instskip(NEXT) | instid1(VALU_DEP_1)
	v_and_b32_e32 v2, 1, v2
	v_cmp_eq_u32_e32 vcc_lo, 1, v2
                                        ; implicit-def: $vgpr2_vgpr3
	s_and_saveexec_b32 s3, vcc_lo
	s_delay_alu instid0(SALU_CYCLE_1)
	s_xor_b32 s3, exec_lo, s3
; %bb.23:
	v_min_i64 v[2:3], v[6:7], v[4:5]
                                        ; implicit-def: $vgpr8
                                        ; implicit-def: $vgpr6_vgpr7
                                        ; implicit-def: $vgpr4_vgpr5
                                        ; implicit-def: $vgpr9
; %bb.24:
	s_or_saveexec_b32 s3, s3
	v_dual_mov_b32 v10, 1 :: v_dual_lshlrev_b32 v1, 2, v1
	s_xor_b32 exec_lo, exec_lo, s3
; %bb.25:
	v_and_b32_e32 v2, 1, v8
	v_and_b32_e32 v8, 0xff, v9
	s_delay_alu instid0(VALU_DEP_2) | instskip(SKIP_1) | instid1(VALU_DEP_3)
	v_cmp_eq_u32_e32 vcc_lo, 1, v2
	v_dual_cndmask_b32 v3, v7, v5 :: v_dual_cndmask_b32 v2, v6, v4
	v_cndmask_b32_e64 v10, v8, 1, vcc_lo
; %bb.26:
	s_or_b32 exec_lo, exec_lo, s3
	s_delay_alu instid0(VALU_DEP_1) | instskip(NEXT) | instid1(VALU_DEP_1)
	v_and_b32_e32 v8, 1, v10
	v_cmp_eq_u32_e32 vcc_lo, 1, v8
	v_or_b32_e32 v1, 8, v1
	ds_bpermute_b32 v4, v1, v2
	ds_bpermute_b32 v5, v1, v3
	s_wait_dscnt 0x0
	v_min_i64 v[6:7], v[4:5], v[2:3]
	v_cndmask_b32_e32 v2, v4, v2, vcc_lo
	ds_bpermute_b32 v1, v1, v10
	v_cndmask_b32_e32 v3, v5, v3, vcc_lo
	s_wait_dscnt 0x0
	v_bitop3_b32 v8, v10, 1, v1 bitop3:0x80
	v_cndmask_b32_e64 v1, v1, 1, vcc_lo
	s_delay_alu instid0(VALU_DEP_2) | instskip(NEXT) | instid1(VALU_DEP_2)
	v_cmp_eq_u32_e32 vcc_lo, 0, v8
	v_dual_cndmask_b32 v20, 1, v1 :: v_dual_cndmask_b32 v3, v7, v3
	v_cndmask_b32_e32 v2, v6, v2, vcc_lo
.LBB86_27:
	s_or_b32 exec_lo, exec_lo, s2
	s_branch .LBB86_154
.LBB86_28:
                                        ; implicit-def: $sgpr10_sgpr11
                                        ; implicit-def: $vgpr2_vgpr3
                                        ; implicit-def: $vgpr20
	s_branch .LBB86_211
.LBB86_29:
                                        ; implicit-def: $vgpr2_vgpr3
                                        ; implicit-def: $vgpr20
	s_cbranch_execz .LBB86_13
; %bb.30:
	v_mov_b64_e32 v[16:17], 0
	v_mov_b64_e32 v[2:3], 0
	v_dual_mov_b32 v26, 0 :: v_dual_mov_b32 v20, 0
	s_sub_co_i32 s26, s14, s6
	s_mov_b32 s2, exec_lo
	v_cmpx_gt_u32_e64 s26, v0
	s_cbranch_execz .LBB86_32
; %bb.31:
	s_clause 0x1
	global_load_b32 v4, v0, s[8:9] scale_offset
	global_load_b32 v5, v0, s[22:23] scale_offset
	v_mov_b32_e32 v1, 0
	s_delay_alu instid0(VALU_DEP_1)
	v_add_nc_u64_e32 v[2:3], s[20:21], v[0:1]
	s_wait_loadcnt 0x0
	v_cmp_neq_f32_e32 vcc_lo, v4, v5
	v_cndmask_b32_e64 v20, 0, 1, vcc_lo
.LBB86_32:
	s_or_b32 exec_lo, exec_lo, s2
	v_or_b32_e32 v4, 0x80, v0
	s_delay_alu instid0(VALU_DEP_1)
	v_cmp_gt_u32_e64 s7, s26, v4
	s_and_saveexec_b32 s2, s7
	s_cbranch_execz .LBB86_34
; %bb.33:
	s_clause 0x1
	global_load_b32 v1, v0, s[8:9] offset:512 scale_offset
	global_load_b32 v6, v0, s[22:23] offset:512 scale_offset
	v_mov_b32_e32 v5, 0
	s_delay_alu instid0(VALU_DEP_1)
	v_add_nc_u64_e32 v[16:17], s[20:21], v[4:5]
	s_wait_loadcnt 0x0
	v_cmp_neq_f32_e32 vcc_lo, v1, v6
	v_cndmask_b32_e64 v26, 0, 1, vcc_lo
.LBB86_34:
	s_or_b32 exec_lo, exec_lo, s2
	v_or_b32_e32 v4, 0x100, v0
	v_mov_b64_e32 v[12:13], 0
	v_mov_b64_e32 v[14:15], 0
	v_dual_mov_b32 v24, 0 :: v_dual_mov_b32 v25, 0
	s_delay_alu instid0(VALU_DEP_4)
	v_cmp_gt_u32_e64 s6, s26, v4
	s_and_saveexec_b32 s2, s6
	s_cbranch_execz .LBB86_36
; %bb.35:
	s_clause 0x1
	global_load_b32 v1, v0, s[8:9] offset:1024 scale_offset
	global_load_b32 v6, v0, s[22:23] offset:1024 scale_offset
	v_mov_b32_e32 v5, 0
	s_delay_alu instid0(VALU_DEP_1)
	v_add_nc_u64_e32 v[14:15], s[20:21], v[4:5]
	s_wait_loadcnt 0x0
	v_cmp_neq_f32_e32 vcc_lo, v1, v6
	v_cndmask_b32_e64 v25, 0, 1, vcc_lo
.LBB86_36:
	s_or_b32 exec_lo, exec_lo, s2
	v_or_b32_e32 v4, 0x180, v0
	s_delay_alu instid0(VALU_DEP_1)
	v_cmp_gt_u32_e64 s5, s26, v4
	s_and_saveexec_b32 s2, s5
	s_cbranch_execz .LBB86_38
; %bb.37:
	s_clause 0x1
	global_load_b32 v1, v0, s[8:9] offset:1536 scale_offset
	global_load_b32 v6, v0, s[22:23] offset:1536 scale_offset
	v_mov_b32_e32 v5, 0
	s_delay_alu instid0(VALU_DEP_1)
	v_add_nc_u64_e32 v[12:13], s[20:21], v[4:5]
	s_wait_loadcnt 0x0
	v_cmp_neq_f32_e32 vcc_lo, v1, v6
	v_cndmask_b32_e64 v24, 0, 1, vcc_lo
.LBB86_38:
	s_or_b32 exec_lo, exec_lo, s2
	v_or_b32_e32 v4, 0x200, v0
	v_mov_b64_e32 v[8:9], 0
	v_mov_b64_e32 v[10:11], 0
	v_dual_mov_b32 v22, 0 :: v_dual_mov_b32 v23, 0
	s_delay_alu instid0(VALU_DEP_4)
	v_cmp_gt_u32_e64 s4, s26, v4
	s_and_saveexec_b32 s2, s4
	s_cbranch_execz .LBB86_40
; %bb.39:
	s_clause 0x1
	global_load_b32 v1, v0, s[8:9] offset:2048 scale_offset
	global_load_b32 v6, v0, s[22:23] offset:2048 scale_offset
	v_mov_b32_e32 v5, 0
	s_delay_alu instid0(VALU_DEP_1)
	v_add_nc_u64_e32 v[10:11], s[20:21], v[4:5]
	s_wait_loadcnt 0x0
	v_cmp_neq_f32_e32 vcc_lo, v1, v6
	v_cndmask_b32_e64 v23, 0, 1, vcc_lo
.LBB86_40:
	;; [unrolled: 37-line block ×3, first 2 shown]
	s_or_b32 exec_lo, exec_lo, s27
	v_or_b32_e32 v18, 0x380, v0
	s_delay_alu instid0(VALU_DEP_1)
	v_cmp_gt_u32_e32 vcc_lo, s26, v18
	s_and_saveexec_b32 s27, vcc_lo
	s_cbranch_execnz .LBB86_63
; %bb.45:
	s_or_b32 exec_lo, exec_lo, s27
	s_and_saveexec_b32 s9, s7
	s_cbranch_execnz .LBB86_64
.LBB86_46:
	s_or_b32 exec_lo, exec_lo, s9
	s_and_saveexec_b32 s8, s6
	s_cbranch_execnz .LBB86_69
.LBB86_47:
	s_or_b32 exec_lo, exec_lo, s8
	s_and_saveexec_b32 s7, s5
	s_cbranch_execnz .LBB86_74
.LBB86_48:
	s_or_b32 exec_lo, exec_lo, s7
	s_and_saveexec_b32 s6, s4
	s_cbranch_execnz .LBB86_79
.LBB86_49:
	s_or_b32 exec_lo, exec_lo, s6
	s_and_saveexec_b32 s5, s3
	s_cbranch_execnz .LBB86_84
.LBB86_50:
	s_or_b32 exec_lo, exec_lo, s5
	s_and_saveexec_b32 s4, s2
	s_cbranch_execnz .LBB86_89
.LBB86_51:
	s_or_b32 exec_lo, exec_lo, s4
	s_and_saveexec_b32 s3, vcc_lo
	s_cbranch_execnz .LBB86_94
	s_branch .LBB86_99
.LBB86_52:
                                        ; implicit-def: $vgpr2_vgpr3
                                        ; implicit-def: $vgpr20
	s_cbranch_execz .LBB86_154
; %bb.53:
	v_mov_b64_e32 v[8:9], 0
	v_mov_b64_e32 v[2:3], 0
	v_dual_mov_b32 v13, 0 :: v_dual_mov_b32 v20, 0
	s_sub_co_i32 s20, s14, s20
	s_mov_b32 s2, exec_lo
	v_cmpx_gt_u32_e64 s20, v0
	s_cbranch_execz .LBB86_55
; %bb.54:
	s_wait_dscnt 0x1
	global_load_b32 v4, v0, s[6:7] scale_offset
	s_wait_dscnt 0x0
	global_load_b32 v5, v0, s[8:9] scale_offset
	v_mov_b32_e32 v1, 0
	s_delay_alu instid0(VALU_DEP_1)
	v_add_nc_u64_e32 v[2:3], s[4:5], v[0:1]
	s_wait_loadcnt 0x0
	v_cmp_neq_f32_e32 vcc_lo, v4, v5
	v_cndmask_b32_e64 v20, 0, 1, vcc_lo
.LBB86_55:
	s_or_b32 exec_lo, exec_lo, s2
	s_wait_dscnt 0x1
	v_or_b32_e32 v4, 0x80, v0
	s_delay_alu instid0(VALU_DEP_1)
	v_cmp_gt_u32_e64 s3, s20, v4
	s_and_saveexec_b32 s2, s3
	s_cbranch_execz .LBB86_57
; %bb.56:
	s_clause 0x1
	global_load_b32 v1, v0, s[6:7] offset:512 scale_offset
	global_load_b32 v6, v0, s[8:9] offset:512 scale_offset
	s_wait_dscnt 0x0
	v_mov_b32_e32 v5, 0
	s_delay_alu instid0(VALU_DEP_1)
	v_add_nc_u64_e32 v[8:9], s[4:5], v[4:5]
	s_wait_loadcnt 0x0
	v_cmp_neq_f32_e32 vcc_lo, v1, v6
	v_cndmask_b32_e64 v13, 0, 1, vcc_lo
.LBB86_57:
	s_or_b32 exec_lo, exec_lo, s2
	v_or_b32_e32 v10, 0x100, v0
	s_wait_dscnt 0x0
	v_mov_b64_e32 v[4:5], 0
	v_mov_b64_e32 v[6:7], 0
	v_dual_mov_b32 v1, 0 :: v_dual_mov_b32 v12, 0
	v_cmp_gt_u32_e64 s2, s20, v10
	s_and_saveexec_b32 s21, s2
	s_cbranch_execz .LBB86_59
; %bb.58:
	s_clause 0x1
	global_load_b32 v12, v0, s[6:7] offset:1024 scale_offset
	global_load_b32 v14, v0, s[8:9] offset:1024 scale_offset
	v_mov_b32_e32 v11, 0
	s_delay_alu instid0(VALU_DEP_1)
	v_add_nc_u64_e32 v[6:7], s[4:5], v[10:11]
	s_wait_loadcnt 0x0
	v_cmp_neq_f32_e32 vcc_lo, v12, v14
	v_cndmask_b32_e64 v12, 0, 1, vcc_lo
.LBB86_59:
	s_or_b32 exec_lo, exec_lo, s21
	v_or_b32_e32 v10, 0x180, v0
	s_delay_alu instid0(VALU_DEP_1)
	v_cmp_gt_u32_e32 vcc_lo, s20, v10
	s_and_saveexec_b32 s21, vcc_lo
	s_cbranch_execnz .LBB86_119
; %bb.60:
	s_or_b32 exec_lo, exec_lo, s21
	s_and_saveexec_b32 s5, s3
	s_cbranch_execnz .LBB86_120
.LBB86_61:
	s_or_b32 exec_lo, exec_lo, s5
	s_and_saveexec_b32 s4, s2
	s_cbranch_execnz .LBB86_125
.LBB86_62:
	s_or_b32 exec_lo, exec_lo, s4
	s_and_saveexec_b32 s3, vcc_lo
	s_cbranch_execnz .LBB86_130
	s_branch .LBB86_135
.LBB86_63:
	s_clause 0x1
	global_load_b32 v1, v0, s[8:9] offset:3584 scale_offset
	global_load_b32 v27, v0, s[22:23] offset:3584 scale_offset
	v_mov_b32_e32 v19, 0
	s_delay_alu instid0(VALU_DEP_1) | instskip(SKIP_2) | instid1(VALU_DEP_1)
	v_add_nc_u64_e32 v[4:5], s[20:21], v[18:19]
	s_wait_loadcnt 0x0
	v_cmp_neq_f32_e64 s8, v1, v27
	v_cndmask_b32_e64 v1, 0, 1, s8
	s_or_b32 exec_lo, exec_lo, s27
	s_and_saveexec_b32 s9, s7
	s_cbranch_execz .LBB86_46
.LBB86_64:
	v_and_b32_e32 v18, 1, v20
	v_and_b32_e32 v19, 1, v26
                                        ; implicit-def: $vgpr20
	s_delay_alu instid0(VALU_DEP_2) | instskip(NEXT) | instid1(VALU_DEP_2)
	v_cmp_eq_u32_e64 s7, 1, v18
	v_cmp_eq_u32_e64 s8, 1, v19
	s_and_b32 s8, s7, s8
	s_delay_alu instid0(SALU_CYCLE_1) | instskip(NEXT) | instid1(SALU_CYCLE_1)
	s_xor_b32 s8, s8, -1
	s_and_saveexec_b32 s20, s8
	s_delay_alu instid0(SALU_CYCLE_1)
	s_xor_b32 s8, exec_lo, s20
; %bb.65:
	v_and_b32_e32 v18, 0xffff, v26
	v_dual_cndmask_b32 v3, v17, v3, s7 :: v_dual_cndmask_b32 v2, v16, v2, s7
                                        ; implicit-def: $vgpr16_vgpr17
	s_delay_alu instid0(VALU_DEP_2)
	v_cndmask_b32_e64 v20, v18, 1, s7
; %bb.66:
	s_and_not1_saveexec_b32 s7, s8
	s_cbranch_execz .LBB86_68
; %bb.67:
	s_delay_alu instid0(VALU_DEP_2)
	v_min_i64 v[2:3], v[16:17], v[2:3]
	v_mov_b32_e32 v20, 1
.LBB86_68:
	s_or_b32 exec_lo, exec_lo, s7
	s_delay_alu instid0(SALU_CYCLE_1)
	s_or_b32 exec_lo, exec_lo, s9
	s_and_saveexec_b32 s8, s6
	s_cbranch_execz .LBB86_47
.LBB86_69:
	v_and_b32_e32 v16, 1, v20
	v_and_b32_e32 v17, 1, v25
                                        ; implicit-def: $vgpr20
	s_delay_alu instid0(VALU_DEP_2) | instskip(NEXT) | instid1(VALU_DEP_2)
	v_cmp_eq_u32_e64 s6, 1, v16
	v_cmp_eq_u32_e64 s7, 1, v17
	s_and_b32 s7, s6, s7
	s_delay_alu instid0(SALU_CYCLE_1) | instskip(NEXT) | instid1(SALU_CYCLE_1)
	s_xor_b32 s7, s7, -1
	s_and_saveexec_b32 s9, s7
	s_delay_alu instid0(SALU_CYCLE_1)
	s_xor_b32 s7, exec_lo, s9
; %bb.70:
	v_and_b32_e32 v16, 0xffff, v25
	v_dual_cndmask_b32 v3, v15, v3, s6 :: v_dual_cndmask_b32 v2, v14, v2, s6
                                        ; implicit-def: $vgpr14_vgpr15
	s_delay_alu instid0(VALU_DEP_2)
	v_cndmask_b32_e64 v20, v16, 1, s6
; %bb.71:
	s_and_not1_saveexec_b32 s6, s7
	s_cbranch_execz .LBB86_73
; %bb.72:
	s_delay_alu instid0(VALU_DEP_2)
	v_min_i64 v[2:3], v[14:15], v[2:3]
	v_mov_b32_e32 v20, 1
.LBB86_73:
	s_or_b32 exec_lo, exec_lo, s6
	s_delay_alu instid0(SALU_CYCLE_1)
	s_or_b32 exec_lo, exec_lo, s8
	s_and_saveexec_b32 s7, s5
	s_cbranch_execz .LBB86_48
.LBB86_74:
	v_and_b32_e32 v14, 1, v20
	v_and_b32_e32 v15, 1, v24
                                        ; implicit-def: $vgpr20
	s_delay_alu instid0(VALU_DEP_2) | instskip(NEXT) | instid1(VALU_DEP_2)
	v_cmp_eq_u32_e64 s5, 1, v14
	v_cmp_eq_u32_e64 s6, 1, v15
	s_and_b32 s6, s5, s6
	s_delay_alu instid0(SALU_CYCLE_1) | instskip(NEXT) | instid1(SALU_CYCLE_1)
	s_xor_b32 s6, s6, -1
	s_and_saveexec_b32 s8, s6
	s_delay_alu instid0(SALU_CYCLE_1)
	s_xor_b32 s6, exec_lo, s8
; %bb.75:
	v_and_b32_e32 v14, 0xffff, v24
	v_dual_cndmask_b32 v3, v13, v3, s5 :: v_dual_cndmask_b32 v2, v12, v2, s5
                                        ; implicit-def: $vgpr12_vgpr13
	s_delay_alu instid0(VALU_DEP_2)
	v_cndmask_b32_e64 v20, v14, 1, s5
; %bb.76:
	s_and_not1_saveexec_b32 s5, s6
	s_cbranch_execz .LBB86_78
; %bb.77:
	s_delay_alu instid0(VALU_DEP_2)
	v_min_i64 v[2:3], v[12:13], v[2:3]
	v_mov_b32_e32 v20, 1
.LBB86_78:
	s_or_b32 exec_lo, exec_lo, s5
	s_delay_alu instid0(SALU_CYCLE_1)
	s_or_b32 exec_lo, exec_lo, s7
	s_and_saveexec_b32 s6, s4
	s_cbranch_execz .LBB86_49
.LBB86_79:
	v_and_b32_e32 v12, 1, v20
	v_and_b32_e32 v13, 1, v23
                                        ; implicit-def: $vgpr20
	s_delay_alu instid0(VALU_DEP_2) | instskip(NEXT) | instid1(VALU_DEP_2)
	v_cmp_eq_u32_e64 s4, 1, v12
	v_cmp_eq_u32_e64 s5, 1, v13
	s_and_b32 s5, s4, s5
	s_delay_alu instid0(SALU_CYCLE_1) | instskip(NEXT) | instid1(SALU_CYCLE_1)
	s_xor_b32 s5, s5, -1
	s_and_saveexec_b32 s7, s5
	s_delay_alu instid0(SALU_CYCLE_1)
	s_xor_b32 s5, exec_lo, s7
; %bb.80:
	v_and_b32_e32 v12, 0xffff, v23
	v_dual_cndmask_b32 v3, v11, v3, s4 :: v_dual_cndmask_b32 v2, v10, v2, s4
                                        ; implicit-def: $vgpr10_vgpr11
	s_delay_alu instid0(VALU_DEP_2)
	v_cndmask_b32_e64 v20, v12, 1, s4
; %bb.81:
	s_and_not1_saveexec_b32 s4, s5
	s_cbranch_execz .LBB86_83
; %bb.82:
	s_delay_alu instid0(VALU_DEP_2)
	v_min_i64 v[2:3], v[10:11], v[2:3]
	v_mov_b32_e32 v20, 1
.LBB86_83:
	s_or_b32 exec_lo, exec_lo, s4
	s_delay_alu instid0(SALU_CYCLE_1)
	s_or_b32 exec_lo, exec_lo, s6
	s_and_saveexec_b32 s5, s3
	s_cbranch_execz .LBB86_50
.LBB86_84:
	v_and_b32_e32 v10, 1, v20
	v_and_b32_e32 v11, 1, v22
                                        ; implicit-def: $vgpr20
	s_delay_alu instid0(VALU_DEP_2) | instskip(NEXT) | instid1(VALU_DEP_2)
	v_cmp_eq_u32_e64 s3, 1, v10
	v_cmp_eq_u32_e64 s4, 1, v11
	s_and_b32 s4, s3, s4
	s_delay_alu instid0(SALU_CYCLE_1) | instskip(NEXT) | instid1(SALU_CYCLE_1)
	s_xor_b32 s4, s4, -1
	s_and_saveexec_b32 s6, s4
	s_delay_alu instid0(SALU_CYCLE_1)
	s_xor_b32 s4, exec_lo, s6
; %bb.85:
	v_and_b32_e32 v10, 0xffff, v22
	v_dual_cndmask_b32 v3, v9, v3, s3 :: v_dual_cndmask_b32 v2, v8, v2, s3
                                        ; implicit-def: $vgpr8_vgpr9
	s_delay_alu instid0(VALU_DEP_2)
	v_cndmask_b32_e64 v20, v10, 1, s3
; %bb.86:
	s_and_not1_saveexec_b32 s3, s4
	s_cbranch_execz .LBB86_88
; %bb.87:
	s_delay_alu instid0(VALU_DEP_2)
	v_min_i64 v[2:3], v[8:9], v[2:3]
	v_mov_b32_e32 v20, 1
.LBB86_88:
	s_or_b32 exec_lo, exec_lo, s3
	s_delay_alu instid0(SALU_CYCLE_1)
	s_or_b32 exec_lo, exec_lo, s5
	s_and_saveexec_b32 s4, s2
	s_cbranch_execz .LBB86_51
.LBB86_89:
	v_and_b32_e32 v8, 1, v20
	v_and_b32_e32 v9, 1, v21
                                        ; implicit-def: $vgpr20
	s_delay_alu instid0(VALU_DEP_2) | instskip(NEXT) | instid1(VALU_DEP_2)
	v_cmp_eq_u32_e64 s2, 1, v8
	v_cmp_eq_u32_e64 s3, 1, v9
	s_and_b32 s3, s2, s3
	s_delay_alu instid0(SALU_CYCLE_1) | instskip(NEXT) | instid1(SALU_CYCLE_1)
	s_xor_b32 s3, s3, -1
	s_and_saveexec_b32 s5, s3
	s_delay_alu instid0(SALU_CYCLE_1)
	s_xor_b32 s3, exec_lo, s5
; %bb.90:
	v_and_b32_e32 v8, 0xffff, v21
	v_dual_cndmask_b32 v3, v7, v3, s2 :: v_dual_cndmask_b32 v2, v6, v2, s2
                                        ; implicit-def: $vgpr6_vgpr7
	s_delay_alu instid0(VALU_DEP_2)
	v_cndmask_b32_e64 v20, v8, 1, s2
; %bb.91:
	s_and_not1_saveexec_b32 s2, s3
	s_cbranch_execz .LBB86_93
; %bb.92:
	s_delay_alu instid0(VALU_DEP_2)
	v_min_i64 v[2:3], v[6:7], v[2:3]
	v_mov_b32_e32 v20, 1
.LBB86_93:
	s_or_b32 exec_lo, exec_lo, s2
	s_delay_alu instid0(SALU_CYCLE_1)
	s_or_b32 exec_lo, exec_lo, s4
	s_and_saveexec_b32 s3, vcc_lo
	s_cbranch_execz .LBB86_99
.LBB86_94:
	v_and_b32_e32 v6, 1, v20
	v_and_b32_e32 v7, 1, v1
                                        ; implicit-def: $vgpr20
	s_delay_alu instid0(VALU_DEP_2) | instskip(NEXT) | instid1(VALU_DEP_2)
	v_cmp_eq_u32_e32 vcc_lo, 1, v6
	v_cmp_eq_u32_e64 s2, 1, v7
	s_and_b32 s2, vcc_lo, s2
	s_delay_alu instid0(SALU_CYCLE_1) | instskip(NEXT) | instid1(SALU_CYCLE_1)
	s_xor_b32 s2, s2, -1
	s_and_saveexec_b32 s4, s2
	s_delay_alu instid0(SALU_CYCLE_1)
	s_xor_b32 s2, exec_lo, s4
; %bb.95:
	v_and_b32_e32 v1, 0xffff, v1
	v_dual_cndmask_b32 v3, v5, v3 :: v_dual_cndmask_b32 v2, v4, v2
                                        ; implicit-def: $vgpr4_vgpr5
	s_delay_alu instid0(VALU_DEP_2)
	v_cndmask_b32_e64 v20, v1, 1, vcc_lo
; %bb.96:
	s_and_not1_saveexec_b32 s2, s2
	s_cbranch_execz .LBB86_98
; %bb.97:
	s_delay_alu instid0(VALU_DEP_2)
	v_min_i64 v[2:3], v[4:5], v[2:3]
	v_mov_b32_e32 v20, 1
.LBB86_98:
	s_or_b32 exec_lo, exec_lo, s2
.LBB86_99:
	s_delay_alu instid0(SALU_CYCLE_1) | instskip(SKIP_4) | instid1(VALU_DEP_2)
	s_or_b32 exec_lo, exec_lo, s3
	v_mbcnt_lo_u32_b32 v1, -1, 0
	v_and_b32_e32 v6, 0x60, v0
	s_min_u32 s3, s26, 0x80
	s_mov_b32 s2, exec_lo
	v_cmp_ne_u32_e32 vcc_lo, 31, v1
	s_delay_alu instid0(VALU_DEP_2) | instskip(SKIP_2) | instid1(VALU_DEP_1)
	v_sub_nc_u32_e64 v6, s3, v6 clamp
	v_add_nc_u32_e32 v8, 1, v1
	v_add_co_ci_u32_e64 v4, null, 0, v1, vcc_lo
	v_lshlrev_b32_e32 v5, 2, v4
	ds_bpermute_b32 v7, v5, v20
	ds_bpermute_b32 v4, v5, v2
	;; [unrolled: 1-line block ×3, first 2 shown]
	v_cmpx_lt_u32_e64 v8, v6
	s_xor_b32 s4, exec_lo, s2
	s_cbranch_execz .LBB86_101
; %bb.100:
	s_wait_dscnt 0x0
	v_min_i64 v[8:9], v[4:5], v[2:3]
	v_and_b32_e32 v10, 1, v20
	s_delay_alu instid0(VALU_DEP_1) | instskip(SKIP_3) | instid1(VALU_DEP_3)
	v_cmp_eq_u32_e32 vcc_lo, 1, v10
	v_and_b32_e32 v10, v7, v20
	v_and_b32_e32 v7, 0xff, v7
	v_dual_cndmask_b32 v2, v4, v2 :: v_dual_cndmask_b32 v3, v5, v3
	v_cmp_eq_u32_e64 s2, 0, v10
	s_delay_alu instid0(VALU_DEP_3) | instskip(NEXT) | instid1(VALU_DEP_1)
	v_cndmask_b32_e64 v4, v7, 1, vcc_lo
	v_dual_cndmask_b32 v20, 1, v4, s2 :: v_dual_cndmask_b32 v3, v9, v3, s2
	s_delay_alu instid0(VALU_DEP_4)
	v_cndmask_b32_e64 v2, v8, v2, s2
.LBB86_101:
	s_or_b32 exec_lo, exec_lo, s4
	v_cmp_gt_u32_e32 vcc_lo, 30, v1
	v_add_nc_u32_e32 v8, 2, v1
	s_mov_b32 s4, exec_lo
	s_wait_dscnt 0x1
	v_cndmask_b32_e64 v4, 0, 2, vcc_lo
	s_wait_dscnt 0x0
	s_delay_alu instid0(VALU_DEP_1)
	v_add_lshl_u32 v5, v4, v1, 2
	ds_bpermute_b32 v7, v5, v20
	ds_bpermute_b32 v4, v5, v2
	ds_bpermute_b32 v5, v5, v3
	v_cmpx_lt_u32_e64 v8, v6
	s_cbranch_execz .LBB86_103
; %bb.102:
	s_wait_dscnt 0x0
	v_min_i64 v[8:9], v[4:5], v[2:3]
	v_and_b32_e32 v10, 1, v20
	s_delay_alu instid0(VALU_DEP_1) | instskip(SKIP_3) | instid1(VALU_DEP_3)
	v_cmp_eq_u32_e32 vcc_lo, 1, v10
	v_bitop3_b32 v10, v20, 1, v7 bitop3:0x80
	v_and_b32_e32 v7, 0xff, v7
	v_cndmask_b32_e32 v2, v4, v2, vcc_lo
	v_cmp_eq_u32_e64 s2, 0, v10
	v_cndmask_b32_e32 v3, v5, v3, vcc_lo
	s_delay_alu instid0(VALU_DEP_4) | instskip(NEXT) | instid1(VALU_DEP_1)
	v_cndmask_b32_e64 v4, v7, 1, vcc_lo
	v_dual_cndmask_b32 v20, 1, v4, s2 :: v_dual_cndmask_b32 v2, v8, v2, s2
	s_delay_alu instid0(VALU_DEP_3)
	v_cndmask_b32_e64 v3, v9, v3, s2
.LBB86_103:
	s_or_b32 exec_lo, exec_lo, s4
	v_cmp_gt_u32_e32 vcc_lo, 28, v1
	v_add_nc_u32_e32 v8, 4, v1
	s_mov_b32 s4, exec_lo
	s_wait_dscnt 0x1
	v_cndmask_b32_e64 v4, 0, 4, vcc_lo
	s_wait_dscnt 0x0
	s_delay_alu instid0(VALU_DEP_1)
	v_add_lshl_u32 v5, v4, v1, 2
	ds_bpermute_b32 v7, v5, v20
	ds_bpermute_b32 v4, v5, v2
	ds_bpermute_b32 v5, v5, v3
	v_cmpx_lt_u32_e64 v8, v6
	s_cbranch_execz .LBB86_105
; %bb.104:
	s_wait_dscnt 0x0
	v_min_i64 v[8:9], v[4:5], v[2:3]
	v_and_b32_e32 v10, 1, v20
	s_delay_alu instid0(VALU_DEP_1) | instskip(SKIP_3) | instid1(VALU_DEP_3)
	v_cmp_eq_u32_e32 vcc_lo, 1, v10
	v_bitop3_b32 v10, v20, 1, v7 bitop3:0x80
	v_and_b32_e32 v7, 0xff, v7
	v_cndmask_b32_e32 v2, v4, v2, vcc_lo
	v_cmp_eq_u32_e64 s2, 0, v10
	v_cndmask_b32_e32 v3, v5, v3, vcc_lo
	s_delay_alu instid0(VALU_DEP_4) | instskip(NEXT) | instid1(VALU_DEP_1)
	v_cndmask_b32_e64 v4, v7, 1, vcc_lo
	v_dual_cndmask_b32 v20, 1, v4, s2 :: v_dual_cndmask_b32 v2, v8, v2, s2
	s_delay_alu instid0(VALU_DEP_3)
	v_cndmask_b32_e64 v3, v9, v3, s2
.LBB86_105:
	;; [unrolled: 31-line block ×3, first 2 shown]
	s_or_b32 exec_lo, exec_lo, s4
	s_wait_dscnt 0x2
	v_dual_lshlrev_b32 v7, 2, v1 :: v_dual_add_nc_u32 v9, 16, v1
	s_wait_dscnt 0x0
	s_delay_alu instid0(VALU_DEP_1) | instskip(NEXT) | instid1(VALU_DEP_2)
	v_or_b32_e32 v5, 64, v7
	v_cmp_lt_u32_e32 vcc_lo, v9, v6
	v_mov_b32_e32 v6, v20
	ds_bpermute_b32 v8, v5, v20
	ds_bpermute_b32 v4, v5, v2
	;; [unrolled: 1-line block ×3, first 2 shown]
	s_and_saveexec_b32 s4, vcc_lo
	s_cbranch_execz .LBB86_109
; %bb.108:
	s_wait_dscnt 0x0
	v_min_i64 v[10:11], v[4:5], v[2:3]
	v_and_b32_e32 v6, 1, v20
	v_bitop3_b32 v9, v20, 1, v8 bitop3:0x80
	s_delay_alu instid0(VALU_DEP_2) | instskip(NEXT) | instid1(VALU_DEP_2)
	v_cmp_eq_u32_e32 vcc_lo, 1, v6
	v_cmp_eq_u32_e64 s2, 0, v9
	v_cndmask_b32_e64 v6, v8, 1, vcc_lo
	v_dual_cndmask_b32 v3, v5, v3 :: v_dual_cndmask_b32 v2, v4, v2
	s_delay_alu instid0(VALU_DEP_2) | instskip(NEXT) | instid1(VALU_DEP_1)
	v_cndmask_b32_e64 v6, 1, v6, s2
	v_and_b32_e32 v20, 0xff, v6
	s_delay_alu instid0(VALU_DEP_3)
	v_dual_cndmask_b32 v3, v11, v3, s2 :: v_dual_cndmask_b32 v2, v10, v2, s2
.LBB86_109:
	s_or_b32 exec_lo, exec_lo, s4
	s_delay_alu instid0(SALU_CYCLE_1)
	s_mov_b32 s2, exec_lo
	v_cmpx_eq_u32_e32 0, v1
	s_cbranch_execz .LBB86_111
; %bb.110:
	s_wait_dscnt 0x1
	v_lshrrev_b32_e32 v4, 1, v0
	s_delay_alu instid0(VALU_DEP_1)
	v_and_b32_e32 v4, 48, v4
	ds_store_b8 v4, v6 offset:256
	ds_store_b64 v4, v[2:3] offset:264
.LBB86_111:
	s_or_b32 exec_lo, exec_lo, s2
	s_delay_alu instid0(SALU_CYCLE_1)
	s_mov_b32 s4, exec_lo
	s_wait_dscnt 0x0
	s_barrier_signal -1
	s_barrier_wait -1
	v_cmpx_gt_u32_e32 4, v0
	s_cbranch_execz .LBB86_117
; %bb.112:
	v_dual_lshlrev_b32 v2, 4, v1 :: v_dual_bitop2_b32 v6, 3, v1 bitop3:0x40
	s_add_co_i32 s3, s3, 31
	s_mov_b32 s5, exec_lo
	s_lshr_b32 s3, s3, 5
	ds_load_u8 v8, v2 offset:256
	ds_load_b64 v[2:3], v2 offset:264
	v_cmp_ne_u32_e32 vcc_lo, 3, v6
	v_add_nc_u32_e32 v9, 1, v6
	v_add_co_ci_u32_e64 v1, null, 0, v1, vcc_lo
	s_delay_alu instid0(VALU_DEP_1)
	v_lshlrev_b32_e32 v5, 2, v1
	s_wait_dscnt 0x1
	v_and_b32_e32 v20, 0xff, v8
	s_wait_dscnt 0x0
	ds_bpermute_b32 v4, v5, v2
	ds_bpermute_b32 v1, v5, v20
	;; [unrolled: 1-line block ×3, first 2 shown]
	v_cmpx_gt_u32_e64 s3, v9
	s_cbranch_execz .LBB86_114
; %bb.113:
	s_wait_dscnt 0x0
	v_min_i64 v[10:11], v[4:5], v[2:3]
	v_and_b32_e32 v8, 1, v8
	s_delay_alu instid0(VALU_DEP_1) | instskip(SKIP_3) | instid1(VALU_DEP_3)
	v_cmp_eq_u32_e32 vcc_lo, 1, v8
	v_bitop3_b32 v8, v20, 1, v1 bitop3:0x80
	v_and_b32_e32 v1, 0xff, v1
	v_cndmask_b32_e32 v2, v4, v2, vcc_lo
	v_cmp_eq_u32_e64 s2, 0, v8
	v_cndmask_b32_e32 v3, v5, v3, vcc_lo
	s_delay_alu instid0(VALU_DEP_4) | instskip(NEXT) | instid1(VALU_DEP_1)
	v_cndmask_b32_e64 v1, v1, 1, vcc_lo
	v_dual_cndmask_b32 v20, 1, v1, s2 :: v_dual_cndmask_b32 v2, v10, v2, s2
	s_delay_alu instid0(VALU_DEP_3)
	v_cndmask_b32_e64 v3, v11, v3, s2
.LBB86_114:
	s_or_b32 exec_lo, exec_lo, s5
	s_wait_dscnt 0x0
	v_dual_add_nc_u32 v6, 2, v6 :: v_dual_bitop2_b32 v5, 8, v7 bitop3:0x54
	ds_bpermute_b32 v1, v5, v20
	ds_bpermute_b32 v4, v5, v2
	;; [unrolled: 1-line block ×3, first 2 shown]
	v_cmp_gt_u32_e32 vcc_lo, s3, v6
	s_and_saveexec_b32 s3, vcc_lo
	s_cbranch_execz .LBB86_116
; %bb.115:
	s_wait_dscnt 0x0
	v_min_i64 v[6:7], v[4:5], v[2:3]
	v_and_b32_e32 v8, 1, v20
	s_delay_alu instid0(VALU_DEP_1) | instskip(SKIP_2) | instid1(VALU_DEP_2)
	v_cmp_eq_u32_e32 vcc_lo, 1, v8
	v_bitop3_b32 v8, v20, 1, v1 bitop3:0x80
	v_cndmask_b32_e32 v2, v4, v2, vcc_lo
	v_cmp_eq_u32_e64 s2, 0, v8
	v_cndmask_b32_e32 v3, v5, v3, vcc_lo
	v_cndmask_b32_e64 v1, v1, 1, vcc_lo
	s_delay_alu instid0(VALU_DEP_1) | instskip(NEXT) | instid1(VALU_DEP_3)
	v_dual_cndmask_b32 v20, 1, v1, s2 :: v_dual_cndmask_b32 v2, v6, v2, s2
	v_cndmask_b32_e64 v3, v7, v3, s2
.LBB86_116:
	s_or_b32 exec_lo, exec_lo, s3
.LBB86_117:
	s_delay_alu instid0(SALU_CYCLE_1)
	s_or_b32 exec_lo, exec_lo, s4
	v_cmp_eq_u32_e64 s2, 0, v0
	s_and_b32 vcc_lo, exec_lo, s25
	s_cbranch_vccnz .LBB86_17
.LBB86_118:
	s_branch .LBB86_211
.LBB86_119:
	s_clause 0x1
	global_load_b32 v1, v0, s[6:7] offset:1536 scale_offset
	global_load_b32 v14, v0, s[8:9] offset:1536 scale_offset
	v_mov_b32_e32 v11, 0
	s_delay_alu instid0(VALU_DEP_1) | instskip(SKIP_2) | instid1(VALU_DEP_1)
	v_add_nc_u64_e32 v[4:5], s[4:5], v[10:11]
	s_wait_loadcnt 0x0
	v_cmp_neq_f32_e64 s4, v1, v14
	v_cndmask_b32_e64 v1, 0, 1, s4
	s_or_b32 exec_lo, exec_lo, s21
	s_and_saveexec_b32 s5, s3
	s_cbranch_execz .LBB86_61
.LBB86_120:
	v_and_b32_e32 v10, 1, v20
	v_and_b32_e32 v11, 1, v13
                                        ; implicit-def: $vgpr20
	s_delay_alu instid0(VALU_DEP_2) | instskip(NEXT) | instid1(VALU_DEP_2)
	v_cmp_eq_u32_e64 s3, 1, v10
	v_cmp_eq_u32_e64 s4, 1, v11
	s_and_b32 s4, s3, s4
	s_delay_alu instid0(SALU_CYCLE_1) | instskip(NEXT) | instid1(SALU_CYCLE_1)
	s_xor_b32 s4, s4, -1
	s_and_saveexec_b32 s6, s4
	s_delay_alu instid0(SALU_CYCLE_1)
	s_xor_b32 s4, exec_lo, s6
; %bb.121:
	v_and_b32_e32 v10, 0xffff, v13
	v_dual_cndmask_b32 v3, v9, v3, s3 :: v_dual_cndmask_b32 v2, v8, v2, s3
                                        ; implicit-def: $vgpr8_vgpr9
	s_delay_alu instid0(VALU_DEP_2)
	v_cndmask_b32_e64 v20, v10, 1, s3
; %bb.122:
	s_and_not1_saveexec_b32 s3, s4
	s_cbranch_execz .LBB86_124
; %bb.123:
	s_delay_alu instid0(VALU_DEP_2)
	v_min_i64 v[2:3], v[8:9], v[2:3]
	v_mov_b32_e32 v20, 1
.LBB86_124:
	s_or_b32 exec_lo, exec_lo, s3
	s_delay_alu instid0(SALU_CYCLE_1)
	s_or_b32 exec_lo, exec_lo, s5
	s_and_saveexec_b32 s4, s2
	s_cbranch_execz .LBB86_62
.LBB86_125:
	v_and_b32_e32 v8, 1, v20
	v_and_b32_e32 v9, 1, v12
                                        ; implicit-def: $vgpr20
	s_delay_alu instid0(VALU_DEP_2) | instskip(NEXT) | instid1(VALU_DEP_2)
	v_cmp_eq_u32_e64 s2, 1, v8
	v_cmp_eq_u32_e64 s3, 1, v9
	s_and_b32 s3, s2, s3
	s_delay_alu instid0(SALU_CYCLE_1) | instskip(NEXT) | instid1(SALU_CYCLE_1)
	s_xor_b32 s3, s3, -1
	s_and_saveexec_b32 s5, s3
	s_delay_alu instid0(SALU_CYCLE_1)
	s_xor_b32 s3, exec_lo, s5
; %bb.126:
	v_and_b32_e32 v8, 0xffff, v12
	v_dual_cndmask_b32 v3, v7, v3, s2 :: v_dual_cndmask_b32 v2, v6, v2, s2
                                        ; implicit-def: $vgpr6_vgpr7
	s_delay_alu instid0(VALU_DEP_2)
	v_cndmask_b32_e64 v20, v8, 1, s2
; %bb.127:
	s_and_not1_saveexec_b32 s2, s3
	s_cbranch_execz .LBB86_129
; %bb.128:
	s_delay_alu instid0(VALU_DEP_2)
	v_min_i64 v[2:3], v[6:7], v[2:3]
	v_mov_b32_e32 v20, 1
.LBB86_129:
	s_or_b32 exec_lo, exec_lo, s2
	s_delay_alu instid0(SALU_CYCLE_1)
	s_or_b32 exec_lo, exec_lo, s4
	s_and_saveexec_b32 s3, vcc_lo
	s_cbranch_execz .LBB86_135
.LBB86_130:
	v_and_b32_e32 v6, 1, v20
	v_and_b32_e32 v7, 1, v1
                                        ; implicit-def: $vgpr20
	s_delay_alu instid0(VALU_DEP_2) | instskip(NEXT) | instid1(VALU_DEP_2)
	v_cmp_eq_u32_e32 vcc_lo, 1, v6
	v_cmp_eq_u32_e64 s2, 1, v7
	s_and_b32 s2, vcc_lo, s2
	s_delay_alu instid0(SALU_CYCLE_1) | instskip(NEXT) | instid1(SALU_CYCLE_1)
	s_xor_b32 s2, s2, -1
	s_and_saveexec_b32 s4, s2
	s_delay_alu instid0(SALU_CYCLE_1)
	s_xor_b32 s2, exec_lo, s4
; %bb.131:
	v_and_b32_e32 v1, 0xffff, v1
	v_dual_cndmask_b32 v3, v5, v3 :: v_dual_cndmask_b32 v2, v4, v2
                                        ; implicit-def: $vgpr4_vgpr5
	s_delay_alu instid0(VALU_DEP_2)
	v_cndmask_b32_e64 v20, v1, 1, vcc_lo
; %bb.132:
	s_and_not1_saveexec_b32 s2, s2
	s_cbranch_execz .LBB86_134
; %bb.133:
	s_delay_alu instid0(VALU_DEP_2)
	v_min_i64 v[2:3], v[4:5], v[2:3]
	v_mov_b32_e32 v20, 1
.LBB86_134:
	s_or_b32 exec_lo, exec_lo, s2
.LBB86_135:
	s_delay_alu instid0(SALU_CYCLE_1) | instskip(SKIP_4) | instid1(VALU_DEP_2)
	s_or_b32 exec_lo, exec_lo, s3
	v_mbcnt_lo_u32_b32 v1, -1, 0
	v_and_b32_e32 v6, 0x60, v0
	s_min_u32 s3, s20, 0x80
	s_mov_b32 s2, exec_lo
	v_cmp_ne_u32_e32 vcc_lo, 31, v1
	s_delay_alu instid0(VALU_DEP_2) | instskip(SKIP_2) | instid1(VALU_DEP_1)
	v_sub_nc_u32_e64 v6, s3, v6 clamp
	v_add_nc_u32_e32 v8, 1, v1
	v_add_co_ci_u32_e64 v4, null, 0, v1, vcc_lo
	v_lshlrev_b32_e32 v5, 2, v4
	ds_bpermute_b32 v7, v5, v20
	ds_bpermute_b32 v4, v5, v2
	;; [unrolled: 1-line block ×3, first 2 shown]
	v_cmpx_lt_u32_e64 v8, v6
	s_xor_b32 s4, exec_lo, s2
	s_cbranch_execz .LBB86_137
; %bb.136:
	s_wait_dscnt 0x0
	v_min_i64 v[8:9], v[4:5], v[2:3]
	v_and_b32_e32 v10, 1, v20
	s_delay_alu instid0(VALU_DEP_1) | instskip(SKIP_3) | instid1(VALU_DEP_3)
	v_cmp_eq_u32_e32 vcc_lo, 1, v10
	v_and_b32_e32 v10, v7, v20
	v_and_b32_e32 v7, 0xff, v7
	v_dual_cndmask_b32 v2, v4, v2 :: v_dual_cndmask_b32 v3, v5, v3
	v_cmp_eq_u32_e64 s2, 0, v10
	s_delay_alu instid0(VALU_DEP_3) | instskip(NEXT) | instid1(VALU_DEP_1)
	v_cndmask_b32_e64 v4, v7, 1, vcc_lo
	v_dual_cndmask_b32 v20, 1, v4, s2 :: v_dual_cndmask_b32 v3, v9, v3, s2
	s_delay_alu instid0(VALU_DEP_4)
	v_cndmask_b32_e64 v2, v8, v2, s2
.LBB86_137:
	s_or_b32 exec_lo, exec_lo, s4
	v_cmp_gt_u32_e32 vcc_lo, 30, v1
	v_add_nc_u32_e32 v8, 2, v1
	s_mov_b32 s4, exec_lo
	s_wait_dscnt 0x1
	v_cndmask_b32_e64 v4, 0, 2, vcc_lo
	s_wait_dscnt 0x0
	s_delay_alu instid0(VALU_DEP_1)
	v_add_lshl_u32 v5, v4, v1, 2
	ds_bpermute_b32 v7, v5, v20
	ds_bpermute_b32 v4, v5, v2
	ds_bpermute_b32 v5, v5, v3
	v_cmpx_lt_u32_e64 v8, v6
	s_cbranch_execz .LBB86_139
; %bb.138:
	s_wait_dscnt 0x0
	v_min_i64 v[8:9], v[4:5], v[2:3]
	v_and_b32_e32 v10, 1, v20
	s_delay_alu instid0(VALU_DEP_1) | instskip(SKIP_3) | instid1(VALU_DEP_3)
	v_cmp_eq_u32_e32 vcc_lo, 1, v10
	v_bitop3_b32 v10, v20, 1, v7 bitop3:0x80
	v_and_b32_e32 v7, 0xff, v7
	v_cndmask_b32_e32 v2, v4, v2, vcc_lo
	v_cmp_eq_u32_e64 s2, 0, v10
	v_cndmask_b32_e32 v3, v5, v3, vcc_lo
	s_delay_alu instid0(VALU_DEP_4) | instskip(NEXT) | instid1(VALU_DEP_1)
	v_cndmask_b32_e64 v4, v7, 1, vcc_lo
	v_dual_cndmask_b32 v20, 1, v4, s2 :: v_dual_cndmask_b32 v2, v8, v2, s2
	s_delay_alu instid0(VALU_DEP_3)
	v_cndmask_b32_e64 v3, v9, v3, s2
.LBB86_139:
	s_or_b32 exec_lo, exec_lo, s4
	v_cmp_gt_u32_e32 vcc_lo, 28, v1
	v_add_nc_u32_e32 v8, 4, v1
	s_mov_b32 s4, exec_lo
	s_wait_dscnt 0x1
	v_cndmask_b32_e64 v4, 0, 4, vcc_lo
	s_wait_dscnt 0x0
	s_delay_alu instid0(VALU_DEP_1)
	v_add_lshl_u32 v5, v4, v1, 2
	ds_bpermute_b32 v7, v5, v20
	ds_bpermute_b32 v4, v5, v2
	ds_bpermute_b32 v5, v5, v3
	v_cmpx_lt_u32_e64 v8, v6
	s_cbranch_execz .LBB86_141
; %bb.140:
	s_wait_dscnt 0x0
	v_min_i64 v[8:9], v[4:5], v[2:3]
	v_and_b32_e32 v10, 1, v20
	s_delay_alu instid0(VALU_DEP_1) | instskip(SKIP_3) | instid1(VALU_DEP_3)
	v_cmp_eq_u32_e32 vcc_lo, 1, v10
	v_bitop3_b32 v10, v20, 1, v7 bitop3:0x80
	v_and_b32_e32 v7, 0xff, v7
	v_cndmask_b32_e32 v2, v4, v2, vcc_lo
	v_cmp_eq_u32_e64 s2, 0, v10
	v_cndmask_b32_e32 v3, v5, v3, vcc_lo
	s_delay_alu instid0(VALU_DEP_4) | instskip(NEXT) | instid1(VALU_DEP_1)
	v_cndmask_b32_e64 v4, v7, 1, vcc_lo
	v_dual_cndmask_b32 v20, 1, v4, s2 :: v_dual_cndmask_b32 v2, v8, v2, s2
	s_delay_alu instid0(VALU_DEP_3)
	v_cndmask_b32_e64 v3, v9, v3, s2
.LBB86_141:
	;; [unrolled: 31-line block ×3, first 2 shown]
	s_or_b32 exec_lo, exec_lo, s4
	s_wait_dscnt 0x2
	v_dual_lshlrev_b32 v7, 2, v1 :: v_dual_add_nc_u32 v9, 16, v1
	s_wait_dscnt 0x0
	s_delay_alu instid0(VALU_DEP_1) | instskip(NEXT) | instid1(VALU_DEP_2)
	v_or_b32_e32 v5, 64, v7
	v_cmp_lt_u32_e32 vcc_lo, v9, v6
	v_mov_b32_e32 v6, v20
	ds_bpermute_b32 v8, v5, v20
	ds_bpermute_b32 v4, v5, v2
	;; [unrolled: 1-line block ×3, first 2 shown]
	s_and_saveexec_b32 s4, vcc_lo
	s_cbranch_execz .LBB86_145
; %bb.144:
	s_wait_dscnt 0x0
	v_min_i64 v[10:11], v[4:5], v[2:3]
	v_and_b32_e32 v6, 1, v20
	v_bitop3_b32 v9, v20, 1, v8 bitop3:0x80
	s_delay_alu instid0(VALU_DEP_2) | instskip(NEXT) | instid1(VALU_DEP_2)
	v_cmp_eq_u32_e32 vcc_lo, 1, v6
	v_cmp_eq_u32_e64 s2, 0, v9
	v_cndmask_b32_e64 v6, v8, 1, vcc_lo
	v_dual_cndmask_b32 v3, v5, v3 :: v_dual_cndmask_b32 v2, v4, v2
	s_delay_alu instid0(VALU_DEP_2) | instskip(NEXT) | instid1(VALU_DEP_1)
	v_cndmask_b32_e64 v6, 1, v6, s2
	v_and_b32_e32 v20, 0xff, v6
	s_delay_alu instid0(VALU_DEP_3)
	v_dual_cndmask_b32 v3, v11, v3, s2 :: v_dual_cndmask_b32 v2, v10, v2, s2
.LBB86_145:
	s_or_b32 exec_lo, exec_lo, s4
	s_delay_alu instid0(SALU_CYCLE_1)
	s_mov_b32 s2, exec_lo
	v_cmpx_eq_u32_e32 0, v1
	s_cbranch_execz .LBB86_147
; %bb.146:
	s_wait_dscnt 0x1
	v_lshrrev_b32_e32 v4, 1, v0
	s_delay_alu instid0(VALU_DEP_1)
	v_and_b32_e32 v4, 48, v4
	ds_store_b8 v4, v6 offset:256
	ds_store_b64 v4, v[2:3] offset:264
.LBB86_147:
	s_or_b32 exec_lo, exec_lo, s2
	s_delay_alu instid0(SALU_CYCLE_1)
	s_mov_b32 s4, exec_lo
	s_wait_dscnt 0x0
	s_barrier_signal -1
	s_barrier_wait -1
	v_cmpx_gt_u32_e32 4, v0
	s_cbranch_execz .LBB86_153
; %bb.148:
	v_dual_lshlrev_b32 v2, 4, v1 :: v_dual_bitop2_b32 v6, 3, v1 bitop3:0x40
	s_add_co_i32 s3, s3, 31
	s_mov_b32 s5, exec_lo
	s_lshr_b32 s3, s3, 5
	ds_load_u8 v8, v2 offset:256
	ds_load_b64 v[2:3], v2 offset:264
	v_cmp_ne_u32_e32 vcc_lo, 3, v6
	v_add_nc_u32_e32 v9, 1, v6
	v_add_co_ci_u32_e64 v1, null, 0, v1, vcc_lo
	s_delay_alu instid0(VALU_DEP_1)
	v_lshlrev_b32_e32 v5, 2, v1
	s_wait_dscnt 0x1
	v_and_b32_e32 v20, 0xff, v8
	s_wait_dscnt 0x0
	ds_bpermute_b32 v4, v5, v2
	ds_bpermute_b32 v1, v5, v20
	;; [unrolled: 1-line block ×3, first 2 shown]
	v_cmpx_gt_u32_e64 s3, v9
	s_cbranch_execz .LBB86_150
; %bb.149:
	s_wait_dscnt 0x0
	v_min_i64 v[10:11], v[4:5], v[2:3]
	v_and_b32_e32 v8, 1, v8
	s_delay_alu instid0(VALU_DEP_1) | instskip(SKIP_3) | instid1(VALU_DEP_3)
	v_cmp_eq_u32_e32 vcc_lo, 1, v8
	v_bitop3_b32 v8, v20, 1, v1 bitop3:0x80
	v_and_b32_e32 v1, 0xff, v1
	v_cndmask_b32_e32 v2, v4, v2, vcc_lo
	v_cmp_eq_u32_e64 s2, 0, v8
	v_cndmask_b32_e32 v3, v5, v3, vcc_lo
	s_delay_alu instid0(VALU_DEP_4) | instskip(NEXT) | instid1(VALU_DEP_1)
	v_cndmask_b32_e64 v1, v1, 1, vcc_lo
	v_dual_cndmask_b32 v20, 1, v1, s2 :: v_dual_cndmask_b32 v2, v10, v2, s2
	s_delay_alu instid0(VALU_DEP_3)
	v_cndmask_b32_e64 v3, v11, v3, s2
.LBB86_150:
	s_or_b32 exec_lo, exec_lo, s5
	s_wait_dscnt 0x0
	v_dual_add_nc_u32 v6, 2, v6 :: v_dual_bitop2_b32 v5, 8, v7 bitop3:0x54
	ds_bpermute_b32 v1, v5, v20
	ds_bpermute_b32 v4, v5, v2
	;; [unrolled: 1-line block ×3, first 2 shown]
	v_cmp_gt_u32_e32 vcc_lo, s3, v6
	s_and_saveexec_b32 s3, vcc_lo
	s_cbranch_execz .LBB86_152
; %bb.151:
	s_wait_dscnt 0x0
	v_min_i64 v[6:7], v[4:5], v[2:3]
	v_and_b32_e32 v8, 1, v20
	s_delay_alu instid0(VALU_DEP_1) | instskip(SKIP_2) | instid1(VALU_DEP_2)
	v_cmp_eq_u32_e32 vcc_lo, 1, v8
	v_bitop3_b32 v8, v20, 1, v1 bitop3:0x80
	v_cndmask_b32_e32 v2, v4, v2, vcc_lo
	v_cmp_eq_u32_e64 s2, 0, v8
	v_cndmask_b32_e32 v3, v5, v3, vcc_lo
	v_cndmask_b32_e64 v1, v1, 1, vcc_lo
	s_delay_alu instid0(VALU_DEP_1) | instskip(NEXT) | instid1(VALU_DEP_3)
	v_dual_cndmask_b32 v20, 1, v1, s2 :: v_dual_cndmask_b32 v2, v6, v2, s2
	v_cndmask_b32_e64 v3, v7, v3, s2
.LBB86_152:
	s_or_b32 exec_lo, exec_lo, s3
.LBB86_153:
	s_delay_alu instid0(SALU_CYCLE_1)
	s_or_b32 exec_lo, exec_lo, s4
.LBB86_154:
	v_cmp_eq_u32_e64 s2, 0, v0
	s_branch .LBB86_211
.LBB86_155:
	s_cmp_gt_i32 s24, 1
	s_cbranch_scc0 .LBB86_167
; %bb.156:
	s_cmp_eq_u32 s24, 2
	s_cbranch_scc0 .LBB86_168
; %bb.157:
	s_bfe_u32 s2, ttmp6, 0x4000c
	s_and_b32 s3, ttmp6, 15
	s_add_co_i32 s2, s2, 1
	s_getreg_b32 s4, hwreg(HW_REG_IB_STS2, 6, 4)
	s_mul_i32 s2, ttmp9, s2
	s_mov_b32 s11, 0
	s_add_co_i32 s3, s3, s2
	s_cmp_eq_u32 s4, 0
	s_mov_b32 s21, s11
	s_cselect_b32 s10, ttmp9, s3
	s_lshr_b64 s[2:3], s[14:15], 8
	s_lshl_b32 s20, s10, 8
	s_delay_alu instid0(SALU_CYCLE_1)
	s_lshl_b64 s[6:7], s[20:21], 2
	s_cmp_lg_u64 s[2:3], s[10:11]
	s_add_nc_u64 s[4:5], s[16:17], s[6:7]
	s_add_nc_u64 s[8:9], s[18:19], s[6:7]
	;; [unrolled: 1-line block ×3, first 2 shown]
	s_cbranch_scc0 .LBB86_169
; %bb.158:
	s_clause 0x3
	global_load_b32 v6, v0, s[4:5] scale_offset
	global_load_b32 v7, v0, s[8:9] scale_offset
	global_load_b32 v8, v0, s[8:9] offset:512 scale_offset
	global_load_b32 v9, v0, s[4:5] offset:512 scale_offset
	s_wait_loadcnt 0x2
	v_cmp_neq_f32_e32 vcc_lo, v6, v7
	s_wait_dscnt 0x2
	v_mov_b32_e32 v1, 0
	s_wait_loadcnt 0x0
	v_cmp_neq_f32_e64 s2, v9, v8
	s_delay_alu instid0(VALU_DEP_2) | instskip(SKIP_1) | instid1(VALU_DEP_1)
	v_add_nc_u64_e32 v[2:3], s[6:7], v[0:1]
	s_wait_dscnt 0x0
	v_add_nc_u64_e32 v[4:5], 0x80, v[2:3]
	s_delay_alu instid0(VALU_DEP_1) | instskip(SKIP_3) | instid1(VALU_DEP_2)
	v_dual_cndmask_b32 v3, v5, v3 :: v_dual_cndmask_b32 v2, v4, v2
	s_or_b32 vcc_lo, vcc_lo, s2
	s_mov_b32 s2, exec_lo
	v_cndmask_b32_e64 v8, 0, 1, vcc_lo
	v_mov_b32_dpp v5, v3 quad_perm:[1,0,3,2] row_mask:0xf bank_mask:0xf
	s_delay_alu instid0(VALU_DEP_2) | instskip(NEXT) | instid1(VALU_DEP_1)
	v_mov_b32_dpp v9, v8 quad_perm:[1,0,3,2] row_mask:0xf bank_mask:0xf
	v_and_b32_e32 v9, 1, v9
	v_mov_b32_dpp v4, v2 quad_perm:[1,0,3,2] row_mask:0xf bank_mask:0xf
	s_delay_alu instid0(VALU_DEP_1) | instskip(NEXT) | instid1(VALU_DEP_1)
	v_min_i64 v[6:7], v[2:3], v[4:5]
	v_dual_cndmask_b32 v4, v4, v6 :: v_dual_cndmask_b32 v5, v5, v7
	s_delay_alu instid0(VALU_DEP_4) | instskip(NEXT) | instid1(VALU_DEP_2)
	v_cmp_eq_u32_e32 vcc_lo, 1, v9
	v_dual_cndmask_b32 v3, v3, v5 :: v_dual_cndmask_b32 v2, v2, v4
	v_cndmask_b32_e64 v8, v8, 1, vcc_lo
	s_delay_alu instid0(VALU_DEP_2) | instskip(NEXT) | instid1(VALU_DEP_3)
	v_mov_b32_dpp v5, v3 quad_perm:[2,3,0,1] row_mask:0xf bank_mask:0xf
	v_mov_b32_dpp v4, v2 quad_perm:[2,3,0,1] row_mask:0xf bank_mask:0xf
	s_delay_alu instid0(VALU_DEP_3) | instskip(NEXT) | instid1(VALU_DEP_2)
	v_mov_b32_dpp v10, v8 quad_perm:[2,3,0,1] row_mask:0xf bank_mask:0xf
	v_min_i64 v[6:7], v[2:3], v[4:5]
	v_and_b32_e32 v9, 1, v8
	s_delay_alu instid0(VALU_DEP_1) | instskip(NEXT) | instid1(VALU_DEP_3)
	v_cmp_eq_u32_e32 vcc_lo, 1, v9
	v_dual_cndmask_b32 v5, v5, v7, vcc_lo :: v_dual_bitop2_b32 v9, 1, v10 bitop3:0x40
	s_delay_alu instid0(VALU_DEP_4) | instskip(NEXT) | instid1(VALU_DEP_2)
	v_cndmask_b32_e32 v4, v4, v6, vcc_lo
	v_cmp_eq_u32_e32 vcc_lo, 1, v9
	s_delay_alu instid0(VALU_DEP_2) | instskip(SKIP_1) | instid1(VALU_DEP_2)
	v_dual_cndmask_b32 v3, v3, v5 :: v_dual_cndmask_b32 v2, v2, v4
	v_cndmask_b32_e64 v8, v8, 1, vcc_lo
	v_mov_b32_dpp v5, v3 row_ror:4 row_mask:0xf bank_mask:0xf
	s_delay_alu instid0(VALU_DEP_3) | instskip(NEXT) | instid1(VALU_DEP_3)
	v_mov_b32_dpp v4, v2 row_ror:4 row_mask:0xf bank_mask:0xf
	v_mov_b32_dpp v10, v8 row_ror:4 row_mask:0xf bank_mask:0xf
	s_delay_alu instid0(VALU_DEP_2) | instskip(SKIP_1) | instid1(VALU_DEP_1)
	v_min_i64 v[6:7], v[2:3], v[4:5]
	v_and_b32_e32 v9, 1, v8
	v_cmp_eq_u32_e32 vcc_lo, 1, v9
	s_delay_alu instid0(VALU_DEP_3) | instskip(NEXT) | instid1(VALU_DEP_4)
	v_dual_cndmask_b32 v5, v5, v7, vcc_lo :: v_dual_bitop2_b32 v9, 1, v10 bitop3:0x40
	v_cndmask_b32_e32 v4, v4, v6, vcc_lo
	s_delay_alu instid0(VALU_DEP_2) | instskip(NEXT) | instid1(VALU_DEP_2)
	v_cmp_eq_u32_e32 vcc_lo, 1, v9
	v_dual_cndmask_b32 v3, v3, v5 :: v_dual_cndmask_b32 v2, v2, v4
	v_cndmask_b32_e64 v8, v8, 1, vcc_lo
	s_delay_alu instid0(VALU_DEP_2) | instskip(NEXT) | instid1(VALU_DEP_3)
	v_mov_b32_dpp v5, v3 row_ror:8 row_mask:0xf bank_mask:0xf
	v_mov_b32_dpp v4, v2 row_ror:8 row_mask:0xf bank_mask:0xf
	s_delay_alu instid0(VALU_DEP_3) | instskip(NEXT) | instid1(VALU_DEP_2)
	v_mov_b32_dpp v10, v8 row_ror:8 row_mask:0xf bank_mask:0xf
	v_min_i64 v[6:7], v[2:3], v[4:5]
	v_and_b32_e32 v9, 1, v8
	s_delay_alu instid0(VALU_DEP_1) | instskip(NEXT) | instid1(VALU_DEP_3)
	v_cmp_eq_u32_e32 vcc_lo, 1, v9
	v_dual_cndmask_b32 v5, v5, v7, vcc_lo :: v_dual_bitop2_b32 v9, 1, v10 bitop3:0x40
	s_delay_alu instid0(VALU_DEP_4) | instskip(NEXT) | instid1(VALU_DEP_2)
	v_cndmask_b32_e32 v4, v4, v6, vcc_lo
	v_cmp_eq_u32_e32 vcc_lo, 1, v9
	s_delay_alu instid0(VALU_DEP_2)
	v_dual_cndmask_b32 v3, v3, v5 :: v_dual_cndmask_b32 v2, v2, v4
	v_cndmask_b32_e64 v8, v8, 1, vcc_lo
	ds_swizzle_b32 v5, v3 offset:swizzle(BROADCAST,32,15)
	ds_swizzle_b32 v4, v2 offset:swizzle(BROADCAST,32,15)
	;; [unrolled: 1-line block ×3, first 2 shown]
	s_wait_dscnt 0x1
	v_min_i64 v[6:7], v[2:3], v[4:5]
	v_and_b32_e32 v10, 1, v8
	s_delay_alu instid0(VALU_DEP_1) | instskip(SKIP_1) | instid1(VALU_DEP_3)
	v_cmp_eq_u32_e32 vcc_lo, 1, v10
	s_wait_dscnt 0x0
	v_dual_cndmask_b32 v5, v5, v7, vcc_lo :: v_dual_bitop2_b32 v9, 1, v9 bitop3:0x40
	s_delay_alu instid0(VALU_DEP_4) | instskip(NEXT) | instid1(VALU_DEP_2)
	v_cndmask_b32_e32 v4, v4, v6, vcc_lo
	v_cmp_eq_u32_e32 vcc_lo, 1, v9
	s_delay_alu instid0(VALU_DEP_2)
	v_dual_cndmask_b32 v3, v3, v5 :: v_dual_cndmask_b32 v2, v2, v4
	v_cndmask_b32_e64 v5, v8, 1, vcc_lo
	ds_bpermute_b32 v3, v1, v3 offset:124
	ds_bpermute_b32 v2, v1, v2 offset:124
	;; [unrolled: 1-line block ×3, first 2 shown]
	v_mbcnt_lo_u32_b32 v1, -1, 0
	s_delay_alu instid0(VALU_DEP_1)
	v_cmpx_eq_u32_e32 0, v1
	s_cbranch_execz .LBB86_160
; %bb.159:
	v_lshrrev_b32_e32 v4, 1, v0
	s_delay_alu instid0(VALU_DEP_1)
	v_and_b32_e32 v4, 48, v4
	s_wait_dscnt 0x0
	ds_store_b8 v4, v20 offset:64
	ds_store_b64 v4, v[2:3] offset:72
.LBB86_160:
	s_or_b32 exec_lo, exec_lo, s2
	s_delay_alu instid0(SALU_CYCLE_1)
	s_mov_b32 s2, exec_lo
	s_wait_dscnt 0x0
	s_barrier_signal -1
	s_barrier_wait -1
	v_cmpx_gt_u32_e32 32, v0
	s_cbranch_execz .LBB86_166
; %bb.161:
	v_and_b32_e32 v2, 3, v1
	s_delay_alu instid0(VALU_DEP_1) | instskip(SKIP_2) | instid1(VALU_DEP_1)
	v_cmp_ne_u32_e32 vcc_lo, 3, v2
	v_lshlrev_b32_e32 v3, 4, v2
	v_add_co_ci_u32_e64 v2, null, 0, v1, vcc_lo
	v_lshlrev_b32_e32 v2, 2, v2
	ds_load_u8 v8, v3 offset:64
	ds_load_b64 v[4:5], v3 offset:72
	s_wait_dscnt 0x1
	v_and_b32_e32 v3, 0xff, v8
	s_wait_dscnt 0x0
	ds_bpermute_b32 v6, v2, v4
	ds_bpermute_b32 v7, v2, v5
	;; [unrolled: 1-line block ×3, first 2 shown]
	s_wait_dscnt 0x0
	v_and_b32_e32 v2, v8, v9
	s_delay_alu instid0(VALU_DEP_1) | instskip(NEXT) | instid1(VALU_DEP_1)
	v_and_b32_e32 v2, 1, v2
	v_cmp_eq_u32_e32 vcc_lo, 1, v2
                                        ; implicit-def: $vgpr2_vgpr3
	s_and_saveexec_b32 s3, vcc_lo
	s_delay_alu instid0(SALU_CYCLE_1)
	s_xor_b32 s3, exec_lo, s3
; %bb.162:
	v_min_i64 v[2:3], v[6:7], v[4:5]
                                        ; implicit-def: $vgpr8
                                        ; implicit-def: $vgpr6_vgpr7
                                        ; implicit-def: $vgpr4_vgpr5
                                        ; implicit-def: $vgpr9
; %bb.163:
	s_or_saveexec_b32 s3, s3
	v_dual_mov_b32 v10, 1 :: v_dual_lshlrev_b32 v1, 2, v1
	s_xor_b32 exec_lo, exec_lo, s3
; %bb.164:
	v_and_b32_e32 v2, 1, v8
	v_and_b32_e32 v8, 0xff, v9
	s_delay_alu instid0(VALU_DEP_2) | instskip(SKIP_1) | instid1(VALU_DEP_3)
	v_cmp_eq_u32_e32 vcc_lo, 1, v2
	v_dual_cndmask_b32 v3, v7, v5 :: v_dual_cndmask_b32 v2, v6, v4
	v_cndmask_b32_e64 v10, v8, 1, vcc_lo
; %bb.165:
	s_or_b32 exec_lo, exec_lo, s3
	s_delay_alu instid0(VALU_DEP_1) | instskip(NEXT) | instid1(VALU_DEP_1)
	v_and_b32_e32 v8, 1, v10
	v_cmp_eq_u32_e32 vcc_lo, 1, v8
	v_or_b32_e32 v1, 8, v1
	ds_bpermute_b32 v4, v1, v2
	ds_bpermute_b32 v5, v1, v3
	s_wait_dscnt 0x0
	v_min_i64 v[6:7], v[4:5], v[2:3]
	v_cndmask_b32_e32 v2, v4, v2, vcc_lo
	ds_bpermute_b32 v1, v1, v10
	v_cndmask_b32_e32 v3, v5, v3, vcc_lo
	s_wait_dscnt 0x0
	v_bitop3_b32 v8, v10, 1, v1 bitop3:0x80
	v_cndmask_b32_e64 v1, v1, 1, vcc_lo
	s_delay_alu instid0(VALU_DEP_2) | instskip(NEXT) | instid1(VALU_DEP_2)
	v_cmp_eq_u32_e32 vcc_lo, 0, v8
	v_dual_cndmask_b32 v20, 1, v1 :: v_dual_cndmask_b32 v3, v7, v3
	v_cndmask_b32_e32 v2, v6, v2, vcc_lo
.LBB86_166:
	s_or_b32 exec_lo, exec_lo, s2
	s_branch .LBB86_193
.LBB86_167:
                                        ; implicit-def: $sgpr10_sgpr11
                                        ; implicit-def: $vgpr2_vgpr3
                                        ; implicit-def: $vgpr20
	s_cbranch_execnz .LBB86_194
	s_branch .LBB86_211
.LBB86_168:
                                        ; implicit-def: $sgpr10_sgpr11
                                        ; implicit-def: $vgpr2_vgpr3
                                        ; implicit-def: $vgpr20
	s_branch .LBB86_211
.LBB86_169:
                                        ; implicit-def: $vgpr2_vgpr3
                                        ; implicit-def: $vgpr20
	s_cbranch_execz .LBB86_193
; %bb.170:
	s_wait_dscnt 0x0
	v_mov_b64_e32 v[4:5], 0
	v_mov_b64_e32 v[2:3], 0
	v_dual_mov_b32 v7, 0 :: v_dual_mov_b32 v1, 0
	s_sub_co_i32 s20, s14, s20
	s_mov_b32 s2, exec_lo
	v_cmpx_gt_u32_e64 s20, v0
	s_cbranch_execz .LBB86_172
; %bb.171:
	s_clause 0x1
	global_load_b32 v6, v0, s[4:5] scale_offset
	global_load_b32 v8, v0, s[8:9] scale_offset
	v_mov_b32_e32 v1, 0
	s_delay_alu instid0(VALU_DEP_1)
	v_add_nc_u64_e32 v[2:3], s[6:7], v[0:1]
	s_wait_loadcnt 0x0
	v_cmp_neq_f32_e32 vcc_lo, v6, v8
	v_cndmask_b32_e64 v1, 0, 1, vcc_lo
.LBB86_172:
	s_or_b32 exec_lo, exec_lo, s2
	v_or_b32_e32 v6, 0x80, v0
	s_delay_alu instid0(VALU_DEP_1)
	v_cmp_gt_u32_e32 vcc_lo, s20, v6
	s_and_saveexec_b32 s3, vcc_lo
	s_cbranch_execz .LBB86_174
; %bb.173:
	s_clause 0x1
	global_load_b32 v8, v0, s[4:5] offset:512 scale_offset
	global_load_b32 v9, v0, s[8:9] offset:512 scale_offset
	v_mov_b32_e32 v7, 0
	s_delay_alu instid0(VALU_DEP_1) | instskip(SKIP_2) | instid1(VALU_DEP_1)
	v_add_nc_u64_e32 v[4:5], s[6:7], v[6:7]
	s_wait_loadcnt 0x0
	v_cmp_neq_f32_e64 s2, v8, v9
	v_cndmask_b32_e64 v7, 0, 1, s2
.LBB86_174:
	s_or_b32 exec_lo, exec_lo, s3
	s_delay_alu instid0(VALU_DEP_3) | instskip(NEXT) | instid1(VALU_DEP_2)
	v_min_i64 v[8:9], v[4:5], v[2:3]
	v_and_b32_e32 v6, 1, v7
	v_and_b32_e32 v10, 0xffff, v1
	;; [unrolled: 1-line block ×3, first 2 shown]
	s_mov_b32 s4, exec_lo
	s_delay_alu instid0(VALU_DEP_3) | instskip(SKIP_2) | instid1(VALU_DEP_1)
	v_cmp_eq_u32_e64 s2, 1, v6
	v_and_b32_e32 v6, 1, v1
	v_mbcnt_lo_u32_b32 v1, -1, 0
	v_cmp_ne_u32_e64 s3, 31, v1
	s_delay_alu instid0(VALU_DEP_4) | instskip(NEXT) | instid1(VALU_DEP_4)
	v_dual_cndmask_b32 v9, v3, v9, s2 :: v_dual_cndmask_b32 v8, v2, v8, s2
	v_cmp_eq_u32_e64 s2, 1, v6
	s_delay_alu instid0(VALU_DEP_1) | instskip(NEXT) | instid1(VALU_DEP_4)
	v_cndmask_b32_e64 v6, v7, 1, s2
	v_add_co_ci_u32_e64 v7, null, 0, v1, s3
	s_delay_alu instid0(VALU_DEP_4) | instskip(NEXT) | instid1(VALU_DEP_2)
	v_dual_cndmask_b32 v4, v4, v8, s2 :: v_dual_cndmask_b32 v5, v5, v9, s2
	v_dual_cndmask_b32 v20, v10, v6, vcc_lo :: v_dual_lshlrev_b32 v6, 2, v7
	s_min_u32 s3, s20, 0x80
	s_delay_alu instid0(VALU_DEP_2)
	v_dual_cndmask_b32 v2, v2, v4 :: v_dual_cndmask_b32 v3, v3, v5
	v_add_nc_u32_e32 v8, 1, v1
	ds_bpermute_b32 v7, v6, v20
	ds_bpermute_b32 v4, v6, v2
	;; [unrolled: 1-line block ×3, first 2 shown]
	v_and_b32_e32 v6, 0x60, v0
	s_delay_alu instid0(VALU_DEP_1) | instskip(NEXT) | instid1(VALU_DEP_1)
	v_sub_nc_u32_e64 v6, s3, v6 clamp
	v_cmpx_lt_u32_e64 v8, v6
	s_cbranch_execz .LBB86_176
; %bb.175:
	s_wait_dscnt 0x0
	v_min_i64 v[8:9], v[4:5], v[2:3]
	v_and_b32_e32 v10, 1, v20
	s_delay_alu instid0(VALU_DEP_1) | instskip(SKIP_3) | instid1(VALU_DEP_3)
	v_cmp_eq_u32_e32 vcc_lo, 1, v10
	v_and_b32_e32 v10, v20, v7
	v_and_b32_e32 v7, 0xff, v7
	v_cndmask_b32_e32 v2, v4, v2, vcc_lo
	v_cmp_eq_u32_e64 s2, 0, v10
	v_cndmask_b32_e32 v3, v5, v3, vcc_lo
	s_delay_alu instid0(VALU_DEP_4) | instskip(NEXT) | instid1(VALU_DEP_1)
	v_cndmask_b32_e64 v4, v7, 1, vcc_lo
	v_dual_cndmask_b32 v20, 1, v4, s2 :: v_dual_cndmask_b32 v2, v8, v2, s2
	s_delay_alu instid0(VALU_DEP_3)
	v_cndmask_b32_e64 v3, v9, v3, s2
.LBB86_176:
	s_or_b32 exec_lo, exec_lo, s4
	v_cmp_gt_u32_e32 vcc_lo, 30, v1
	v_add_nc_u32_e32 v8, 2, v1
	s_mov_b32 s4, exec_lo
	s_wait_dscnt 0x1
	v_cndmask_b32_e64 v4, 0, 2, vcc_lo
	s_wait_dscnt 0x0
	s_delay_alu instid0(VALU_DEP_1)
	v_add_lshl_u32 v5, v4, v1, 2
	ds_bpermute_b32 v7, v5, v20
	ds_bpermute_b32 v4, v5, v2
	ds_bpermute_b32 v5, v5, v3
	v_cmpx_lt_u32_e64 v8, v6
	s_cbranch_execz .LBB86_178
; %bb.177:
	s_wait_dscnt 0x0
	v_min_i64 v[8:9], v[4:5], v[2:3]
	v_and_b32_e32 v10, 1, v20
	s_delay_alu instid0(VALU_DEP_1) | instskip(SKIP_3) | instid1(VALU_DEP_3)
	v_cmp_eq_u32_e32 vcc_lo, 1, v10
	v_bitop3_b32 v10, v20, 1, v7 bitop3:0x80
	v_and_b32_e32 v7, 0xff, v7
	v_cndmask_b32_e32 v2, v4, v2, vcc_lo
	v_cmp_eq_u32_e64 s2, 0, v10
	v_cndmask_b32_e32 v3, v5, v3, vcc_lo
	s_delay_alu instid0(VALU_DEP_4) | instskip(NEXT) | instid1(VALU_DEP_1)
	v_cndmask_b32_e64 v4, v7, 1, vcc_lo
	v_dual_cndmask_b32 v20, 1, v4, s2 :: v_dual_cndmask_b32 v2, v8, v2, s2
	s_delay_alu instid0(VALU_DEP_3)
	v_cndmask_b32_e64 v3, v9, v3, s2
.LBB86_178:
	s_or_b32 exec_lo, exec_lo, s4
	v_cmp_gt_u32_e32 vcc_lo, 28, v1
	v_add_nc_u32_e32 v8, 4, v1
	s_mov_b32 s4, exec_lo
	s_wait_dscnt 0x1
	v_cndmask_b32_e64 v4, 0, 4, vcc_lo
	s_wait_dscnt 0x0
	s_delay_alu instid0(VALU_DEP_1)
	v_add_lshl_u32 v5, v4, v1, 2
	ds_bpermute_b32 v7, v5, v20
	ds_bpermute_b32 v4, v5, v2
	ds_bpermute_b32 v5, v5, v3
	v_cmpx_lt_u32_e64 v8, v6
	s_cbranch_execz .LBB86_180
; %bb.179:
	s_wait_dscnt 0x0
	v_min_i64 v[8:9], v[4:5], v[2:3]
	v_and_b32_e32 v10, 1, v20
	s_delay_alu instid0(VALU_DEP_1) | instskip(SKIP_3) | instid1(VALU_DEP_3)
	v_cmp_eq_u32_e32 vcc_lo, 1, v10
	v_bitop3_b32 v10, v20, 1, v7 bitop3:0x80
	v_and_b32_e32 v7, 0xff, v7
	v_cndmask_b32_e32 v2, v4, v2, vcc_lo
	v_cmp_eq_u32_e64 s2, 0, v10
	v_cndmask_b32_e32 v3, v5, v3, vcc_lo
	s_delay_alu instid0(VALU_DEP_4) | instskip(NEXT) | instid1(VALU_DEP_1)
	v_cndmask_b32_e64 v4, v7, 1, vcc_lo
	v_dual_cndmask_b32 v20, 1, v4, s2 :: v_dual_cndmask_b32 v2, v8, v2, s2
	s_delay_alu instid0(VALU_DEP_3)
	v_cndmask_b32_e64 v3, v9, v3, s2
.LBB86_180:
	;; [unrolled: 31-line block ×3, first 2 shown]
	s_or_b32 exec_lo, exec_lo, s4
	s_wait_dscnt 0x2
	v_dual_lshlrev_b32 v7, 2, v1 :: v_dual_add_nc_u32 v9, 16, v1
	s_wait_dscnt 0x0
	s_delay_alu instid0(VALU_DEP_1) | instskip(NEXT) | instid1(VALU_DEP_2)
	v_or_b32_e32 v5, 64, v7
	v_cmp_lt_u32_e32 vcc_lo, v9, v6
	v_mov_b32_e32 v6, v20
	ds_bpermute_b32 v8, v5, v20
	ds_bpermute_b32 v4, v5, v2
	;; [unrolled: 1-line block ×3, first 2 shown]
	s_and_saveexec_b32 s4, vcc_lo
	s_cbranch_execz .LBB86_184
; %bb.183:
	s_wait_dscnt 0x0
	v_min_i64 v[10:11], v[4:5], v[2:3]
	v_and_b32_e32 v6, 1, v20
	v_bitop3_b32 v9, v20, 1, v8 bitop3:0x80
	s_delay_alu instid0(VALU_DEP_2) | instskip(NEXT) | instid1(VALU_DEP_2)
	v_cmp_eq_u32_e32 vcc_lo, 1, v6
	v_cmp_eq_u32_e64 s2, 0, v9
	v_cndmask_b32_e64 v6, v8, 1, vcc_lo
	v_dual_cndmask_b32 v3, v5, v3 :: v_dual_cndmask_b32 v2, v4, v2
	s_delay_alu instid0(VALU_DEP_2) | instskip(NEXT) | instid1(VALU_DEP_1)
	v_cndmask_b32_e64 v6, 1, v6, s2
	v_and_b32_e32 v20, 0xff, v6
	s_delay_alu instid0(VALU_DEP_3)
	v_dual_cndmask_b32 v3, v11, v3, s2 :: v_dual_cndmask_b32 v2, v10, v2, s2
.LBB86_184:
	s_or_b32 exec_lo, exec_lo, s4
	s_delay_alu instid0(SALU_CYCLE_1)
	s_mov_b32 s2, exec_lo
	v_cmpx_eq_u32_e32 0, v1
	s_cbranch_execz .LBB86_186
; %bb.185:
	s_wait_dscnt 0x1
	v_lshrrev_b32_e32 v4, 1, v0
	s_delay_alu instid0(VALU_DEP_1)
	v_and_b32_e32 v4, 48, v4
	ds_store_b8 v4, v6 offset:256
	ds_store_b64 v4, v[2:3] offset:264
.LBB86_186:
	s_or_b32 exec_lo, exec_lo, s2
	s_delay_alu instid0(SALU_CYCLE_1)
	s_mov_b32 s4, exec_lo
	s_wait_dscnt 0x0
	s_barrier_signal -1
	s_barrier_wait -1
	v_cmpx_gt_u32_e32 4, v0
	s_cbranch_execz .LBB86_192
; %bb.187:
	v_dual_lshlrev_b32 v2, 4, v1 :: v_dual_bitop2_b32 v6, 3, v1 bitop3:0x40
	s_add_co_i32 s3, s3, 31
	s_mov_b32 s5, exec_lo
	s_lshr_b32 s3, s3, 5
	ds_load_u8 v8, v2 offset:256
	ds_load_b64 v[2:3], v2 offset:264
	v_cmp_ne_u32_e32 vcc_lo, 3, v6
	v_add_nc_u32_e32 v9, 1, v6
	v_add_co_ci_u32_e64 v1, null, 0, v1, vcc_lo
	s_delay_alu instid0(VALU_DEP_1)
	v_lshlrev_b32_e32 v5, 2, v1
	s_wait_dscnt 0x1
	v_and_b32_e32 v20, 0xff, v8
	s_wait_dscnt 0x0
	ds_bpermute_b32 v4, v5, v2
	ds_bpermute_b32 v1, v5, v20
	;; [unrolled: 1-line block ×3, first 2 shown]
	v_cmpx_gt_u32_e64 s3, v9
	s_cbranch_execz .LBB86_189
; %bb.188:
	s_wait_dscnt 0x0
	v_min_i64 v[10:11], v[4:5], v[2:3]
	v_and_b32_e32 v8, 1, v8
	s_delay_alu instid0(VALU_DEP_1) | instskip(SKIP_3) | instid1(VALU_DEP_3)
	v_cmp_eq_u32_e32 vcc_lo, 1, v8
	v_bitop3_b32 v8, v20, 1, v1 bitop3:0x80
	v_and_b32_e32 v1, 0xff, v1
	v_cndmask_b32_e32 v2, v4, v2, vcc_lo
	v_cmp_eq_u32_e64 s2, 0, v8
	v_cndmask_b32_e32 v3, v5, v3, vcc_lo
	s_delay_alu instid0(VALU_DEP_4) | instskip(NEXT) | instid1(VALU_DEP_1)
	v_cndmask_b32_e64 v1, v1, 1, vcc_lo
	v_dual_cndmask_b32 v20, 1, v1, s2 :: v_dual_cndmask_b32 v2, v10, v2, s2
	s_delay_alu instid0(VALU_DEP_3)
	v_cndmask_b32_e64 v3, v11, v3, s2
.LBB86_189:
	s_or_b32 exec_lo, exec_lo, s5
	s_wait_dscnt 0x0
	v_dual_add_nc_u32 v6, 2, v6 :: v_dual_bitop2_b32 v5, 8, v7 bitop3:0x54
	ds_bpermute_b32 v1, v5, v20
	ds_bpermute_b32 v4, v5, v2
	;; [unrolled: 1-line block ×3, first 2 shown]
	v_cmp_gt_u32_e32 vcc_lo, s3, v6
	s_and_saveexec_b32 s3, vcc_lo
	s_cbranch_execz .LBB86_191
; %bb.190:
	s_wait_dscnt 0x0
	v_min_i64 v[6:7], v[4:5], v[2:3]
	v_and_b32_e32 v8, 1, v20
	s_delay_alu instid0(VALU_DEP_1) | instskip(SKIP_2) | instid1(VALU_DEP_2)
	v_cmp_eq_u32_e32 vcc_lo, 1, v8
	v_bitop3_b32 v8, v20, 1, v1 bitop3:0x80
	v_cndmask_b32_e32 v2, v4, v2, vcc_lo
	v_cmp_eq_u32_e64 s2, 0, v8
	v_cndmask_b32_e32 v3, v5, v3, vcc_lo
	v_cndmask_b32_e64 v1, v1, 1, vcc_lo
	s_delay_alu instid0(VALU_DEP_1) | instskip(NEXT) | instid1(VALU_DEP_3)
	v_dual_cndmask_b32 v20, 1, v1, s2 :: v_dual_cndmask_b32 v2, v6, v2, s2
	v_cndmask_b32_e64 v3, v7, v3, s2
.LBB86_191:
	s_or_b32 exec_lo, exec_lo, s3
.LBB86_192:
	s_delay_alu instid0(SALU_CYCLE_1)
	s_or_b32 exec_lo, exec_lo, s4
.LBB86_193:
	v_cmp_eq_u32_e64 s2, 0, v0
	s_branch .LBB86_211
.LBB86_194:
	s_cmp_eq_u32 s24, 1
	s_cbranch_scc0 .LBB86_210
; %bb.195:
	s_bfe_u32 s2, ttmp6, 0x4000c
	s_and_b32 s3, ttmp6, 15
	s_add_co_i32 s2, s2, 1
	s_getreg_b32 s4, hwreg(HW_REG_IB_STS2, 6, 4)
	s_mul_i32 s2, ttmp9, s2
	s_mov_b32 s5, 0
	s_add_co_i32 s3, s3, s2
	s_cmp_eq_u32 s4, 0
	v_mbcnt_lo_u32_b32 v8, -1, 0
	s_cselect_b32 s10, ttmp9, s3
	s_mov_b32 s11, s5
	s_lshr_b64 s[2:3], s[14:15], 7
	s_lshl_b32 s4, s10, 7
	s_cmp_lg_u64 s[2:3], s[10:11]
	s_cbranch_scc0 .LBB86_214
; %bb.196:
	s_lshl_b64 s[2:3], s[4:5], 2
	s_delay_alu instid0(SALU_CYCLE_1)
	s_add_nc_u64 s[6:7], s[16:17], s[2:3]
	s_add_nc_u64 s[2:3], s[18:19], s[2:3]
	s_clause 0x1
	global_load_b32 v9, v0, s[6:7] scale_offset
	global_load_b32 v10, v0, s[2:3] scale_offset
	s_wait_xcnt 0x0
	s_add_nc_u64 s[2:3], s[12:13], s[4:5]
	s_wait_loadcnt 0x0
	v_cmp_neq_f32_e32 vcc_lo, v9, v10
	v_cndmask_b32_e64 v9, 0, 1, vcc_lo
	s_delay_alu instid0(VALU_DEP_1) | instskip(SKIP_1) | instid1(VALU_DEP_1)
	v_mov_b32_dpp v9, v9 quad_perm:[1,0,3,2] row_mask:0xf bank_mask:0xf
	s_wait_dscnt 0x2
	v_dual_mov_b32 v1, 0 :: v_dual_bitop2_b32 v9, 1, v9 bitop3:0x40
	s_delay_alu instid0(VALU_DEP_1) | instskip(NEXT) | instid1(VALU_DEP_2)
	v_add_nc_u64_e32 v[2:3], s[2:3], v[0:1]
	v_cmp_eq_u32_e64 s2, 1, v9
	s_wait_dscnt 0x1
	s_delay_alu instid0(VALU_DEP_2) | instskip(SKIP_1) | instid1(VALU_DEP_3)
	v_mov_b32_dpp v4, v2 quad_perm:[1,0,3,2] row_mask:0xf bank_mask:0xf
	s_wait_dscnt 0x0
	v_mov_b32_dpp v5, v3 quad_perm:[1,0,3,2] row_mask:0xf bank_mask:0xf
	s_delay_alu instid0(VALU_DEP_1) | instskip(NEXT) | instid1(VALU_DEP_1)
	v_min_i64 v[6:7], v[2:3], v[4:5]
	v_dual_cndmask_b32 v4, v4, v6 :: v_dual_cndmask_b32 v5, v5, v7
	s_or_b32 vcc_lo, s2, vcc_lo
	s_delay_alu instid0(SALU_CYCLE_1) | instskip(NEXT) | instid1(VALU_DEP_2)
	v_cndmask_b32_e64 v9, 0, 1, vcc_lo
	v_dual_cndmask_b32 v2, v2, v4, s2 :: v_dual_cndmask_b32 v3, v3, v5, s2
	s_delay_alu instid0(VALU_DEP_2) | instskip(NEXT) | instid1(VALU_DEP_2)
	v_mov_b32_dpp v9, v9 quad_perm:[2,3,0,1] row_mask:0xf bank_mask:0xf
	v_mov_b32_dpp v4, v2 quad_perm:[2,3,0,1] row_mask:0xf bank_mask:0xf
	s_delay_alu instid0(VALU_DEP_3) | instskip(NEXT) | instid1(VALU_DEP_1)
	v_mov_b32_dpp v5, v3 quad_perm:[2,3,0,1] row_mask:0xf bank_mask:0xf
	v_min_i64 v[6:7], v[2:3], v[4:5]
	s_delay_alu instid0(VALU_DEP_1) | instskip(NEXT) | instid1(VALU_DEP_1)
	v_dual_cndmask_b32 v4, v4, v6, vcc_lo :: v_dual_bitop2_b32 v9, 1, v9 bitop3:0x40
	v_cmp_eq_u32_e64 s2, 1, v9
	s_delay_alu instid0(VALU_DEP_1) | instskip(SKIP_1) | instid1(SALU_CYCLE_1)
	v_dual_cndmask_b32 v5, v5, v7, vcc_lo :: v_dual_cndmask_b32 v2, v2, v4, s2
	s_or_b32 vcc_lo, s2, vcc_lo
	v_cndmask_b32_e64 v9, 0, 1, vcc_lo
	s_delay_alu instid0(VALU_DEP_2) | instskip(NEXT) | instid1(VALU_DEP_3)
	v_mov_b32_dpp v4, v2 row_ror:4 row_mask:0xf bank_mask:0xf
	v_cndmask_b32_e64 v3, v3, v5, s2
	s_delay_alu instid0(VALU_DEP_3) | instskip(NEXT) | instid1(VALU_DEP_2)
	v_mov_b32_dpp v9, v9 row_ror:4 row_mask:0xf bank_mask:0xf
	v_mov_b32_dpp v5, v3 row_ror:4 row_mask:0xf bank_mask:0xf
	s_delay_alu instid0(VALU_DEP_1) | instskip(NEXT) | instid1(VALU_DEP_1)
	v_min_i64 v[6:7], v[2:3], v[4:5]
	v_dual_cndmask_b32 v5, v5, v7, vcc_lo :: v_dual_bitop2_b32 v9, 1, v9 bitop3:0x40
	s_delay_alu instid0(VALU_DEP_2) | instskip(NEXT) | instid1(VALU_DEP_2)
	v_cndmask_b32_e32 v4, v4, v6, vcc_lo
	v_cmp_eq_u32_e64 s2, 1, v9
	s_delay_alu instid0(VALU_DEP_1) | instskip(SKIP_1) | instid1(SALU_CYCLE_1)
	v_dual_cndmask_b32 v3, v3, v5, s2 :: v_dual_cndmask_b32 v2, v2, v4, s2
	s_or_b32 vcc_lo, s2, vcc_lo
	v_cndmask_b32_e64 v9, 0, 1, vcc_lo
	s_delay_alu instid0(VALU_DEP_2) | instskip(NEXT) | instid1(VALU_DEP_3)
	v_mov_b32_dpp v5, v3 row_ror:8 row_mask:0xf bank_mask:0xf
	v_mov_b32_dpp v4, v2 row_ror:8 row_mask:0xf bank_mask:0xf
	s_delay_alu instid0(VALU_DEP_3) | instskip(NEXT) | instid1(VALU_DEP_2)
	v_mov_b32_dpp v9, v9 row_ror:8 row_mask:0xf bank_mask:0xf
	v_min_i64 v[6:7], v[2:3], v[4:5]
	s_delay_alu instid0(VALU_DEP_1) | instskip(NEXT) | instid1(VALU_DEP_1)
	v_dual_cndmask_b32 v4, v4, v6, vcc_lo :: v_dual_bitop2_b32 v9, 1, v9 bitop3:0x40
	v_cmp_eq_u32_e64 s2, 1, v9
	s_delay_alu instid0(VALU_DEP_1) | instskip(SKIP_1) | instid1(VALU_DEP_1)
	v_dual_cndmask_b32 v5, v5, v7, vcc_lo :: v_dual_cndmask_b32 v2, v2, v4, s2
	s_or_b32 vcc_lo, s2, vcc_lo
	v_cndmask_b32_e64 v3, v3, v5, s2
	v_cndmask_b32_e64 v9, 0, 1, vcc_lo
	ds_swizzle_b32 v4, v2 offset:swizzle(BROADCAST,32,15)
	ds_swizzle_b32 v5, v3 offset:swizzle(BROADCAST,32,15)
	;; [unrolled: 1-line block ×3, first 2 shown]
	s_wait_dscnt 0x1
	v_min_i64 v[6:7], v[2:3], v[4:5]
	s_wait_dscnt 0x0
	s_delay_alu instid0(VALU_DEP_1) | instskip(NEXT) | instid1(VALU_DEP_1)
	v_dual_cndmask_b32 v4, v4, v6, vcc_lo :: v_dual_bitop2_b32 v9, 1, v9 bitop3:0x40
	v_cmp_eq_u32_e64 s2, 1, v9
	s_delay_alu instid0(VALU_DEP_3) | instskip(SKIP_1) | instid1(VALU_DEP_1)
	v_cndmask_b32_e32 v5, v5, v7, vcc_lo
	s_or_b32 s3, s2, vcc_lo
	v_dual_cndmask_b32 v3, v3, v5, s2 :: v_dual_cndmask_b32 v2, v2, v4, s2
	v_cndmask_b32_e64 v5, 0, 1, s3
	s_mov_b32 s2, exec_lo
	ds_bpermute_b32 v3, v1, v3 offset:124
	ds_bpermute_b32 v2, v1, v2 offset:124
	;; [unrolled: 1-line block ×3, first 2 shown]
	v_cmpx_eq_u32_e32 0, v8
	s_cbranch_execz .LBB86_198
; %bb.197:
	v_lshrrev_b32_e32 v1, 1, v0
	s_delay_alu instid0(VALU_DEP_1)
	v_and_b32_e32 v1, 48, v1
	s_wait_dscnt 0x0
	ds_store_b8 v1, v20
	ds_store_b64 v1, v[2:3] offset:8
.LBB86_198:
	s_or_b32 exec_lo, exec_lo, s2
	s_delay_alu instid0(SALU_CYCLE_1)
	s_mov_b32 s2, exec_lo
	s_wait_dscnt 0x0
	s_barrier_signal -1
	s_barrier_wait -1
	v_cmpx_gt_u32_e32 32, v0
	s_cbranch_execz .LBB86_208
; %bb.199:
	v_and_b32_e32 v1, 3, v8
	s_mov_b32 s3, exec_lo
	s_delay_alu instid0(VALU_DEP_1) | instskip(SKIP_2) | instid1(VALU_DEP_1)
	v_cmp_ne_u32_e32 vcc_lo, 3, v1
	v_lshlrev_b32_e32 v2, 4, v1
	v_add_co_ci_u32_e64 v1, null, 0, v8, vcc_lo
	v_lshlrev_b32_e32 v1, 2, v1
	ds_load_u8 v9, v2
	ds_load_b64 v[2:3], v2 offset:8
	s_wait_dscnt 0x1
	v_and_b32_e32 v4, 0xff, v9
	s_wait_dscnt 0x0
	ds_bpermute_b32 v6, v1, v2
	ds_bpermute_b32 v7, v1, v3
	;; [unrolled: 1-line block ×3, first 2 shown]
                                        ; implicit-def: $vgpr4_vgpr5
	s_wait_dscnt 0x0
	v_and_b32_e32 v1, v9, v10
	s_delay_alu instid0(VALU_DEP_1) | instskip(NEXT) | instid1(VALU_DEP_1)
	v_and_b32_e32 v1, 1, v1
	v_cmpx_eq_u32_e32 1, v1
	s_xor_b32 s3, exec_lo, s3
; %bb.200:
	v_min_i64 v[4:5], v[6:7], v[2:3]
                                        ; implicit-def: $vgpr9
                                        ; implicit-def: $vgpr6_vgpr7
                                        ; implicit-def: $vgpr2_vgpr3
                                        ; implicit-def: $vgpr10
; %bb.201:
	s_or_saveexec_b32 s3, s3
	v_dual_lshlrev_b32 v11, 2, v8 :: v_dual_mov_b32 v1, 1
	s_xor_b32 exec_lo, exec_lo, s3
; %bb.202:
	v_and_b32_e32 v1, 1, v9
	s_delay_alu instid0(VALU_DEP_1) | instskip(SKIP_2) | instid1(VALU_DEP_2)
	v_cmp_eq_u32_e32 vcc_lo, 1, v1
	v_and_b32_e32 v1, 0xff, v10
	v_dual_cndmask_b32 v5, v7, v3 :: v_dual_cndmask_b32 v4, v6, v2
	v_cndmask_b32_e64 v1, v1, 1, vcc_lo
; %bb.203:
	s_or_b32 exec_lo, exec_lo, s3
	v_or_b32_e32 v2, 8, v11
	ds_bpermute_b32 v9, v2, v1
	ds_bpermute_b32 v6, v2, v4
	;; [unrolled: 1-line block ×3, first 2 shown]
	s_wait_dscnt 0x2
	v_and_b32_e32 v2, v1, v9
	s_delay_alu instid0(VALU_DEP_1) | instskip(NEXT) | instid1(VALU_DEP_1)
	v_and_b32_e32 v2, 1, v2
	v_cmp_eq_u32_e32 vcc_lo, 1, v2
                                        ; implicit-def: $vgpr2_vgpr3
	s_and_saveexec_b32 s3, vcc_lo
	s_delay_alu instid0(SALU_CYCLE_1)
	s_xor_b32 s3, exec_lo, s3
	s_cbranch_execz .LBB86_205
; %bb.204:
	s_wait_dscnt 0x0
	v_min_i64 v[2:3], v[6:7], v[4:5]
                                        ; implicit-def: $vgpr1
                                        ; implicit-def: $vgpr6_vgpr7
                                        ; implicit-def: $vgpr4_vgpr5
                                        ; implicit-def: $vgpr9
.LBB86_205:
	s_or_saveexec_b32 s3, s3
	v_mov_b32_e32 v20, 1
	s_xor_b32 exec_lo, exec_lo, s3
	s_cbranch_execz .LBB86_207
; %bb.206:
	v_and_b32_e32 v1, 1, v1
	s_delay_alu instid0(VALU_DEP_1)
	v_cmp_eq_u32_e32 vcc_lo, 1, v1
	s_wait_dscnt 0x0
	v_dual_cndmask_b32 v3, v7, v5 :: v_dual_cndmask_b32 v2, v6, v4
	v_cndmask_b32_e64 v20, v9, 1, vcc_lo
.LBB86_207:
	s_or_b32 exec_lo, exec_lo, s3
.LBB86_208:
	s_delay_alu instid0(SALU_CYCLE_1)
	s_or_b32 exec_lo, exec_lo, s2
.LBB86_209:
	v_cmp_eq_u32_e64 s2, 0, v0
	s_and_saveexec_b32 s3, s2
	s_cbranch_execnz .LBB86_212
	s_branch .LBB86_213
.LBB86_210:
                                        ; implicit-def: $sgpr10_sgpr11
                                        ; implicit-def: $vgpr2_vgpr3
                                        ; implicit-def: $vgpr20
.LBB86_211:
	s_delay_alu instid0(VALU_DEP_1)
	s_and_saveexec_b32 s3, s2
	s_cbranch_execz .LBB86_213
.LBB86_212:
	s_clause 0x1
	s_load_b64 s[2:3], s[0:1], 0x48
	s_load_b96 s[4:6], s[0:1], 0x38
	s_cmp_eq_u64 s[14:15], 0
	s_wait_xcnt 0x0
	s_cselect_b32 s0, -1, 0
	s_wait_dscnt 0x2
	s_wait_kmcnt 0x0
	v_min_i64 v[0:1], v[2:3], s[2:3]
	s_wait_dscnt 0x1
	v_and_b32_e32 v4, 1, v20
	s_bitcmp1_b32 s6, 0
	s_delay_alu instid0(VALU_DEP_1) | instskip(NEXT) | instid1(VALU_DEP_3)
	v_cmp_eq_u32_e32 vcc_lo, 1, v4
	v_cndmask_b32_e32 v1, s3, v1, vcc_lo
	s_delay_alu instid0(VALU_DEP_4) | instskip(SKIP_1) | instid1(SALU_CYCLE_1)
	v_cndmask_b32_e32 v0, s2, v0, vcc_lo
	s_cselect_b32 vcc_lo, -1, 0
	v_cndmask_b32_e64 v4, v20, 1, vcc_lo
	s_delay_alu instid0(VALU_DEP_2) | instskip(SKIP_1) | instid1(VALU_DEP_3)
	v_dual_cndmask_b32 v1, v3, v1 :: v_dual_cndmask_b32 v0, v2, v0
	v_mov_b32_e32 v2, 0
	v_cndmask_b32_e64 v3, v4, s6, s0
	s_delay_alu instid0(VALU_DEP_3) | instskip(NEXT) | instid1(VALU_DEP_4)
	v_cndmask_b32_e64 v1, v1, s3, s0
	v_cndmask_b32_e64 v0, v0, s2, s0
	s_lshl_b64 s[0:1], s[10:11], 4
	s_delay_alu instid0(SALU_CYCLE_1)
	s_add_nc_u64 s[0:1], s[4:5], s[0:1]
	s_clause 0x1
	global_store_b8 v2, v3, s[0:1]
	global_store_b64 v2, v[0:1], s[0:1] offset:8
.LBB86_213:
	s_endpgm
.LBB86_214:
                                        ; implicit-def: $vgpr2_vgpr3
                                        ; implicit-def: $vgpr20
	s_cbranch_execz .LBB86_209
; %bb.215:
	v_mov_b64_e32 v[2:3], 0
	s_wait_dscnt 0x1
	v_mov_b32_e32 v6, 0
	s_sub_co_i32 s2, s14, s4
	s_mov_b32 s3, exec_lo
	v_cmpx_gt_u32_e64 s2, v0
	s_cbranch_execz .LBB86_217
; %bb.216:
	s_lshl_b64 s[6:7], s[4:5], 2
	v_mov_b32_e32 v1, 0
	s_add_nc_u64 s[8:9], s[16:17], s[6:7]
	s_add_nc_u64 s[6:7], s[18:19], s[6:7]
	global_load_b32 v4, v0, s[8:9] scale_offset
	s_wait_dscnt 0x0
	global_load_b32 v5, v0, s[6:7] scale_offset
	s_add_nc_u64 s[4:5], s[12:13], s[4:5]
	s_delay_alu instid0(SALU_CYCLE_1)
	v_add_nc_u64_e32 v[2:3], s[4:5], v[0:1]
	s_wait_loadcnt 0x0
	v_cmp_neq_f32_e32 vcc_lo, v4, v5
	v_cndmask_b32_e64 v6, 0, 1, vcc_lo
.LBB86_217:
	s_or_b32 exec_lo, exec_lo, s3
	v_cmp_ne_u32_e32 vcc_lo, 31, v8
	s_delay_alu instid0(VALU_DEP_2) | instskip(SKIP_4) | instid1(VALU_DEP_1)
	v_and_b32_e32 v20, 0xffff, v6
	s_min_u32 s3, s2, 0x80
	s_mov_b32 s4, exec_lo
	v_add_nc_u32_e32 v9, 1, v8
	v_add_co_ci_u32_e64 v1, null, 0, v8, vcc_lo
	v_lshlrev_b32_e32 v1, 2, v1
	s_wait_dscnt 0x0
	ds_bpermute_b32 v7, v1, v20
	ds_bpermute_b32 v4, v1, v2
	ds_bpermute_b32 v5, v1, v3
	v_and_b32_e32 v1, 0x60, v0
	s_delay_alu instid0(VALU_DEP_1) | instskip(NEXT) | instid1(VALU_DEP_1)
	v_sub_nc_u32_e64 v1, s3, v1 clamp
	v_cmpx_lt_u32_e64 v9, v1
	s_cbranch_execz .LBB86_219
; %bb.218:
	s_wait_dscnt 0x0
	v_min_i64 v[10:11], v[4:5], v[2:3]
	v_and_b32_e32 v6, 1, v6
	s_delay_alu instid0(VALU_DEP_1) | instskip(SKIP_3) | instid1(VALU_DEP_3)
	v_cmp_eq_u32_e32 vcc_lo, 1, v6
	v_and_b32_e32 v6, v7, v20
	v_and_b32_e32 v7, 0xff, v7
	v_dual_cndmask_b32 v2, v4, v2 :: v_dual_cndmask_b32 v3, v5, v3
	v_cmp_eq_u32_e64 s2, 0, v6
	s_delay_alu instid0(VALU_DEP_3) | instskip(NEXT) | instid1(VALU_DEP_1)
	v_cndmask_b32_e64 v4, v7, 1, vcc_lo
	v_dual_cndmask_b32 v20, 1, v4, s2 :: v_dual_cndmask_b32 v3, v11, v3, s2
	s_delay_alu instid0(VALU_DEP_4)
	v_cndmask_b32_e64 v2, v10, v2, s2
.LBB86_219:
	s_or_b32 exec_lo, exec_lo, s4
	v_cmp_gt_u32_e32 vcc_lo, 30, v8
	s_wait_dscnt 0x2
	v_add_nc_u32_e32 v7, 2, v8
	s_mov_b32 s4, exec_lo
	s_wait_dscnt 0x1
	v_cndmask_b32_e64 v4, 0, 2, vcc_lo
	s_wait_dscnt 0x0
	s_delay_alu instid0(VALU_DEP_1)
	v_add_lshl_u32 v5, v4, v8, 2
	ds_bpermute_b32 v6, v5, v20
	ds_bpermute_b32 v4, v5, v2
	;; [unrolled: 1-line block ×3, first 2 shown]
	v_cmpx_lt_u32_e64 v7, v1
	s_cbranch_execz .LBB86_221
; %bb.220:
	s_wait_dscnt 0x0
	v_min_i64 v[10:11], v[4:5], v[2:3]
	v_and_b32_e32 v7, 1, v20
	s_delay_alu instid0(VALU_DEP_1) | instskip(SKIP_3) | instid1(VALU_DEP_3)
	v_cmp_eq_u32_e32 vcc_lo, 1, v7
	v_bitop3_b32 v7, v20, 1, v6 bitop3:0x80
	v_and_b32_e32 v6, 0xff, v6
	v_cndmask_b32_e32 v2, v4, v2, vcc_lo
	v_cmp_eq_u32_e64 s2, 0, v7
	v_cndmask_b32_e32 v3, v5, v3, vcc_lo
	s_delay_alu instid0(VALU_DEP_4) | instskip(NEXT) | instid1(VALU_DEP_1)
	v_cndmask_b32_e64 v4, v6, 1, vcc_lo
	v_dual_cndmask_b32 v20, 1, v4, s2 :: v_dual_cndmask_b32 v2, v10, v2, s2
	s_delay_alu instid0(VALU_DEP_3)
	v_cndmask_b32_e64 v3, v11, v3, s2
.LBB86_221:
	s_or_b32 exec_lo, exec_lo, s4
	v_cmp_gt_u32_e32 vcc_lo, 28, v8
	v_add_nc_u32_e32 v7, 4, v8
	s_mov_b32 s4, exec_lo
	s_wait_dscnt 0x1
	v_cndmask_b32_e64 v4, 0, 4, vcc_lo
	s_wait_dscnt 0x0
	s_delay_alu instid0(VALU_DEP_1)
	v_add_lshl_u32 v5, v4, v8, 2
	ds_bpermute_b32 v6, v5, v20
	ds_bpermute_b32 v4, v5, v2
	;; [unrolled: 1-line block ×3, first 2 shown]
	v_cmpx_lt_u32_e64 v7, v1
	s_cbranch_execz .LBB86_223
; %bb.222:
	s_wait_dscnt 0x0
	v_min_i64 v[10:11], v[4:5], v[2:3]
	v_and_b32_e32 v7, 1, v20
	s_delay_alu instid0(VALU_DEP_1) | instskip(SKIP_3) | instid1(VALU_DEP_3)
	v_cmp_eq_u32_e32 vcc_lo, 1, v7
	v_bitop3_b32 v7, v20, 1, v6 bitop3:0x80
	v_and_b32_e32 v6, 0xff, v6
	v_cndmask_b32_e32 v2, v4, v2, vcc_lo
	v_cmp_eq_u32_e64 s2, 0, v7
	v_cndmask_b32_e32 v3, v5, v3, vcc_lo
	s_delay_alu instid0(VALU_DEP_4) | instskip(NEXT) | instid1(VALU_DEP_1)
	v_cndmask_b32_e64 v4, v6, 1, vcc_lo
	v_dual_cndmask_b32 v20, 1, v4, s2 :: v_dual_cndmask_b32 v2, v10, v2, s2
	s_delay_alu instid0(VALU_DEP_3)
	v_cndmask_b32_e64 v3, v11, v3, s2
.LBB86_223:
	s_or_b32 exec_lo, exec_lo, s4
	v_cmp_gt_u32_e32 vcc_lo, 24, v8
	v_add_nc_u32_e32 v7, 8, v8
	s_mov_b32 s4, exec_lo
	s_wait_dscnt 0x1
	v_cndmask_b32_e64 v4, 0, 8, vcc_lo
	s_wait_dscnt 0x0
	s_delay_alu instid0(VALU_DEP_1)
	v_add_lshl_u32 v5, v4, v8, 2
	ds_bpermute_b32 v6, v5, v20
	ds_bpermute_b32 v4, v5, v2
	;; [unrolled: 1-line block ×3, first 2 shown]
	v_cmpx_lt_u32_e64 v7, v1
	s_cbranch_execz .LBB86_225
; %bb.224:
	s_wait_dscnt 0x0
	v_min_i64 v[10:11], v[4:5], v[2:3]
	v_and_b32_e32 v7, 1, v20
	s_delay_alu instid0(VALU_DEP_1) | instskip(SKIP_3) | instid1(VALU_DEP_3)
	v_cmp_eq_u32_e32 vcc_lo, 1, v7
	v_bitop3_b32 v7, v20, 1, v6 bitop3:0x80
	v_and_b32_e32 v6, 0xff, v6
	v_cndmask_b32_e32 v2, v4, v2, vcc_lo
	v_cmp_eq_u32_e64 s2, 0, v7
	v_cndmask_b32_e32 v3, v5, v3, vcc_lo
	s_delay_alu instid0(VALU_DEP_4) | instskip(NEXT) | instid1(VALU_DEP_1)
	v_cndmask_b32_e64 v4, v6, 1, vcc_lo
	v_dual_cndmask_b32 v20, 1, v4, s2 :: v_dual_cndmask_b32 v2, v10, v2, s2
	s_delay_alu instid0(VALU_DEP_3)
	v_cndmask_b32_e64 v3, v11, v3, s2
.LBB86_225:
	s_or_b32 exec_lo, exec_lo, s4
	s_wait_dscnt 0x2
	v_dual_lshlrev_b32 v6, 2, v8 :: v_dual_add_nc_u32 v9, 16, v8
	s_wait_dscnt 0x0
	s_delay_alu instid0(VALU_DEP_1) | instskip(NEXT) | instid1(VALU_DEP_2)
	v_or_b32_e32 v5, 64, v6
	v_cmp_lt_u32_e32 vcc_lo, v9, v1
	v_mov_b32_e32 v1, v20
	ds_bpermute_b32 v7, v5, v20
	ds_bpermute_b32 v4, v5, v2
	;; [unrolled: 1-line block ×3, first 2 shown]
	s_and_saveexec_b32 s4, vcc_lo
	s_cbranch_execz .LBB86_227
; %bb.226:
	s_wait_dscnt 0x0
	v_min_i64 v[10:11], v[4:5], v[2:3]
	v_and_b32_e32 v1, 1, v20
	v_bitop3_b32 v9, v20, 1, v7 bitop3:0x80
	s_delay_alu instid0(VALU_DEP_2) | instskip(NEXT) | instid1(VALU_DEP_2)
	v_cmp_eq_u32_e32 vcc_lo, 1, v1
	v_cmp_eq_u32_e64 s2, 0, v9
	v_cndmask_b32_e64 v1, v7, 1, vcc_lo
	v_dual_cndmask_b32 v3, v5, v3 :: v_dual_cndmask_b32 v2, v4, v2
	s_delay_alu instid0(VALU_DEP_2) | instskip(NEXT) | instid1(VALU_DEP_1)
	v_cndmask_b32_e64 v1, 1, v1, s2
	v_and_b32_e32 v20, 0xff, v1
	s_delay_alu instid0(VALU_DEP_3)
	v_dual_cndmask_b32 v3, v11, v3, s2 :: v_dual_cndmask_b32 v2, v10, v2, s2
.LBB86_227:
	s_or_b32 exec_lo, exec_lo, s4
	s_delay_alu instid0(SALU_CYCLE_1)
	s_mov_b32 s2, exec_lo
	v_cmpx_eq_u32_e32 0, v8
	s_cbranch_execz .LBB86_229
; %bb.228:
	s_wait_dscnt 0x1
	v_lshrrev_b32_e32 v4, 1, v0
	s_delay_alu instid0(VALU_DEP_1)
	v_and_b32_e32 v4, 48, v4
	ds_store_b8 v4, v1 offset:256
	ds_store_b64 v4, v[2:3] offset:264
.LBB86_229:
	s_or_b32 exec_lo, exec_lo, s2
	s_delay_alu instid0(SALU_CYCLE_1)
	s_mov_b32 s4, exec_lo
	s_wait_dscnt 0x0
	s_barrier_signal -1
	s_barrier_wait -1
	v_cmpx_gt_u32_e32 4, v0
	s_cbranch_execz .LBB86_235
; %bb.230:
	v_lshlrev_b32_e32 v1, 4, v8
	s_add_co_i32 s3, s3, 31
	s_mov_b32 s5, exec_lo
	s_lshr_b32 s3, s3, 5
	ds_load_u8 v7, v1 offset:256
	ds_load_b64 v[2:3], v1 offset:264
	v_and_b32_e32 v1, 3, v8
	s_delay_alu instid0(VALU_DEP_1) | instskip(SKIP_2) | instid1(VALU_DEP_1)
	v_cmp_ne_u32_e32 vcc_lo, 3, v1
	v_add_nc_u32_e32 v9, 1, v1
	v_add_co_ci_u32_e64 v4, null, 0, v8, vcc_lo
	v_lshlrev_b32_e32 v5, 2, v4
	s_wait_dscnt 0x1
	v_and_b32_e32 v20, 0xff, v7
	s_wait_dscnt 0x0
	ds_bpermute_b32 v4, v5, v2
	ds_bpermute_b32 v8, v5, v20
	;; [unrolled: 1-line block ×3, first 2 shown]
	v_cmpx_gt_u32_e64 s3, v9
	s_cbranch_execz .LBB86_232
; %bb.231:
	s_wait_dscnt 0x0
	v_min_i64 v[10:11], v[4:5], v[2:3]
	v_and_b32_e32 v7, 1, v7
	s_delay_alu instid0(VALU_DEP_1) | instskip(SKIP_3) | instid1(VALU_DEP_3)
	v_cmp_eq_u32_e32 vcc_lo, 1, v7
	v_bitop3_b32 v7, v20, 1, v8 bitop3:0x80
	v_and_b32_e32 v8, 0xff, v8
	v_cndmask_b32_e32 v2, v4, v2, vcc_lo
	v_cmp_eq_u32_e64 s2, 0, v7
	v_cndmask_b32_e32 v3, v5, v3, vcc_lo
	s_delay_alu instid0(VALU_DEP_4) | instskip(NEXT) | instid1(VALU_DEP_1)
	v_cndmask_b32_e64 v4, v8, 1, vcc_lo
	v_dual_cndmask_b32 v20, 1, v4, s2 :: v_dual_cndmask_b32 v2, v10, v2, s2
	s_delay_alu instid0(VALU_DEP_3)
	v_cndmask_b32_e64 v3, v11, v3, s2
.LBB86_232:
	s_or_b32 exec_lo, exec_lo, s5
	s_wait_dscnt 0x0
	v_dual_add_nc_u32 v1, 2, v1 :: v_dual_bitop2_b32 v5, 8, v6 bitop3:0x54
	ds_bpermute_b32 v6, v5, v20
	ds_bpermute_b32 v4, v5, v2
	;; [unrolled: 1-line block ×3, first 2 shown]
	v_cmp_gt_u32_e32 vcc_lo, s3, v1
	s_and_saveexec_b32 s3, vcc_lo
	s_cbranch_execz .LBB86_234
; %bb.233:
	s_wait_dscnt 0x0
	v_min_i64 v[8:9], v[4:5], v[2:3]
	v_and_b32_e32 v1, 1, v20
	s_delay_alu instid0(VALU_DEP_1) | instskip(SKIP_2) | instid1(VALU_DEP_2)
	v_cmp_eq_u32_e32 vcc_lo, 1, v1
	v_bitop3_b32 v1, v20, 1, v6 bitop3:0x80
	v_cndmask_b32_e32 v2, v4, v2, vcc_lo
	v_cmp_eq_u32_e64 s2, 0, v1
	v_cndmask_b32_e32 v3, v5, v3, vcc_lo
	v_cndmask_b32_e64 v1, v6, 1, vcc_lo
	s_delay_alu instid0(VALU_DEP_1) | instskip(NEXT) | instid1(VALU_DEP_3)
	v_dual_cndmask_b32 v20, 1, v1, s2 :: v_dual_cndmask_b32 v2, v8, v2, s2
	v_cndmask_b32_e64 v3, v9, v3, s2
.LBB86_234:
	s_or_b32 exec_lo, exec_lo, s3
.LBB86_235:
	s_delay_alu instid0(SALU_CYCLE_1)
	s_or_b32 exec_lo, exec_lo, s4
	v_cmp_eq_u32_e64 s2, 0, v0
	s_and_saveexec_b32 s3, s2
	s_cbranch_execnz .LBB86_212
	s_branch .LBB86_213
	.section	.rodata,"a",@progbits
	.p2align	6, 0x0
	.amdhsa_kernel _ZN7rocprim17ROCPRIM_400000_NS6detail17trampoline_kernelINS0_14default_configENS1_22reduce_config_selectorIN6thrust23THRUST_200600_302600_NS5tupleIblNS6_9null_typeES8_S8_S8_S8_S8_S8_S8_EEEEZNS1_11reduce_implILb1ES3_NS6_12zip_iteratorINS7_INS6_11hip_rocprim26transform_input_iterator_tIbNSD_35transform_pair_of_input_iterators_tIbNS6_6detail15normal_iteratorINS6_10device_ptrIKfEEEESL_NS6_8equal_toIfEEEENSG_9not_fun_tINSD_8identityEEEEENSD_19counting_iterator_tIlEES8_S8_S8_S8_S8_S8_S8_S8_EEEEPS9_S9_NSD_9__find_if7functorIS9_EEEE10hipError_tPvRmT1_T2_T3_mT4_P12ihipStream_tbEUlT_E1_NS1_11comp_targetILNS1_3genE0ELNS1_11target_archE4294967295ELNS1_3gpuE0ELNS1_3repE0EEENS1_30default_config_static_selectorELNS0_4arch9wavefront6targetE0EEEvS14_
		.amdhsa_group_segment_fixed_size 320
		.amdhsa_private_segment_fixed_size 0
		.amdhsa_kernarg_size 88
		.amdhsa_user_sgpr_count 2
		.amdhsa_user_sgpr_dispatch_ptr 0
		.amdhsa_user_sgpr_queue_ptr 0
		.amdhsa_user_sgpr_kernarg_segment_ptr 1
		.amdhsa_user_sgpr_dispatch_id 0
		.amdhsa_user_sgpr_kernarg_preload_length 0
		.amdhsa_user_sgpr_kernarg_preload_offset 0
		.amdhsa_user_sgpr_private_segment_size 0
		.amdhsa_wavefront_size32 1
		.amdhsa_uses_dynamic_stack 0
		.amdhsa_enable_private_segment 0
		.amdhsa_system_sgpr_workgroup_id_x 1
		.amdhsa_system_sgpr_workgroup_id_y 0
		.amdhsa_system_sgpr_workgroup_id_z 0
		.amdhsa_system_sgpr_workgroup_info 0
		.amdhsa_system_vgpr_workitem_id 0
		.amdhsa_next_free_vgpr 28
		.amdhsa_next_free_sgpr 28
		.amdhsa_named_barrier_count 0
		.amdhsa_reserve_vcc 1
		.amdhsa_float_round_mode_32 0
		.amdhsa_float_round_mode_16_64 0
		.amdhsa_float_denorm_mode_32 3
		.amdhsa_float_denorm_mode_16_64 3
		.amdhsa_fp16_overflow 0
		.amdhsa_memory_ordered 1
		.amdhsa_forward_progress 1
		.amdhsa_inst_pref_size 104
		.amdhsa_round_robin_scheduling 0
		.amdhsa_exception_fp_ieee_invalid_op 0
		.amdhsa_exception_fp_denorm_src 0
		.amdhsa_exception_fp_ieee_div_zero 0
		.amdhsa_exception_fp_ieee_overflow 0
		.amdhsa_exception_fp_ieee_underflow 0
		.amdhsa_exception_fp_ieee_inexact 0
		.amdhsa_exception_int_div_zero 0
	.end_amdhsa_kernel
	.section	.text._ZN7rocprim17ROCPRIM_400000_NS6detail17trampoline_kernelINS0_14default_configENS1_22reduce_config_selectorIN6thrust23THRUST_200600_302600_NS5tupleIblNS6_9null_typeES8_S8_S8_S8_S8_S8_S8_EEEEZNS1_11reduce_implILb1ES3_NS6_12zip_iteratorINS7_INS6_11hip_rocprim26transform_input_iterator_tIbNSD_35transform_pair_of_input_iterators_tIbNS6_6detail15normal_iteratorINS6_10device_ptrIKfEEEESL_NS6_8equal_toIfEEEENSG_9not_fun_tINSD_8identityEEEEENSD_19counting_iterator_tIlEES8_S8_S8_S8_S8_S8_S8_S8_EEEEPS9_S9_NSD_9__find_if7functorIS9_EEEE10hipError_tPvRmT1_T2_T3_mT4_P12ihipStream_tbEUlT_E1_NS1_11comp_targetILNS1_3genE0ELNS1_11target_archE4294967295ELNS1_3gpuE0ELNS1_3repE0EEENS1_30default_config_static_selectorELNS0_4arch9wavefront6targetE0EEEvS14_,"axG",@progbits,_ZN7rocprim17ROCPRIM_400000_NS6detail17trampoline_kernelINS0_14default_configENS1_22reduce_config_selectorIN6thrust23THRUST_200600_302600_NS5tupleIblNS6_9null_typeES8_S8_S8_S8_S8_S8_S8_EEEEZNS1_11reduce_implILb1ES3_NS6_12zip_iteratorINS7_INS6_11hip_rocprim26transform_input_iterator_tIbNSD_35transform_pair_of_input_iterators_tIbNS6_6detail15normal_iteratorINS6_10device_ptrIKfEEEESL_NS6_8equal_toIfEEEENSG_9not_fun_tINSD_8identityEEEEENSD_19counting_iterator_tIlEES8_S8_S8_S8_S8_S8_S8_S8_EEEEPS9_S9_NSD_9__find_if7functorIS9_EEEE10hipError_tPvRmT1_T2_T3_mT4_P12ihipStream_tbEUlT_E1_NS1_11comp_targetILNS1_3genE0ELNS1_11target_archE4294967295ELNS1_3gpuE0ELNS1_3repE0EEENS1_30default_config_static_selectorELNS0_4arch9wavefront6targetE0EEEvS14_,comdat
.Lfunc_end86:
	.size	_ZN7rocprim17ROCPRIM_400000_NS6detail17trampoline_kernelINS0_14default_configENS1_22reduce_config_selectorIN6thrust23THRUST_200600_302600_NS5tupleIblNS6_9null_typeES8_S8_S8_S8_S8_S8_S8_EEEEZNS1_11reduce_implILb1ES3_NS6_12zip_iteratorINS7_INS6_11hip_rocprim26transform_input_iterator_tIbNSD_35transform_pair_of_input_iterators_tIbNS6_6detail15normal_iteratorINS6_10device_ptrIKfEEEESL_NS6_8equal_toIfEEEENSG_9not_fun_tINSD_8identityEEEEENSD_19counting_iterator_tIlEES8_S8_S8_S8_S8_S8_S8_S8_EEEEPS9_S9_NSD_9__find_if7functorIS9_EEEE10hipError_tPvRmT1_T2_T3_mT4_P12ihipStream_tbEUlT_E1_NS1_11comp_targetILNS1_3genE0ELNS1_11target_archE4294967295ELNS1_3gpuE0ELNS1_3repE0EEENS1_30default_config_static_selectorELNS0_4arch9wavefront6targetE0EEEvS14_, .Lfunc_end86-_ZN7rocprim17ROCPRIM_400000_NS6detail17trampoline_kernelINS0_14default_configENS1_22reduce_config_selectorIN6thrust23THRUST_200600_302600_NS5tupleIblNS6_9null_typeES8_S8_S8_S8_S8_S8_S8_EEEEZNS1_11reduce_implILb1ES3_NS6_12zip_iteratorINS7_INS6_11hip_rocprim26transform_input_iterator_tIbNSD_35transform_pair_of_input_iterators_tIbNS6_6detail15normal_iteratorINS6_10device_ptrIKfEEEESL_NS6_8equal_toIfEEEENSG_9not_fun_tINSD_8identityEEEEENSD_19counting_iterator_tIlEES8_S8_S8_S8_S8_S8_S8_S8_EEEEPS9_S9_NSD_9__find_if7functorIS9_EEEE10hipError_tPvRmT1_T2_T3_mT4_P12ihipStream_tbEUlT_E1_NS1_11comp_targetILNS1_3genE0ELNS1_11target_archE4294967295ELNS1_3gpuE0ELNS1_3repE0EEENS1_30default_config_static_selectorELNS0_4arch9wavefront6targetE0EEEvS14_
                                        ; -- End function
	.set _ZN7rocprim17ROCPRIM_400000_NS6detail17trampoline_kernelINS0_14default_configENS1_22reduce_config_selectorIN6thrust23THRUST_200600_302600_NS5tupleIblNS6_9null_typeES8_S8_S8_S8_S8_S8_S8_EEEEZNS1_11reduce_implILb1ES3_NS6_12zip_iteratorINS7_INS6_11hip_rocprim26transform_input_iterator_tIbNSD_35transform_pair_of_input_iterators_tIbNS6_6detail15normal_iteratorINS6_10device_ptrIKfEEEESL_NS6_8equal_toIfEEEENSG_9not_fun_tINSD_8identityEEEEENSD_19counting_iterator_tIlEES8_S8_S8_S8_S8_S8_S8_S8_EEEEPS9_S9_NSD_9__find_if7functorIS9_EEEE10hipError_tPvRmT1_T2_T3_mT4_P12ihipStream_tbEUlT_E1_NS1_11comp_targetILNS1_3genE0ELNS1_11target_archE4294967295ELNS1_3gpuE0ELNS1_3repE0EEENS1_30default_config_static_selectorELNS0_4arch9wavefront6targetE0EEEvS14_.num_vgpr, 28
	.set _ZN7rocprim17ROCPRIM_400000_NS6detail17trampoline_kernelINS0_14default_configENS1_22reduce_config_selectorIN6thrust23THRUST_200600_302600_NS5tupleIblNS6_9null_typeES8_S8_S8_S8_S8_S8_S8_EEEEZNS1_11reduce_implILb1ES3_NS6_12zip_iteratorINS7_INS6_11hip_rocprim26transform_input_iterator_tIbNSD_35transform_pair_of_input_iterators_tIbNS6_6detail15normal_iteratorINS6_10device_ptrIKfEEEESL_NS6_8equal_toIfEEEENSG_9not_fun_tINSD_8identityEEEEENSD_19counting_iterator_tIlEES8_S8_S8_S8_S8_S8_S8_S8_EEEEPS9_S9_NSD_9__find_if7functorIS9_EEEE10hipError_tPvRmT1_T2_T3_mT4_P12ihipStream_tbEUlT_E1_NS1_11comp_targetILNS1_3genE0ELNS1_11target_archE4294967295ELNS1_3gpuE0ELNS1_3repE0EEENS1_30default_config_static_selectorELNS0_4arch9wavefront6targetE0EEEvS14_.num_agpr, 0
	.set _ZN7rocprim17ROCPRIM_400000_NS6detail17trampoline_kernelINS0_14default_configENS1_22reduce_config_selectorIN6thrust23THRUST_200600_302600_NS5tupleIblNS6_9null_typeES8_S8_S8_S8_S8_S8_S8_EEEEZNS1_11reduce_implILb1ES3_NS6_12zip_iteratorINS7_INS6_11hip_rocprim26transform_input_iterator_tIbNSD_35transform_pair_of_input_iterators_tIbNS6_6detail15normal_iteratorINS6_10device_ptrIKfEEEESL_NS6_8equal_toIfEEEENSG_9not_fun_tINSD_8identityEEEEENSD_19counting_iterator_tIlEES8_S8_S8_S8_S8_S8_S8_S8_EEEEPS9_S9_NSD_9__find_if7functorIS9_EEEE10hipError_tPvRmT1_T2_T3_mT4_P12ihipStream_tbEUlT_E1_NS1_11comp_targetILNS1_3genE0ELNS1_11target_archE4294967295ELNS1_3gpuE0ELNS1_3repE0EEENS1_30default_config_static_selectorELNS0_4arch9wavefront6targetE0EEEvS14_.numbered_sgpr, 28
	.set _ZN7rocprim17ROCPRIM_400000_NS6detail17trampoline_kernelINS0_14default_configENS1_22reduce_config_selectorIN6thrust23THRUST_200600_302600_NS5tupleIblNS6_9null_typeES8_S8_S8_S8_S8_S8_S8_EEEEZNS1_11reduce_implILb1ES3_NS6_12zip_iteratorINS7_INS6_11hip_rocprim26transform_input_iterator_tIbNSD_35transform_pair_of_input_iterators_tIbNS6_6detail15normal_iteratorINS6_10device_ptrIKfEEEESL_NS6_8equal_toIfEEEENSG_9not_fun_tINSD_8identityEEEEENSD_19counting_iterator_tIlEES8_S8_S8_S8_S8_S8_S8_S8_EEEEPS9_S9_NSD_9__find_if7functorIS9_EEEE10hipError_tPvRmT1_T2_T3_mT4_P12ihipStream_tbEUlT_E1_NS1_11comp_targetILNS1_3genE0ELNS1_11target_archE4294967295ELNS1_3gpuE0ELNS1_3repE0EEENS1_30default_config_static_selectorELNS0_4arch9wavefront6targetE0EEEvS14_.num_named_barrier, 0
	.set _ZN7rocprim17ROCPRIM_400000_NS6detail17trampoline_kernelINS0_14default_configENS1_22reduce_config_selectorIN6thrust23THRUST_200600_302600_NS5tupleIblNS6_9null_typeES8_S8_S8_S8_S8_S8_S8_EEEEZNS1_11reduce_implILb1ES3_NS6_12zip_iteratorINS7_INS6_11hip_rocprim26transform_input_iterator_tIbNSD_35transform_pair_of_input_iterators_tIbNS6_6detail15normal_iteratorINS6_10device_ptrIKfEEEESL_NS6_8equal_toIfEEEENSG_9not_fun_tINSD_8identityEEEEENSD_19counting_iterator_tIlEES8_S8_S8_S8_S8_S8_S8_S8_EEEEPS9_S9_NSD_9__find_if7functorIS9_EEEE10hipError_tPvRmT1_T2_T3_mT4_P12ihipStream_tbEUlT_E1_NS1_11comp_targetILNS1_3genE0ELNS1_11target_archE4294967295ELNS1_3gpuE0ELNS1_3repE0EEENS1_30default_config_static_selectorELNS0_4arch9wavefront6targetE0EEEvS14_.private_seg_size, 0
	.set _ZN7rocprim17ROCPRIM_400000_NS6detail17trampoline_kernelINS0_14default_configENS1_22reduce_config_selectorIN6thrust23THRUST_200600_302600_NS5tupleIblNS6_9null_typeES8_S8_S8_S8_S8_S8_S8_EEEEZNS1_11reduce_implILb1ES3_NS6_12zip_iteratorINS7_INS6_11hip_rocprim26transform_input_iterator_tIbNSD_35transform_pair_of_input_iterators_tIbNS6_6detail15normal_iteratorINS6_10device_ptrIKfEEEESL_NS6_8equal_toIfEEEENSG_9not_fun_tINSD_8identityEEEEENSD_19counting_iterator_tIlEES8_S8_S8_S8_S8_S8_S8_S8_EEEEPS9_S9_NSD_9__find_if7functorIS9_EEEE10hipError_tPvRmT1_T2_T3_mT4_P12ihipStream_tbEUlT_E1_NS1_11comp_targetILNS1_3genE0ELNS1_11target_archE4294967295ELNS1_3gpuE0ELNS1_3repE0EEENS1_30default_config_static_selectorELNS0_4arch9wavefront6targetE0EEEvS14_.uses_vcc, 1
	.set _ZN7rocprim17ROCPRIM_400000_NS6detail17trampoline_kernelINS0_14default_configENS1_22reduce_config_selectorIN6thrust23THRUST_200600_302600_NS5tupleIblNS6_9null_typeES8_S8_S8_S8_S8_S8_S8_EEEEZNS1_11reduce_implILb1ES3_NS6_12zip_iteratorINS7_INS6_11hip_rocprim26transform_input_iterator_tIbNSD_35transform_pair_of_input_iterators_tIbNS6_6detail15normal_iteratorINS6_10device_ptrIKfEEEESL_NS6_8equal_toIfEEEENSG_9not_fun_tINSD_8identityEEEEENSD_19counting_iterator_tIlEES8_S8_S8_S8_S8_S8_S8_S8_EEEEPS9_S9_NSD_9__find_if7functorIS9_EEEE10hipError_tPvRmT1_T2_T3_mT4_P12ihipStream_tbEUlT_E1_NS1_11comp_targetILNS1_3genE0ELNS1_11target_archE4294967295ELNS1_3gpuE0ELNS1_3repE0EEENS1_30default_config_static_selectorELNS0_4arch9wavefront6targetE0EEEvS14_.uses_flat_scratch, 0
	.set _ZN7rocprim17ROCPRIM_400000_NS6detail17trampoline_kernelINS0_14default_configENS1_22reduce_config_selectorIN6thrust23THRUST_200600_302600_NS5tupleIblNS6_9null_typeES8_S8_S8_S8_S8_S8_S8_EEEEZNS1_11reduce_implILb1ES3_NS6_12zip_iteratorINS7_INS6_11hip_rocprim26transform_input_iterator_tIbNSD_35transform_pair_of_input_iterators_tIbNS6_6detail15normal_iteratorINS6_10device_ptrIKfEEEESL_NS6_8equal_toIfEEEENSG_9not_fun_tINSD_8identityEEEEENSD_19counting_iterator_tIlEES8_S8_S8_S8_S8_S8_S8_S8_EEEEPS9_S9_NSD_9__find_if7functorIS9_EEEE10hipError_tPvRmT1_T2_T3_mT4_P12ihipStream_tbEUlT_E1_NS1_11comp_targetILNS1_3genE0ELNS1_11target_archE4294967295ELNS1_3gpuE0ELNS1_3repE0EEENS1_30default_config_static_selectorELNS0_4arch9wavefront6targetE0EEEvS14_.has_dyn_sized_stack, 0
	.set _ZN7rocprim17ROCPRIM_400000_NS6detail17trampoline_kernelINS0_14default_configENS1_22reduce_config_selectorIN6thrust23THRUST_200600_302600_NS5tupleIblNS6_9null_typeES8_S8_S8_S8_S8_S8_S8_EEEEZNS1_11reduce_implILb1ES3_NS6_12zip_iteratorINS7_INS6_11hip_rocprim26transform_input_iterator_tIbNSD_35transform_pair_of_input_iterators_tIbNS6_6detail15normal_iteratorINS6_10device_ptrIKfEEEESL_NS6_8equal_toIfEEEENSG_9not_fun_tINSD_8identityEEEEENSD_19counting_iterator_tIlEES8_S8_S8_S8_S8_S8_S8_S8_EEEEPS9_S9_NSD_9__find_if7functorIS9_EEEE10hipError_tPvRmT1_T2_T3_mT4_P12ihipStream_tbEUlT_E1_NS1_11comp_targetILNS1_3genE0ELNS1_11target_archE4294967295ELNS1_3gpuE0ELNS1_3repE0EEENS1_30default_config_static_selectorELNS0_4arch9wavefront6targetE0EEEvS14_.has_recursion, 0
	.set _ZN7rocprim17ROCPRIM_400000_NS6detail17trampoline_kernelINS0_14default_configENS1_22reduce_config_selectorIN6thrust23THRUST_200600_302600_NS5tupleIblNS6_9null_typeES8_S8_S8_S8_S8_S8_S8_EEEEZNS1_11reduce_implILb1ES3_NS6_12zip_iteratorINS7_INS6_11hip_rocprim26transform_input_iterator_tIbNSD_35transform_pair_of_input_iterators_tIbNS6_6detail15normal_iteratorINS6_10device_ptrIKfEEEESL_NS6_8equal_toIfEEEENSG_9not_fun_tINSD_8identityEEEEENSD_19counting_iterator_tIlEES8_S8_S8_S8_S8_S8_S8_S8_EEEEPS9_S9_NSD_9__find_if7functorIS9_EEEE10hipError_tPvRmT1_T2_T3_mT4_P12ihipStream_tbEUlT_E1_NS1_11comp_targetILNS1_3genE0ELNS1_11target_archE4294967295ELNS1_3gpuE0ELNS1_3repE0EEENS1_30default_config_static_selectorELNS0_4arch9wavefront6targetE0EEEvS14_.has_indirect_call, 0
	.section	.AMDGPU.csdata,"",@progbits
; Kernel info:
; codeLenInByte = 13312
; TotalNumSgprs: 30
; NumVgprs: 28
; ScratchSize: 0
; MemoryBound: 0
; FloatMode: 240
; IeeeMode: 1
; LDSByteSize: 320 bytes/workgroup (compile time only)
; SGPRBlocks: 0
; VGPRBlocks: 1
; NumSGPRsForWavesPerEU: 30
; NumVGPRsForWavesPerEU: 28
; NamedBarCnt: 0
; Occupancy: 16
; WaveLimiterHint : 0
; COMPUTE_PGM_RSRC2:SCRATCH_EN: 0
; COMPUTE_PGM_RSRC2:USER_SGPR: 2
; COMPUTE_PGM_RSRC2:TRAP_HANDLER: 0
; COMPUTE_PGM_RSRC2:TGID_X_EN: 1
; COMPUTE_PGM_RSRC2:TGID_Y_EN: 0
; COMPUTE_PGM_RSRC2:TGID_Z_EN: 0
; COMPUTE_PGM_RSRC2:TIDIG_COMP_CNT: 0
	.section	.text._ZN7rocprim17ROCPRIM_400000_NS6detail17trampoline_kernelINS0_14default_configENS1_22reduce_config_selectorIN6thrust23THRUST_200600_302600_NS5tupleIblNS6_9null_typeES8_S8_S8_S8_S8_S8_S8_EEEEZNS1_11reduce_implILb1ES3_NS6_12zip_iteratorINS7_INS6_11hip_rocprim26transform_input_iterator_tIbNSD_35transform_pair_of_input_iterators_tIbNS6_6detail15normal_iteratorINS6_10device_ptrIKfEEEESL_NS6_8equal_toIfEEEENSG_9not_fun_tINSD_8identityEEEEENSD_19counting_iterator_tIlEES8_S8_S8_S8_S8_S8_S8_S8_EEEEPS9_S9_NSD_9__find_if7functorIS9_EEEE10hipError_tPvRmT1_T2_T3_mT4_P12ihipStream_tbEUlT_E1_NS1_11comp_targetILNS1_3genE5ELNS1_11target_archE942ELNS1_3gpuE9ELNS1_3repE0EEENS1_30default_config_static_selectorELNS0_4arch9wavefront6targetE0EEEvS14_,"axG",@progbits,_ZN7rocprim17ROCPRIM_400000_NS6detail17trampoline_kernelINS0_14default_configENS1_22reduce_config_selectorIN6thrust23THRUST_200600_302600_NS5tupleIblNS6_9null_typeES8_S8_S8_S8_S8_S8_S8_EEEEZNS1_11reduce_implILb1ES3_NS6_12zip_iteratorINS7_INS6_11hip_rocprim26transform_input_iterator_tIbNSD_35transform_pair_of_input_iterators_tIbNS6_6detail15normal_iteratorINS6_10device_ptrIKfEEEESL_NS6_8equal_toIfEEEENSG_9not_fun_tINSD_8identityEEEEENSD_19counting_iterator_tIlEES8_S8_S8_S8_S8_S8_S8_S8_EEEEPS9_S9_NSD_9__find_if7functorIS9_EEEE10hipError_tPvRmT1_T2_T3_mT4_P12ihipStream_tbEUlT_E1_NS1_11comp_targetILNS1_3genE5ELNS1_11target_archE942ELNS1_3gpuE9ELNS1_3repE0EEENS1_30default_config_static_selectorELNS0_4arch9wavefront6targetE0EEEvS14_,comdat
	.protected	_ZN7rocprim17ROCPRIM_400000_NS6detail17trampoline_kernelINS0_14default_configENS1_22reduce_config_selectorIN6thrust23THRUST_200600_302600_NS5tupleIblNS6_9null_typeES8_S8_S8_S8_S8_S8_S8_EEEEZNS1_11reduce_implILb1ES3_NS6_12zip_iteratorINS7_INS6_11hip_rocprim26transform_input_iterator_tIbNSD_35transform_pair_of_input_iterators_tIbNS6_6detail15normal_iteratorINS6_10device_ptrIKfEEEESL_NS6_8equal_toIfEEEENSG_9not_fun_tINSD_8identityEEEEENSD_19counting_iterator_tIlEES8_S8_S8_S8_S8_S8_S8_S8_EEEEPS9_S9_NSD_9__find_if7functorIS9_EEEE10hipError_tPvRmT1_T2_T3_mT4_P12ihipStream_tbEUlT_E1_NS1_11comp_targetILNS1_3genE5ELNS1_11target_archE942ELNS1_3gpuE9ELNS1_3repE0EEENS1_30default_config_static_selectorELNS0_4arch9wavefront6targetE0EEEvS14_ ; -- Begin function _ZN7rocprim17ROCPRIM_400000_NS6detail17trampoline_kernelINS0_14default_configENS1_22reduce_config_selectorIN6thrust23THRUST_200600_302600_NS5tupleIblNS6_9null_typeES8_S8_S8_S8_S8_S8_S8_EEEEZNS1_11reduce_implILb1ES3_NS6_12zip_iteratorINS7_INS6_11hip_rocprim26transform_input_iterator_tIbNSD_35transform_pair_of_input_iterators_tIbNS6_6detail15normal_iteratorINS6_10device_ptrIKfEEEESL_NS6_8equal_toIfEEEENSG_9not_fun_tINSD_8identityEEEEENSD_19counting_iterator_tIlEES8_S8_S8_S8_S8_S8_S8_S8_EEEEPS9_S9_NSD_9__find_if7functorIS9_EEEE10hipError_tPvRmT1_T2_T3_mT4_P12ihipStream_tbEUlT_E1_NS1_11comp_targetILNS1_3genE5ELNS1_11target_archE942ELNS1_3gpuE9ELNS1_3repE0EEENS1_30default_config_static_selectorELNS0_4arch9wavefront6targetE0EEEvS14_
	.globl	_ZN7rocprim17ROCPRIM_400000_NS6detail17trampoline_kernelINS0_14default_configENS1_22reduce_config_selectorIN6thrust23THRUST_200600_302600_NS5tupleIblNS6_9null_typeES8_S8_S8_S8_S8_S8_S8_EEEEZNS1_11reduce_implILb1ES3_NS6_12zip_iteratorINS7_INS6_11hip_rocprim26transform_input_iterator_tIbNSD_35transform_pair_of_input_iterators_tIbNS6_6detail15normal_iteratorINS6_10device_ptrIKfEEEESL_NS6_8equal_toIfEEEENSG_9not_fun_tINSD_8identityEEEEENSD_19counting_iterator_tIlEES8_S8_S8_S8_S8_S8_S8_S8_EEEEPS9_S9_NSD_9__find_if7functorIS9_EEEE10hipError_tPvRmT1_T2_T3_mT4_P12ihipStream_tbEUlT_E1_NS1_11comp_targetILNS1_3genE5ELNS1_11target_archE942ELNS1_3gpuE9ELNS1_3repE0EEENS1_30default_config_static_selectorELNS0_4arch9wavefront6targetE0EEEvS14_
	.p2align	8
	.type	_ZN7rocprim17ROCPRIM_400000_NS6detail17trampoline_kernelINS0_14default_configENS1_22reduce_config_selectorIN6thrust23THRUST_200600_302600_NS5tupleIblNS6_9null_typeES8_S8_S8_S8_S8_S8_S8_EEEEZNS1_11reduce_implILb1ES3_NS6_12zip_iteratorINS7_INS6_11hip_rocprim26transform_input_iterator_tIbNSD_35transform_pair_of_input_iterators_tIbNS6_6detail15normal_iteratorINS6_10device_ptrIKfEEEESL_NS6_8equal_toIfEEEENSG_9not_fun_tINSD_8identityEEEEENSD_19counting_iterator_tIlEES8_S8_S8_S8_S8_S8_S8_S8_EEEEPS9_S9_NSD_9__find_if7functorIS9_EEEE10hipError_tPvRmT1_T2_T3_mT4_P12ihipStream_tbEUlT_E1_NS1_11comp_targetILNS1_3genE5ELNS1_11target_archE942ELNS1_3gpuE9ELNS1_3repE0EEENS1_30default_config_static_selectorELNS0_4arch9wavefront6targetE0EEEvS14_,@function
_ZN7rocprim17ROCPRIM_400000_NS6detail17trampoline_kernelINS0_14default_configENS1_22reduce_config_selectorIN6thrust23THRUST_200600_302600_NS5tupleIblNS6_9null_typeES8_S8_S8_S8_S8_S8_S8_EEEEZNS1_11reduce_implILb1ES3_NS6_12zip_iteratorINS7_INS6_11hip_rocprim26transform_input_iterator_tIbNSD_35transform_pair_of_input_iterators_tIbNS6_6detail15normal_iteratorINS6_10device_ptrIKfEEEESL_NS6_8equal_toIfEEEENSG_9not_fun_tINSD_8identityEEEEENSD_19counting_iterator_tIlEES8_S8_S8_S8_S8_S8_S8_S8_EEEEPS9_S9_NSD_9__find_if7functorIS9_EEEE10hipError_tPvRmT1_T2_T3_mT4_P12ihipStream_tbEUlT_E1_NS1_11comp_targetILNS1_3genE5ELNS1_11target_archE942ELNS1_3gpuE9ELNS1_3repE0EEENS1_30default_config_static_selectorELNS0_4arch9wavefront6targetE0EEEvS14_: ; @_ZN7rocprim17ROCPRIM_400000_NS6detail17trampoline_kernelINS0_14default_configENS1_22reduce_config_selectorIN6thrust23THRUST_200600_302600_NS5tupleIblNS6_9null_typeES8_S8_S8_S8_S8_S8_S8_EEEEZNS1_11reduce_implILb1ES3_NS6_12zip_iteratorINS7_INS6_11hip_rocprim26transform_input_iterator_tIbNSD_35transform_pair_of_input_iterators_tIbNS6_6detail15normal_iteratorINS6_10device_ptrIKfEEEESL_NS6_8equal_toIfEEEENSG_9not_fun_tINSD_8identityEEEEENSD_19counting_iterator_tIlEES8_S8_S8_S8_S8_S8_S8_S8_EEEEPS9_S9_NSD_9__find_if7functorIS9_EEEE10hipError_tPvRmT1_T2_T3_mT4_P12ihipStream_tbEUlT_E1_NS1_11comp_targetILNS1_3genE5ELNS1_11target_archE942ELNS1_3gpuE9ELNS1_3repE0EEENS1_30default_config_static_selectorELNS0_4arch9wavefront6targetE0EEEvS14_
; %bb.0:
	.section	.rodata,"a",@progbits
	.p2align	6, 0x0
	.amdhsa_kernel _ZN7rocprim17ROCPRIM_400000_NS6detail17trampoline_kernelINS0_14default_configENS1_22reduce_config_selectorIN6thrust23THRUST_200600_302600_NS5tupleIblNS6_9null_typeES8_S8_S8_S8_S8_S8_S8_EEEEZNS1_11reduce_implILb1ES3_NS6_12zip_iteratorINS7_INS6_11hip_rocprim26transform_input_iterator_tIbNSD_35transform_pair_of_input_iterators_tIbNS6_6detail15normal_iteratorINS6_10device_ptrIKfEEEESL_NS6_8equal_toIfEEEENSG_9not_fun_tINSD_8identityEEEEENSD_19counting_iterator_tIlEES8_S8_S8_S8_S8_S8_S8_S8_EEEEPS9_S9_NSD_9__find_if7functorIS9_EEEE10hipError_tPvRmT1_T2_T3_mT4_P12ihipStream_tbEUlT_E1_NS1_11comp_targetILNS1_3genE5ELNS1_11target_archE942ELNS1_3gpuE9ELNS1_3repE0EEENS1_30default_config_static_selectorELNS0_4arch9wavefront6targetE0EEEvS14_
		.amdhsa_group_segment_fixed_size 0
		.amdhsa_private_segment_fixed_size 0
		.amdhsa_kernarg_size 88
		.amdhsa_user_sgpr_count 2
		.amdhsa_user_sgpr_dispatch_ptr 0
		.amdhsa_user_sgpr_queue_ptr 0
		.amdhsa_user_sgpr_kernarg_segment_ptr 1
		.amdhsa_user_sgpr_dispatch_id 0
		.amdhsa_user_sgpr_kernarg_preload_length 0
		.amdhsa_user_sgpr_kernarg_preload_offset 0
		.amdhsa_user_sgpr_private_segment_size 0
		.amdhsa_wavefront_size32 1
		.amdhsa_uses_dynamic_stack 0
		.amdhsa_enable_private_segment 0
		.amdhsa_system_sgpr_workgroup_id_x 1
		.amdhsa_system_sgpr_workgroup_id_y 0
		.amdhsa_system_sgpr_workgroup_id_z 0
		.amdhsa_system_sgpr_workgroup_info 0
		.amdhsa_system_vgpr_workitem_id 0
		.amdhsa_next_free_vgpr 1
		.amdhsa_next_free_sgpr 1
		.amdhsa_named_barrier_count 0
		.amdhsa_reserve_vcc 0
		.amdhsa_float_round_mode_32 0
		.amdhsa_float_round_mode_16_64 0
		.amdhsa_float_denorm_mode_32 3
		.amdhsa_float_denorm_mode_16_64 3
		.amdhsa_fp16_overflow 0
		.amdhsa_memory_ordered 1
		.amdhsa_forward_progress 1
		.amdhsa_inst_pref_size 0
		.amdhsa_round_robin_scheduling 0
		.amdhsa_exception_fp_ieee_invalid_op 0
		.amdhsa_exception_fp_denorm_src 0
		.amdhsa_exception_fp_ieee_div_zero 0
		.amdhsa_exception_fp_ieee_overflow 0
		.amdhsa_exception_fp_ieee_underflow 0
		.amdhsa_exception_fp_ieee_inexact 0
		.amdhsa_exception_int_div_zero 0
	.end_amdhsa_kernel
	.section	.text._ZN7rocprim17ROCPRIM_400000_NS6detail17trampoline_kernelINS0_14default_configENS1_22reduce_config_selectorIN6thrust23THRUST_200600_302600_NS5tupleIblNS6_9null_typeES8_S8_S8_S8_S8_S8_S8_EEEEZNS1_11reduce_implILb1ES3_NS6_12zip_iteratorINS7_INS6_11hip_rocprim26transform_input_iterator_tIbNSD_35transform_pair_of_input_iterators_tIbNS6_6detail15normal_iteratorINS6_10device_ptrIKfEEEESL_NS6_8equal_toIfEEEENSG_9not_fun_tINSD_8identityEEEEENSD_19counting_iterator_tIlEES8_S8_S8_S8_S8_S8_S8_S8_EEEEPS9_S9_NSD_9__find_if7functorIS9_EEEE10hipError_tPvRmT1_T2_T3_mT4_P12ihipStream_tbEUlT_E1_NS1_11comp_targetILNS1_3genE5ELNS1_11target_archE942ELNS1_3gpuE9ELNS1_3repE0EEENS1_30default_config_static_selectorELNS0_4arch9wavefront6targetE0EEEvS14_,"axG",@progbits,_ZN7rocprim17ROCPRIM_400000_NS6detail17trampoline_kernelINS0_14default_configENS1_22reduce_config_selectorIN6thrust23THRUST_200600_302600_NS5tupleIblNS6_9null_typeES8_S8_S8_S8_S8_S8_S8_EEEEZNS1_11reduce_implILb1ES3_NS6_12zip_iteratorINS7_INS6_11hip_rocprim26transform_input_iterator_tIbNSD_35transform_pair_of_input_iterators_tIbNS6_6detail15normal_iteratorINS6_10device_ptrIKfEEEESL_NS6_8equal_toIfEEEENSG_9not_fun_tINSD_8identityEEEEENSD_19counting_iterator_tIlEES8_S8_S8_S8_S8_S8_S8_S8_EEEEPS9_S9_NSD_9__find_if7functorIS9_EEEE10hipError_tPvRmT1_T2_T3_mT4_P12ihipStream_tbEUlT_E1_NS1_11comp_targetILNS1_3genE5ELNS1_11target_archE942ELNS1_3gpuE9ELNS1_3repE0EEENS1_30default_config_static_selectorELNS0_4arch9wavefront6targetE0EEEvS14_,comdat
.Lfunc_end87:
	.size	_ZN7rocprim17ROCPRIM_400000_NS6detail17trampoline_kernelINS0_14default_configENS1_22reduce_config_selectorIN6thrust23THRUST_200600_302600_NS5tupleIblNS6_9null_typeES8_S8_S8_S8_S8_S8_S8_EEEEZNS1_11reduce_implILb1ES3_NS6_12zip_iteratorINS7_INS6_11hip_rocprim26transform_input_iterator_tIbNSD_35transform_pair_of_input_iterators_tIbNS6_6detail15normal_iteratorINS6_10device_ptrIKfEEEESL_NS6_8equal_toIfEEEENSG_9not_fun_tINSD_8identityEEEEENSD_19counting_iterator_tIlEES8_S8_S8_S8_S8_S8_S8_S8_EEEEPS9_S9_NSD_9__find_if7functorIS9_EEEE10hipError_tPvRmT1_T2_T3_mT4_P12ihipStream_tbEUlT_E1_NS1_11comp_targetILNS1_3genE5ELNS1_11target_archE942ELNS1_3gpuE9ELNS1_3repE0EEENS1_30default_config_static_selectorELNS0_4arch9wavefront6targetE0EEEvS14_, .Lfunc_end87-_ZN7rocprim17ROCPRIM_400000_NS6detail17trampoline_kernelINS0_14default_configENS1_22reduce_config_selectorIN6thrust23THRUST_200600_302600_NS5tupleIblNS6_9null_typeES8_S8_S8_S8_S8_S8_S8_EEEEZNS1_11reduce_implILb1ES3_NS6_12zip_iteratorINS7_INS6_11hip_rocprim26transform_input_iterator_tIbNSD_35transform_pair_of_input_iterators_tIbNS6_6detail15normal_iteratorINS6_10device_ptrIKfEEEESL_NS6_8equal_toIfEEEENSG_9not_fun_tINSD_8identityEEEEENSD_19counting_iterator_tIlEES8_S8_S8_S8_S8_S8_S8_S8_EEEEPS9_S9_NSD_9__find_if7functorIS9_EEEE10hipError_tPvRmT1_T2_T3_mT4_P12ihipStream_tbEUlT_E1_NS1_11comp_targetILNS1_3genE5ELNS1_11target_archE942ELNS1_3gpuE9ELNS1_3repE0EEENS1_30default_config_static_selectorELNS0_4arch9wavefront6targetE0EEEvS14_
                                        ; -- End function
	.set _ZN7rocprim17ROCPRIM_400000_NS6detail17trampoline_kernelINS0_14default_configENS1_22reduce_config_selectorIN6thrust23THRUST_200600_302600_NS5tupleIblNS6_9null_typeES8_S8_S8_S8_S8_S8_S8_EEEEZNS1_11reduce_implILb1ES3_NS6_12zip_iteratorINS7_INS6_11hip_rocprim26transform_input_iterator_tIbNSD_35transform_pair_of_input_iterators_tIbNS6_6detail15normal_iteratorINS6_10device_ptrIKfEEEESL_NS6_8equal_toIfEEEENSG_9not_fun_tINSD_8identityEEEEENSD_19counting_iterator_tIlEES8_S8_S8_S8_S8_S8_S8_S8_EEEEPS9_S9_NSD_9__find_if7functorIS9_EEEE10hipError_tPvRmT1_T2_T3_mT4_P12ihipStream_tbEUlT_E1_NS1_11comp_targetILNS1_3genE5ELNS1_11target_archE942ELNS1_3gpuE9ELNS1_3repE0EEENS1_30default_config_static_selectorELNS0_4arch9wavefront6targetE0EEEvS14_.num_vgpr, 0
	.set _ZN7rocprim17ROCPRIM_400000_NS6detail17trampoline_kernelINS0_14default_configENS1_22reduce_config_selectorIN6thrust23THRUST_200600_302600_NS5tupleIblNS6_9null_typeES8_S8_S8_S8_S8_S8_S8_EEEEZNS1_11reduce_implILb1ES3_NS6_12zip_iteratorINS7_INS6_11hip_rocprim26transform_input_iterator_tIbNSD_35transform_pair_of_input_iterators_tIbNS6_6detail15normal_iteratorINS6_10device_ptrIKfEEEESL_NS6_8equal_toIfEEEENSG_9not_fun_tINSD_8identityEEEEENSD_19counting_iterator_tIlEES8_S8_S8_S8_S8_S8_S8_S8_EEEEPS9_S9_NSD_9__find_if7functorIS9_EEEE10hipError_tPvRmT1_T2_T3_mT4_P12ihipStream_tbEUlT_E1_NS1_11comp_targetILNS1_3genE5ELNS1_11target_archE942ELNS1_3gpuE9ELNS1_3repE0EEENS1_30default_config_static_selectorELNS0_4arch9wavefront6targetE0EEEvS14_.num_agpr, 0
	.set _ZN7rocprim17ROCPRIM_400000_NS6detail17trampoline_kernelINS0_14default_configENS1_22reduce_config_selectorIN6thrust23THRUST_200600_302600_NS5tupleIblNS6_9null_typeES8_S8_S8_S8_S8_S8_S8_EEEEZNS1_11reduce_implILb1ES3_NS6_12zip_iteratorINS7_INS6_11hip_rocprim26transform_input_iterator_tIbNSD_35transform_pair_of_input_iterators_tIbNS6_6detail15normal_iteratorINS6_10device_ptrIKfEEEESL_NS6_8equal_toIfEEEENSG_9not_fun_tINSD_8identityEEEEENSD_19counting_iterator_tIlEES8_S8_S8_S8_S8_S8_S8_S8_EEEEPS9_S9_NSD_9__find_if7functorIS9_EEEE10hipError_tPvRmT1_T2_T3_mT4_P12ihipStream_tbEUlT_E1_NS1_11comp_targetILNS1_3genE5ELNS1_11target_archE942ELNS1_3gpuE9ELNS1_3repE0EEENS1_30default_config_static_selectorELNS0_4arch9wavefront6targetE0EEEvS14_.numbered_sgpr, 0
	.set _ZN7rocprim17ROCPRIM_400000_NS6detail17trampoline_kernelINS0_14default_configENS1_22reduce_config_selectorIN6thrust23THRUST_200600_302600_NS5tupleIblNS6_9null_typeES8_S8_S8_S8_S8_S8_S8_EEEEZNS1_11reduce_implILb1ES3_NS6_12zip_iteratorINS7_INS6_11hip_rocprim26transform_input_iterator_tIbNSD_35transform_pair_of_input_iterators_tIbNS6_6detail15normal_iteratorINS6_10device_ptrIKfEEEESL_NS6_8equal_toIfEEEENSG_9not_fun_tINSD_8identityEEEEENSD_19counting_iterator_tIlEES8_S8_S8_S8_S8_S8_S8_S8_EEEEPS9_S9_NSD_9__find_if7functorIS9_EEEE10hipError_tPvRmT1_T2_T3_mT4_P12ihipStream_tbEUlT_E1_NS1_11comp_targetILNS1_3genE5ELNS1_11target_archE942ELNS1_3gpuE9ELNS1_3repE0EEENS1_30default_config_static_selectorELNS0_4arch9wavefront6targetE0EEEvS14_.num_named_barrier, 0
	.set _ZN7rocprim17ROCPRIM_400000_NS6detail17trampoline_kernelINS0_14default_configENS1_22reduce_config_selectorIN6thrust23THRUST_200600_302600_NS5tupleIblNS6_9null_typeES8_S8_S8_S8_S8_S8_S8_EEEEZNS1_11reduce_implILb1ES3_NS6_12zip_iteratorINS7_INS6_11hip_rocprim26transform_input_iterator_tIbNSD_35transform_pair_of_input_iterators_tIbNS6_6detail15normal_iteratorINS6_10device_ptrIKfEEEESL_NS6_8equal_toIfEEEENSG_9not_fun_tINSD_8identityEEEEENSD_19counting_iterator_tIlEES8_S8_S8_S8_S8_S8_S8_S8_EEEEPS9_S9_NSD_9__find_if7functorIS9_EEEE10hipError_tPvRmT1_T2_T3_mT4_P12ihipStream_tbEUlT_E1_NS1_11comp_targetILNS1_3genE5ELNS1_11target_archE942ELNS1_3gpuE9ELNS1_3repE0EEENS1_30default_config_static_selectorELNS0_4arch9wavefront6targetE0EEEvS14_.private_seg_size, 0
	.set _ZN7rocprim17ROCPRIM_400000_NS6detail17trampoline_kernelINS0_14default_configENS1_22reduce_config_selectorIN6thrust23THRUST_200600_302600_NS5tupleIblNS6_9null_typeES8_S8_S8_S8_S8_S8_S8_EEEEZNS1_11reduce_implILb1ES3_NS6_12zip_iteratorINS7_INS6_11hip_rocprim26transform_input_iterator_tIbNSD_35transform_pair_of_input_iterators_tIbNS6_6detail15normal_iteratorINS6_10device_ptrIKfEEEESL_NS6_8equal_toIfEEEENSG_9not_fun_tINSD_8identityEEEEENSD_19counting_iterator_tIlEES8_S8_S8_S8_S8_S8_S8_S8_EEEEPS9_S9_NSD_9__find_if7functorIS9_EEEE10hipError_tPvRmT1_T2_T3_mT4_P12ihipStream_tbEUlT_E1_NS1_11comp_targetILNS1_3genE5ELNS1_11target_archE942ELNS1_3gpuE9ELNS1_3repE0EEENS1_30default_config_static_selectorELNS0_4arch9wavefront6targetE0EEEvS14_.uses_vcc, 0
	.set _ZN7rocprim17ROCPRIM_400000_NS6detail17trampoline_kernelINS0_14default_configENS1_22reduce_config_selectorIN6thrust23THRUST_200600_302600_NS5tupleIblNS6_9null_typeES8_S8_S8_S8_S8_S8_S8_EEEEZNS1_11reduce_implILb1ES3_NS6_12zip_iteratorINS7_INS6_11hip_rocprim26transform_input_iterator_tIbNSD_35transform_pair_of_input_iterators_tIbNS6_6detail15normal_iteratorINS6_10device_ptrIKfEEEESL_NS6_8equal_toIfEEEENSG_9not_fun_tINSD_8identityEEEEENSD_19counting_iterator_tIlEES8_S8_S8_S8_S8_S8_S8_S8_EEEEPS9_S9_NSD_9__find_if7functorIS9_EEEE10hipError_tPvRmT1_T2_T3_mT4_P12ihipStream_tbEUlT_E1_NS1_11comp_targetILNS1_3genE5ELNS1_11target_archE942ELNS1_3gpuE9ELNS1_3repE0EEENS1_30default_config_static_selectorELNS0_4arch9wavefront6targetE0EEEvS14_.uses_flat_scratch, 0
	.set _ZN7rocprim17ROCPRIM_400000_NS6detail17trampoline_kernelINS0_14default_configENS1_22reduce_config_selectorIN6thrust23THRUST_200600_302600_NS5tupleIblNS6_9null_typeES8_S8_S8_S8_S8_S8_S8_EEEEZNS1_11reduce_implILb1ES3_NS6_12zip_iteratorINS7_INS6_11hip_rocprim26transform_input_iterator_tIbNSD_35transform_pair_of_input_iterators_tIbNS6_6detail15normal_iteratorINS6_10device_ptrIKfEEEESL_NS6_8equal_toIfEEEENSG_9not_fun_tINSD_8identityEEEEENSD_19counting_iterator_tIlEES8_S8_S8_S8_S8_S8_S8_S8_EEEEPS9_S9_NSD_9__find_if7functorIS9_EEEE10hipError_tPvRmT1_T2_T3_mT4_P12ihipStream_tbEUlT_E1_NS1_11comp_targetILNS1_3genE5ELNS1_11target_archE942ELNS1_3gpuE9ELNS1_3repE0EEENS1_30default_config_static_selectorELNS0_4arch9wavefront6targetE0EEEvS14_.has_dyn_sized_stack, 0
	.set _ZN7rocprim17ROCPRIM_400000_NS6detail17trampoline_kernelINS0_14default_configENS1_22reduce_config_selectorIN6thrust23THRUST_200600_302600_NS5tupleIblNS6_9null_typeES8_S8_S8_S8_S8_S8_S8_EEEEZNS1_11reduce_implILb1ES3_NS6_12zip_iteratorINS7_INS6_11hip_rocprim26transform_input_iterator_tIbNSD_35transform_pair_of_input_iterators_tIbNS6_6detail15normal_iteratorINS6_10device_ptrIKfEEEESL_NS6_8equal_toIfEEEENSG_9not_fun_tINSD_8identityEEEEENSD_19counting_iterator_tIlEES8_S8_S8_S8_S8_S8_S8_S8_EEEEPS9_S9_NSD_9__find_if7functorIS9_EEEE10hipError_tPvRmT1_T2_T3_mT4_P12ihipStream_tbEUlT_E1_NS1_11comp_targetILNS1_3genE5ELNS1_11target_archE942ELNS1_3gpuE9ELNS1_3repE0EEENS1_30default_config_static_selectorELNS0_4arch9wavefront6targetE0EEEvS14_.has_recursion, 0
	.set _ZN7rocprim17ROCPRIM_400000_NS6detail17trampoline_kernelINS0_14default_configENS1_22reduce_config_selectorIN6thrust23THRUST_200600_302600_NS5tupleIblNS6_9null_typeES8_S8_S8_S8_S8_S8_S8_EEEEZNS1_11reduce_implILb1ES3_NS6_12zip_iteratorINS7_INS6_11hip_rocprim26transform_input_iterator_tIbNSD_35transform_pair_of_input_iterators_tIbNS6_6detail15normal_iteratorINS6_10device_ptrIKfEEEESL_NS6_8equal_toIfEEEENSG_9not_fun_tINSD_8identityEEEEENSD_19counting_iterator_tIlEES8_S8_S8_S8_S8_S8_S8_S8_EEEEPS9_S9_NSD_9__find_if7functorIS9_EEEE10hipError_tPvRmT1_T2_T3_mT4_P12ihipStream_tbEUlT_E1_NS1_11comp_targetILNS1_3genE5ELNS1_11target_archE942ELNS1_3gpuE9ELNS1_3repE0EEENS1_30default_config_static_selectorELNS0_4arch9wavefront6targetE0EEEvS14_.has_indirect_call, 0
	.section	.AMDGPU.csdata,"",@progbits
; Kernel info:
; codeLenInByte = 0
; TotalNumSgprs: 0
; NumVgprs: 0
; ScratchSize: 0
; MemoryBound: 0
; FloatMode: 240
; IeeeMode: 1
; LDSByteSize: 0 bytes/workgroup (compile time only)
; SGPRBlocks: 0
; VGPRBlocks: 0
; NumSGPRsForWavesPerEU: 1
; NumVGPRsForWavesPerEU: 1
; NamedBarCnt: 0
; Occupancy: 16
; WaveLimiterHint : 0
; COMPUTE_PGM_RSRC2:SCRATCH_EN: 0
; COMPUTE_PGM_RSRC2:USER_SGPR: 2
; COMPUTE_PGM_RSRC2:TRAP_HANDLER: 0
; COMPUTE_PGM_RSRC2:TGID_X_EN: 1
; COMPUTE_PGM_RSRC2:TGID_Y_EN: 0
; COMPUTE_PGM_RSRC2:TGID_Z_EN: 0
; COMPUTE_PGM_RSRC2:TIDIG_COMP_CNT: 0
	.section	.text._ZN7rocprim17ROCPRIM_400000_NS6detail17trampoline_kernelINS0_14default_configENS1_22reduce_config_selectorIN6thrust23THRUST_200600_302600_NS5tupleIblNS6_9null_typeES8_S8_S8_S8_S8_S8_S8_EEEEZNS1_11reduce_implILb1ES3_NS6_12zip_iteratorINS7_INS6_11hip_rocprim26transform_input_iterator_tIbNSD_35transform_pair_of_input_iterators_tIbNS6_6detail15normal_iteratorINS6_10device_ptrIKfEEEESL_NS6_8equal_toIfEEEENSG_9not_fun_tINSD_8identityEEEEENSD_19counting_iterator_tIlEES8_S8_S8_S8_S8_S8_S8_S8_EEEEPS9_S9_NSD_9__find_if7functorIS9_EEEE10hipError_tPvRmT1_T2_T3_mT4_P12ihipStream_tbEUlT_E1_NS1_11comp_targetILNS1_3genE4ELNS1_11target_archE910ELNS1_3gpuE8ELNS1_3repE0EEENS1_30default_config_static_selectorELNS0_4arch9wavefront6targetE0EEEvS14_,"axG",@progbits,_ZN7rocprim17ROCPRIM_400000_NS6detail17trampoline_kernelINS0_14default_configENS1_22reduce_config_selectorIN6thrust23THRUST_200600_302600_NS5tupleIblNS6_9null_typeES8_S8_S8_S8_S8_S8_S8_EEEEZNS1_11reduce_implILb1ES3_NS6_12zip_iteratorINS7_INS6_11hip_rocprim26transform_input_iterator_tIbNSD_35transform_pair_of_input_iterators_tIbNS6_6detail15normal_iteratorINS6_10device_ptrIKfEEEESL_NS6_8equal_toIfEEEENSG_9not_fun_tINSD_8identityEEEEENSD_19counting_iterator_tIlEES8_S8_S8_S8_S8_S8_S8_S8_EEEEPS9_S9_NSD_9__find_if7functorIS9_EEEE10hipError_tPvRmT1_T2_T3_mT4_P12ihipStream_tbEUlT_E1_NS1_11comp_targetILNS1_3genE4ELNS1_11target_archE910ELNS1_3gpuE8ELNS1_3repE0EEENS1_30default_config_static_selectorELNS0_4arch9wavefront6targetE0EEEvS14_,comdat
	.protected	_ZN7rocprim17ROCPRIM_400000_NS6detail17trampoline_kernelINS0_14default_configENS1_22reduce_config_selectorIN6thrust23THRUST_200600_302600_NS5tupleIblNS6_9null_typeES8_S8_S8_S8_S8_S8_S8_EEEEZNS1_11reduce_implILb1ES3_NS6_12zip_iteratorINS7_INS6_11hip_rocprim26transform_input_iterator_tIbNSD_35transform_pair_of_input_iterators_tIbNS6_6detail15normal_iteratorINS6_10device_ptrIKfEEEESL_NS6_8equal_toIfEEEENSG_9not_fun_tINSD_8identityEEEEENSD_19counting_iterator_tIlEES8_S8_S8_S8_S8_S8_S8_S8_EEEEPS9_S9_NSD_9__find_if7functorIS9_EEEE10hipError_tPvRmT1_T2_T3_mT4_P12ihipStream_tbEUlT_E1_NS1_11comp_targetILNS1_3genE4ELNS1_11target_archE910ELNS1_3gpuE8ELNS1_3repE0EEENS1_30default_config_static_selectorELNS0_4arch9wavefront6targetE0EEEvS14_ ; -- Begin function _ZN7rocprim17ROCPRIM_400000_NS6detail17trampoline_kernelINS0_14default_configENS1_22reduce_config_selectorIN6thrust23THRUST_200600_302600_NS5tupleIblNS6_9null_typeES8_S8_S8_S8_S8_S8_S8_EEEEZNS1_11reduce_implILb1ES3_NS6_12zip_iteratorINS7_INS6_11hip_rocprim26transform_input_iterator_tIbNSD_35transform_pair_of_input_iterators_tIbNS6_6detail15normal_iteratorINS6_10device_ptrIKfEEEESL_NS6_8equal_toIfEEEENSG_9not_fun_tINSD_8identityEEEEENSD_19counting_iterator_tIlEES8_S8_S8_S8_S8_S8_S8_S8_EEEEPS9_S9_NSD_9__find_if7functorIS9_EEEE10hipError_tPvRmT1_T2_T3_mT4_P12ihipStream_tbEUlT_E1_NS1_11comp_targetILNS1_3genE4ELNS1_11target_archE910ELNS1_3gpuE8ELNS1_3repE0EEENS1_30default_config_static_selectorELNS0_4arch9wavefront6targetE0EEEvS14_
	.globl	_ZN7rocprim17ROCPRIM_400000_NS6detail17trampoline_kernelINS0_14default_configENS1_22reduce_config_selectorIN6thrust23THRUST_200600_302600_NS5tupleIblNS6_9null_typeES8_S8_S8_S8_S8_S8_S8_EEEEZNS1_11reduce_implILb1ES3_NS6_12zip_iteratorINS7_INS6_11hip_rocprim26transform_input_iterator_tIbNSD_35transform_pair_of_input_iterators_tIbNS6_6detail15normal_iteratorINS6_10device_ptrIKfEEEESL_NS6_8equal_toIfEEEENSG_9not_fun_tINSD_8identityEEEEENSD_19counting_iterator_tIlEES8_S8_S8_S8_S8_S8_S8_S8_EEEEPS9_S9_NSD_9__find_if7functorIS9_EEEE10hipError_tPvRmT1_T2_T3_mT4_P12ihipStream_tbEUlT_E1_NS1_11comp_targetILNS1_3genE4ELNS1_11target_archE910ELNS1_3gpuE8ELNS1_3repE0EEENS1_30default_config_static_selectorELNS0_4arch9wavefront6targetE0EEEvS14_
	.p2align	8
	.type	_ZN7rocprim17ROCPRIM_400000_NS6detail17trampoline_kernelINS0_14default_configENS1_22reduce_config_selectorIN6thrust23THRUST_200600_302600_NS5tupleIblNS6_9null_typeES8_S8_S8_S8_S8_S8_S8_EEEEZNS1_11reduce_implILb1ES3_NS6_12zip_iteratorINS7_INS6_11hip_rocprim26transform_input_iterator_tIbNSD_35transform_pair_of_input_iterators_tIbNS6_6detail15normal_iteratorINS6_10device_ptrIKfEEEESL_NS6_8equal_toIfEEEENSG_9not_fun_tINSD_8identityEEEEENSD_19counting_iterator_tIlEES8_S8_S8_S8_S8_S8_S8_S8_EEEEPS9_S9_NSD_9__find_if7functorIS9_EEEE10hipError_tPvRmT1_T2_T3_mT4_P12ihipStream_tbEUlT_E1_NS1_11comp_targetILNS1_3genE4ELNS1_11target_archE910ELNS1_3gpuE8ELNS1_3repE0EEENS1_30default_config_static_selectorELNS0_4arch9wavefront6targetE0EEEvS14_,@function
_ZN7rocprim17ROCPRIM_400000_NS6detail17trampoline_kernelINS0_14default_configENS1_22reduce_config_selectorIN6thrust23THRUST_200600_302600_NS5tupleIblNS6_9null_typeES8_S8_S8_S8_S8_S8_S8_EEEEZNS1_11reduce_implILb1ES3_NS6_12zip_iteratorINS7_INS6_11hip_rocprim26transform_input_iterator_tIbNSD_35transform_pair_of_input_iterators_tIbNS6_6detail15normal_iteratorINS6_10device_ptrIKfEEEESL_NS6_8equal_toIfEEEENSG_9not_fun_tINSD_8identityEEEEENSD_19counting_iterator_tIlEES8_S8_S8_S8_S8_S8_S8_S8_EEEEPS9_S9_NSD_9__find_if7functorIS9_EEEE10hipError_tPvRmT1_T2_T3_mT4_P12ihipStream_tbEUlT_E1_NS1_11comp_targetILNS1_3genE4ELNS1_11target_archE910ELNS1_3gpuE8ELNS1_3repE0EEENS1_30default_config_static_selectorELNS0_4arch9wavefront6targetE0EEEvS14_: ; @_ZN7rocprim17ROCPRIM_400000_NS6detail17trampoline_kernelINS0_14default_configENS1_22reduce_config_selectorIN6thrust23THRUST_200600_302600_NS5tupleIblNS6_9null_typeES8_S8_S8_S8_S8_S8_S8_EEEEZNS1_11reduce_implILb1ES3_NS6_12zip_iteratorINS7_INS6_11hip_rocprim26transform_input_iterator_tIbNSD_35transform_pair_of_input_iterators_tIbNS6_6detail15normal_iteratorINS6_10device_ptrIKfEEEESL_NS6_8equal_toIfEEEENSG_9not_fun_tINSD_8identityEEEEENSD_19counting_iterator_tIlEES8_S8_S8_S8_S8_S8_S8_S8_EEEEPS9_S9_NSD_9__find_if7functorIS9_EEEE10hipError_tPvRmT1_T2_T3_mT4_P12ihipStream_tbEUlT_E1_NS1_11comp_targetILNS1_3genE4ELNS1_11target_archE910ELNS1_3gpuE8ELNS1_3repE0EEENS1_30default_config_static_selectorELNS0_4arch9wavefront6targetE0EEEvS14_
; %bb.0:
	.section	.rodata,"a",@progbits
	.p2align	6, 0x0
	.amdhsa_kernel _ZN7rocprim17ROCPRIM_400000_NS6detail17trampoline_kernelINS0_14default_configENS1_22reduce_config_selectorIN6thrust23THRUST_200600_302600_NS5tupleIblNS6_9null_typeES8_S8_S8_S8_S8_S8_S8_EEEEZNS1_11reduce_implILb1ES3_NS6_12zip_iteratorINS7_INS6_11hip_rocprim26transform_input_iterator_tIbNSD_35transform_pair_of_input_iterators_tIbNS6_6detail15normal_iteratorINS6_10device_ptrIKfEEEESL_NS6_8equal_toIfEEEENSG_9not_fun_tINSD_8identityEEEEENSD_19counting_iterator_tIlEES8_S8_S8_S8_S8_S8_S8_S8_EEEEPS9_S9_NSD_9__find_if7functorIS9_EEEE10hipError_tPvRmT1_T2_T3_mT4_P12ihipStream_tbEUlT_E1_NS1_11comp_targetILNS1_3genE4ELNS1_11target_archE910ELNS1_3gpuE8ELNS1_3repE0EEENS1_30default_config_static_selectorELNS0_4arch9wavefront6targetE0EEEvS14_
		.amdhsa_group_segment_fixed_size 0
		.amdhsa_private_segment_fixed_size 0
		.amdhsa_kernarg_size 88
		.amdhsa_user_sgpr_count 2
		.amdhsa_user_sgpr_dispatch_ptr 0
		.amdhsa_user_sgpr_queue_ptr 0
		.amdhsa_user_sgpr_kernarg_segment_ptr 1
		.amdhsa_user_sgpr_dispatch_id 0
		.amdhsa_user_sgpr_kernarg_preload_length 0
		.amdhsa_user_sgpr_kernarg_preload_offset 0
		.amdhsa_user_sgpr_private_segment_size 0
		.amdhsa_wavefront_size32 1
		.amdhsa_uses_dynamic_stack 0
		.amdhsa_enable_private_segment 0
		.amdhsa_system_sgpr_workgroup_id_x 1
		.amdhsa_system_sgpr_workgroup_id_y 0
		.amdhsa_system_sgpr_workgroup_id_z 0
		.amdhsa_system_sgpr_workgroup_info 0
		.amdhsa_system_vgpr_workitem_id 0
		.amdhsa_next_free_vgpr 1
		.amdhsa_next_free_sgpr 1
		.amdhsa_named_barrier_count 0
		.amdhsa_reserve_vcc 0
		.amdhsa_float_round_mode_32 0
		.amdhsa_float_round_mode_16_64 0
		.amdhsa_float_denorm_mode_32 3
		.amdhsa_float_denorm_mode_16_64 3
		.amdhsa_fp16_overflow 0
		.amdhsa_memory_ordered 1
		.amdhsa_forward_progress 1
		.amdhsa_inst_pref_size 0
		.amdhsa_round_robin_scheduling 0
		.amdhsa_exception_fp_ieee_invalid_op 0
		.amdhsa_exception_fp_denorm_src 0
		.amdhsa_exception_fp_ieee_div_zero 0
		.amdhsa_exception_fp_ieee_overflow 0
		.amdhsa_exception_fp_ieee_underflow 0
		.amdhsa_exception_fp_ieee_inexact 0
		.amdhsa_exception_int_div_zero 0
	.end_amdhsa_kernel
	.section	.text._ZN7rocprim17ROCPRIM_400000_NS6detail17trampoline_kernelINS0_14default_configENS1_22reduce_config_selectorIN6thrust23THRUST_200600_302600_NS5tupleIblNS6_9null_typeES8_S8_S8_S8_S8_S8_S8_EEEEZNS1_11reduce_implILb1ES3_NS6_12zip_iteratorINS7_INS6_11hip_rocprim26transform_input_iterator_tIbNSD_35transform_pair_of_input_iterators_tIbNS6_6detail15normal_iteratorINS6_10device_ptrIKfEEEESL_NS6_8equal_toIfEEEENSG_9not_fun_tINSD_8identityEEEEENSD_19counting_iterator_tIlEES8_S8_S8_S8_S8_S8_S8_S8_EEEEPS9_S9_NSD_9__find_if7functorIS9_EEEE10hipError_tPvRmT1_T2_T3_mT4_P12ihipStream_tbEUlT_E1_NS1_11comp_targetILNS1_3genE4ELNS1_11target_archE910ELNS1_3gpuE8ELNS1_3repE0EEENS1_30default_config_static_selectorELNS0_4arch9wavefront6targetE0EEEvS14_,"axG",@progbits,_ZN7rocprim17ROCPRIM_400000_NS6detail17trampoline_kernelINS0_14default_configENS1_22reduce_config_selectorIN6thrust23THRUST_200600_302600_NS5tupleIblNS6_9null_typeES8_S8_S8_S8_S8_S8_S8_EEEEZNS1_11reduce_implILb1ES3_NS6_12zip_iteratorINS7_INS6_11hip_rocprim26transform_input_iterator_tIbNSD_35transform_pair_of_input_iterators_tIbNS6_6detail15normal_iteratorINS6_10device_ptrIKfEEEESL_NS6_8equal_toIfEEEENSG_9not_fun_tINSD_8identityEEEEENSD_19counting_iterator_tIlEES8_S8_S8_S8_S8_S8_S8_S8_EEEEPS9_S9_NSD_9__find_if7functorIS9_EEEE10hipError_tPvRmT1_T2_T3_mT4_P12ihipStream_tbEUlT_E1_NS1_11comp_targetILNS1_3genE4ELNS1_11target_archE910ELNS1_3gpuE8ELNS1_3repE0EEENS1_30default_config_static_selectorELNS0_4arch9wavefront6targetE0EEEvS14_,comdat
.Lfunc_end88:
	.size	_ZN7rocprim17ROCPRIM_400000_NS6detail17trampoline_kernelINS0_14default_configENS1_22reduce_config_selectorIN6thrust23THRUST_200600_302600_NS5tupleIblNS6_9null_typeES8_S8_S8_S8_S8_S8_S8_EEEEZNS1_11reduce_implILb1ES3_NS6_12zip_iteratorINS7_INS6_11hip_rocprim26transform_input_iterator_tIbNSD_35transform_pair_of_input_iterators_tIbNS6_6detail15normal_iteratorINS6_10device_ptrIKfEEEESL_NS6_8equal_toIfEEEENSG_9not_fun_tINSD_8identityEEEEENSD_19counting_iterator_tIlEES8_S8_S8_S8_S8_S8_S8_S8_EEEEPS9_S9_NSD_9__find_if7functorIS9_EEEE10hipError_tPvRmT1_T2_T3_mT4_P12ihipStream_tbEUlT_E1_NS1_11comp_targetILNS1_3genE4ELNS1_11target_archE910ELNS1_3gpuE8ELNS1_3repE0EEENS1_30default_config_static_selectorELNS0_4arch9wavefront6targetE0EEEvS14_, .Lfunc_end88-_ZN7rocprim17ROCPRIM_400000_NS6detail17trampoline_kernelINS0_14default_configENS1_22reduce_config_selectorIN6thrust23THRUST_200600_302600_NS5tupleIblNS6_9null_typeES8_S8_S8_S8_S8_S8_S8_EEEEZNS1_11reduce_implILb1ES3_NS6_12zip_iteratorINS7_INS6_11hip_rocprim26transform_input_iterator_tIbNSD_35transform_pair_of_input_iterators_tIbNS6_6detail15normal_iteratorINS6_10device_ptrIKfEEEESL_NS6_8equal_toIfEEEENSG_9not_fun_tINSD_8identityEEEEENSD_19counting_iterator_tIlEES8_S8_S8_S8_S8_S8_S8_S8_EEEEPS9_S9_NSD_9__find_if7functorIS9_EEEE10hipError_tPvRmT1_T2_T3_mT4_P12ihipStream_tbEUlT_E1_NS1_11comp_targetILNS1_3genE4ELNS1_11target_archE910ELNS1_3gpuE8ELNS1_3repE0EEENS1_30default_config_static_selectorELNS0_4arch9wavefront6targetE0EEEvS14_
                                        ; -- End function
	.set _ZN7rocprim17ROCPRIM_400000_NS6detail17trampoline_kernelINS0_14default_configENS1_22reduce_config_selectorIN6thrust23THRUST_200600_302600_NS5tupleIblNS6_9null_typeES8_S8_S8_S8_S8_S8_S8_EEEEZNS1_11reduce_implILb1ES3_NS6_12zip_iteratorINS7_INS6_11hip_rocprim26transform_input_iterator_tIbNSD_35transform_pair_of_input_iterators_tIbNS6_6detail15normal_iteratorINS6_10device_ptrIKfEEEESL_NS6_8equal_toIfEEEENSG_9not_fun_tINSD_8identityEEEEENSD_19counting_iterator_tIlEES8_S8_S8_S8_S8_S8_S8_S8_EEEEPS9_S9_NSD_9__find_if7functorIS9_EEEE10hipError_tPvRmT1_T2_T3_mT4_P12ihipStream_tbEUlT_E1_NS1_11comp_targetILNS1_3genE4ELNS1_11target_archE910ELNS1_3gpuE8ELNS1_3repE0EEENS1_30default_config_static_selectorELNS0_4arch9wavefront6targetE0EEEvS14_.num_vgpr, 0
	.set _ZN7rocprim17ROCPRIM_400000_NS6detail17trampoline_kernelINS0_14default_configENS1_22reduce_config_selectorIN6thrust23THRUST_200600_302600_NS5tupleIblNS6_9null_typeES8_S8_S8_S8_S8_S8_S8_EEEEZNS1_11reduce_implILb1ES3_NS6_12zip_iteratorINS7_INS6_11hip_rocprim26transform_input_iterator_tIbNSD_35transform_pair_of_input_iterators_tIbNS6_6detail15normal_iteratorINS6_10device_ptrIKfEEEESL_NS6_8equal_toIfEEEENSG_9not_fun_tINSD_8identityEEEEENSD_19counting_iterator_tIlEES8_S8_S8_S8_S8_S8_S8_S8_EEEEPS9_S9_NSD_9__find_if7functorIS9_EEEE10hipError_tPvRmT1_T2_T3_mT4_P12ihipStream_tbEUlT_E1_NS1_11comp_targetILNS1_3genE4ELNS1_11target_archE910ELNS1_3gpuE8ELNS1_3repE0EEENS1_30default_config_static_selectorELNS0_4arch9wavefront6targetE0EEEvS14_.num_agpr, 0
	.set _ZN7rocprim17ROCPRIM_400000_NS6detail17trampoline_kernelINS0_14default_configENS1_22reduce_config_selectorIN6thrust23THRUST_200600_302600_NS5tupleIblNS6_9null_typeES8_S8_S8_S8_S8_S8_S8_EEEEZNS1_11reduce_implILb1ES3_NS6_12zip_iteratorINS7_INS6_11hip_rocprim26transform_input_iterator_tIbNSD_35transform_pair_of_input_iterators_tIbNS6_6detail15normal_iteratorINS6_10device_ptrIKfEEEESL_NS6_8equal_toIfEEEENSG_9not_fun_tINSD_8identityEEEEENSD_19counting_iterator_tIlEES8_S8_S8_S8_S8_S8_S8_S8_EEEEPS9_S9_NSD_9__find_if7functorIS9_EEEE10hipError_tPvRmT1_T2_T3_mT4_P12ihipStream_tbEUlT_E1_NS1_11comp_targetILNS1_3genE4ELNS1_11target_archE910ELNS1_3gpuE8ELNS1_3repE0EEENS1_30default_config_static_selectorELNS0_4arch9wavefront6targetE0EEEvS14_.numbered_sgpr, 0
	.set _ZN7rocprim17ROCPRIM_400000_NS6detail17trampoline_kernelINS0_14default_configENS1_22reduce_config_selectorIN6thrust23THRUST_200600_302600_NS5tupleIblNS6_9null_typeES8_S8_S8_S8_S8_S8_S8_EEEEZNS1_11reduce_implILb1ES3_NS6_12zip_iteratorINS7_INS6_11hip_rocprim26transform_input_iterator_tIbNSD_35transform_pair_of_input_iterators_tIbNS6_6detail15normal_iteratorINS6_10device_ptrIKfEEEESL_NS6_8equal_toIfEEEENSG_9not_fun_tINSD_8identityEEEEENSD_19counting_iterator_tIlEES8_S8_S8_S8_S8_S8_S8_S8_EEEEPS9_S9_NSD_9__find_if7functorIS9_EEEE10hipError_tPvRmT1_T2_T3_mT4_P12ihipStream_tbEUlT_E1_NS1_11comp_targetILNS1_3genE4ELNS1_11target_archE910ELNS1_3gpuE8ELNS1_3repE0EEENS1_30default_config_static_selectorELNS0_4arch9wavefront6targetE0EEEvS14_.num_named_barrier, 0
	.set _ZN7rocprim17ROCPRIM_400000_NS6detail17trampoline_kernelINS0_14default_configENS1_22reduce_config_selectorIN6thrust23THRUST_200600_302600_NS5tupleIblNS6_9null_typeES8_S8_S8_S8_S8_S8_S8_EEEEZNS1_11reduce_implILb1ES3_NS6_12zip_iteratorINS7_INS6_11hip_rocprim26transform_input_iterator_tIbNSD_35transform_pair_of_input_iterators_tIbNS6_6detail15normal_iteratorINS6_10device_ptrIKfEEEESL_NS6_8equal_toIfEEEENSG_9not_fun_tINSD_8identityEEEEENSD_19counting_iterator_tIlEES8_S8_S8_S8_S8_S8_S8_S8_EEEEPS9_S9_NSD_9__find_if7functorIS9_EEEE10hipError_tPvRmT1_T2_T3_mT4_P12ihipStream_tbEUlT_E1_NS1_11comp_targetILNS1_3genE4ELNS1_11target_archE910ELNS1_3gpuE8ELNS1_3repE0EEENS1_30default_config_static_selectorELNS0_4arch9wavefront6targetE0EEEvS14_.private_seg_size, 0
	.set _ZN7rocprim17ROCPRIM_400000_NS6detail17trampoline_kernelINS0_14default_configENS1_22reduce_config_selectorIN6thrust23THRUST_200600_302600_NS5tupleIblNS6_9null_typeES8_S8_S8_S8_S8_S8_S8_EEEEZNS1_11reduce_implILb1ES3_NS6_12zip_iteratorINS7_INS6_11hip_rocprim26transform_input_iterator_tIbNSD_35transform_pair_of_input_iterators_tIbNS6_6detail15normal_iteratorINS6_10device_ptrIKfEEEESL_NS6_8equal_toIfEEEENSG_9not_fun_tINSD_8identityEEEEENSD_19counting_iterator_tIlEES8_S8_S8_S8_S8_S8_S8_S8_EEEEPS9_S9_NSD_9__find_if7functorIS9_EEEE10hipError_tPvRmT1_T2_T3_mT4_P12ihipStream_tbEUlT_E1_NS1_11comp_targetILNS1_3genE4ELNS1_11target_archE910ELNS1_3gpuE8ELNS1_3repE0EEENS1_30default_config_static_selectorELNS0_4arch9wavefront6targetE0EEEvS14_.uses_vcc, 0
	.set _ZN7rocprim17ROCPRIM_400000_NS6detail17trampoline_kernelINS0_14default_configENS1_22reduce_config_selectorIN6thrust23THRUST_200600_302600_NS5tupleIblNS6_9null_typeES8_S8_S8_S8_S8_S8_S8_EEEEZNS1_11reduce_implILb1ES3_NS6_12zip_iteratorINS7_INS6_11hip_rocprim26transform_input_iterator_tIbNSD_35transform_pair_of_input_iterators_tIbNS6_6detail15normal_iteratorINS6_10device_ptrIKfEEEESL_NS6_8equal_toIfEEEENSG_9not_fun_tINSD_8identityEEEEENSD_19counting_iterator_tIlEES8_S8_S8_S8_S8_S8_S8_S8_EEEEPS9_S9_NSD_9__find_if7functorIS9_EEEE10hipError_tPvRmT1_T2_T3_mT4_P12ihipStream_tbEUlT_E1_NS1_11comp_targetILNS1_3genE4ELNS1_11target_archE910ELNS1_3gpuE8ELNS1_3repE0EEENS1_30default_config_static_selectorELNS0_4arch9wavefront6targetE0EEEvS14_.uses_flat_scratch, 0
	.set _ZN7rocprim17ROCPRIM_400000_NS6detail17trampoline_kernelINS0_14default_configENS1_22reduce_config_selectorIN6thrust23THRUST_200600_302600_NS5tupleIblNS6_9null_typeES8_S8_S8_S8_S8_S8_S8_EEEEZNS1_11reduce_implILb1ES3_NS6_12zip_iteratorINS7_INS6_11hip_rocprim26transform_input_iterator_tIbNSD_35transform_pair_of_input_iterators_tIbNS6_6detail15normal_iteratorINS6_10device_ptrIKfEEEESL_NS6_8equal_toIfEEEENSG_9not_fun_tINSD_8identityEEEEENSD_19counting_iterator_tIlEES8_S8_S8_S8_S8_S8_S8_S8_EEEEPS9_S9_NSD_9__find_if7functorIS9_EEEE10hipError_tPvRmT1_T2_T3_mT4_P12ihipStream_tbEUlT_E1_NS1_11comp_targetILNS1_3genE4ELNS1_11target_archE910ELNS1_3gpuE8ELNS1_3repE0EEENS1_30default_config_static_selectorELNS0_4arch9wavefront6targetE0EEEvS14_.has_dyn_sized_stack, 0
	.set _ZN7rocprim17ROCPRIM_400000_NS6detail17trampoline_kernelINS0_14default_configENS1_22reduce_config_selectorIN6thrust23THRUST_200600_302600_NS5tupleIblNS6_9null_typeES8_S8_S8_S8_S8_S8_S8_EEEEZNS1_11reduce_implILb1ES3_NS6_12zip_iteratorINS7_INS6_11hip_rocprim26transform_input_iterator_tIbNSD_35transform_pair_of_input_iterators_tIbNS6_6detail15normal_iteratorINS6_10device_ptrIKfEEEESL_NS6_8equal_toIfEEEENSG_9not_fun_tINSD_8identityEEEEENSD_19counting_iterator_tIlEES8_S8_S8_S8_S8_S8_S8_S8_EEEEPS9_S9_NSD_9__find_if7functorIS9_EEEE10hipError_tPvRmT1_T2_T3_mT4_P12ihipStream_tbEUlT_E1_NS1_11comp_targetILNS1_3genE4ELNS1_11target_archE910ELNS1_3gpuE8ELNS1_3repE0EEENS1_30default_config_static_selectorELNS0_4arch9wavefront6targetE0EEEvS14_.has_recursion, 0
	.set _ZN7rocprim17ROCPRIM_400000_NS6detail17trampoline_kernelINS0_14default_configENS1_22reduce_config_selectorIN6thrust23THRUST_200600_302600_NS5tupleIblNS6_9null_typeES8_S8_S8_S8_S8_S8_S8_EEEEZNS1_11reduce_implILb1ES3_NS6_12zip_iteratorINS7_INS6_11hip_rocprim26transform_input_iterator_tIbNSD_35transform_pair_of_input_iterators_tIbNS6_6detail15normal_iteratorINS6_10device_ptrIKfEEEESL_NS6_8equal_toIfEEEENSG_9not_fun_tINSD_8identityEEEEENSD_19counting_iterator_tIlEES8_S8_S8_S8_S8_S8_S8_S8_EEEEPS9_S9_NSD_9__find_if7functorIS9_EEEE10hipError_tPvRmT1_T2_T3_mT4_P12ihipStream_tbEUlT_E1_NS1_11comp_targetILNS1_3genE4ELNS1_11target_archE910ELNS1_3gpuE8ELNS1_3repE0EEENS1_30default_config_static_selectorELNS0_4arch9wavefront6targetE0EEEvS14_.has_indirect_call, 0
	.section	.AMDGPU.csdata,"",@progbits
; Kernel info:
; codeLenInByte = 0
; TotalNumSgprs: 0
; NumVgprs: 0
; ScratchSize: 0
; MemoryBound: 0
; FloatMode: 240
; IeeeMode: 1
; LDSByteSize: 0 bytes/workgroup (compile time only)
; SGPRBlocks: 0
; VGPRBlocks: 0
; NumSGPRsForWavesPerEU: 1
; NumVGPRsForWavesPerEU: 1
; NamedBarCnt: 0
; Occupancy: 16
; WaveLimiterHint : 0
; COMPUTE_PGM_RSRC2:SCRATCH_EN: 0
; COMPUTE_PGM_RSRC2:USER_SGPR: 2
; COMPUTE_PGM_RSRC2:TRAP_HANDLER: 0
; COMPUTE_PGM_RSRC2:TGID_X_EN: 1
; COMPUTE_PGM_RSRC2:TGID_Y_EN: 0
; COMPUTE_PGM_RSRC2:TGID_Z_EN: 0
; COMPUTE_PGM_RSRC2:TIDIG_COMP_CNT: 0
	.section	.text._ZN7rocprim17ROCPRIM_400000_NS6detail17trampoline_kernelINS0_14default_configENS1_22reduce_config_selectorIN6thrust23THRUST_200600_302600_NS5tupleIblNS6_9null_typeES8_S8_S8_S8_S8_S8_S8_EEEEZNS1_11reduce_implILb1ES3_NS6_12zip_iteratorINS7_INS6_11hip_rocprim26transform_input_iterator_tIbNSD_35transform_pair_of_input_iterators_tIbNS6_6detail15normal_iteratorINS6_10device_ptrIKfEEEESL_NS6_8equal_toIfEEEENSG_9not_fun_tINSD_8identityEEEEENSD_19counting_iterator_tIlEES8_S8_S8_S8_S8_S8_S8_S8_EEEEPS9_S9_NSD_9__find_if7functorIS9_EEEE10hipError_tPvRmT1_T2_T3_mT4_P12ihipStream_tbEUlT_E1_NS1_11comp_targetILNS1_3genE3ELNS1_11target_archE908ELNS1_3gpuE7ELNS1_3repE0EEENS1_30default_config_static_selectorELNS0_4arch9wavefront6targetE0EEEvS14_,"axG",@progbits,_ZN7rocprim17ROCPRIM_400000_NS6detail17trampoline_kernelINS0_14default_configENS1_22reduce_config_selectorIN6thrust23THRUST_200600_302600_NS5tupleIblNS6_9null_typeES8_S8_S8_S8_S8_S8_S8_EEEEZNS1_11reduce_implILb1ES3_NS6_12zip_iteratorINS7_INS6_11hip_rocprim26transform_input_iterator_tIbNSD_35transform_pair_of_input_iterators_tIbNS6_6detail15normal_iteratorINS6_10device_ptrIKfEEEESL_NS6_8equal_toIfEEEENSG_9not_fun_tINSD_8identityEEEEENSD_19counting_iterator_tIlEES8_S8_S8_S8_S8_S8_S8_S8_EEEEPS9_S9_NSD_9__find_if7functorIS9_EEEE10hipError_tPvRmT1_T2_T3_mT4_P12ihipStream_tbEUlT_E1_NS1_11comp_targetILNS1_3genE3ELNS1_11target_archE908ELNS1_3gpuE7ELNS1_3repE0EEENS1_30default_config_static_selectorELNS0_4arch9wavefront6targetE0EEEvS14_,comdat
	.protected	_ZN7rocprim17ROCPRIM_400000_NS6detail17trampoline_kernelINS0_14default_configENS1_22reduce_config_selectorIN6thrust23THRUST_200600_302600_NS5tupleIblNS6_9null_typeES8_S8_S8_S8_S8_S8_S8_EEEEZNS1_11reduce_implILb1ES3_NS6_12zip_iteratorINS7_INS6_11hip_rocprim26transform_input_iterator_tIbNSD_35transform_pair_of_input_iterators_tIbNS6_6detail15normal_iteratorINS6_10device_ptrIKfEEEESL_NS6_8equal_toIfEEEENSG_9not_fun_tINSD_8identityEEEEENSD_19counting_iterator_tIlEES8_S8_S8_S8_S8_S8_S8_S8_EEEEPS9_S9_NSD_9__find_if7functorIS9_EEEE10hipError_tPvRmT1_T2_T3_mT4_P12ihipStream_tbEUlT_E1_NS1_11comp_targetILNS1_3genE3ELNS1_11target_archE908ELNS1_3gpuE7ELNS1_3repE0EEENS1_30default_config_static_selectorELNS0_4arch9wavefront6targetE0EEEvS14_ ; -- Begin function _ZN7rocprim17ROCPRIM_400000_NS6detail17trampoline_kernelINS0_14default_configENS1_22reduce_config_selectorIN6thrust23THRUST_200600_302600_NS5tupleIblNS6_9null_typeES8_S8_S8_S8_S8_S8_S8_EEEEZNS1_11reduce_implILb1ES3_NS6_12zip_iteratorINS7_INS6_11hip_rocprim26transform_input_iterator_tIbNSD_35transform_pair_of_input_iterators_tIbNS6_6detail15normal_iteratorINS6_10device_ptrIKfEEEESL_NS6_8equal_toIfEEEENSG_9not_fun_tINSD_8identityEEEEENSD_19counting_iterator_tIlEES8_S8_S8_S8_S8_S8_S8_S8_EEEEPS9_S9_NSD_9__find_if7functorIS9_EEEE10hipError_tPvRmT1_T2_T3_mT4_P12ihipStream_tbEUlT_E1_NS1_11comp_targetILNS1_3genE3ELNS1_11target_archE908ELNS1_3gpuE7ELNS1_3repE0EEENS1_30default_config_static_selectorELNS0_4arch9wavefront6targetE0EEEvS14_
	.globl	_ZN7rocprim17ROCPRIM_400000_NS6detail17trampoline_kernelINS0_14default_configENS1_22reduce_config_selectorIN6thrust23THRUST_200600_302600_NS5tupleIblNS6_9null_typeES8_S8_S8_S8_S8_S8_S8_EEEEZNS1_11reduce_implILb1ES3_NS6_12zip_iteratorINS7_INS6_11hip_rocprim26transform_input_iterator_tIbNSD_35transform_pair_of_input_iterators_tIbNS6_6detail15normal_iteratorINS6_10device_ptrIKfEEEESL_NS6_8equal_toIfEEEENSG_9not_fun_tINSD_8identityEEEEENSD_19counting_iterator_tIlEES8_S8_S8_S8_S8_S8_S8_S8_EEEEPS9_S9_NSD_9__find_if7functorIS9_EEEE10hipError_tPvRmT1_T2_T3_mT4_P12ihipStream_tbEUlT_E1_NS1_11comp_targetILNS1_3genE3ELNS1_11target_archE908ELNS1_3gpuE7ELNS1_3repE0EEENS1_30default_config_static_selectorELNS0_4arch9wavefront6targetE0EEEvS14_
	.p2align	8
	.type	_ZN7rocprim17ROCPRIM_400000_NS6detail17trampoline_kernelINS0_14default_configENS1_22reduce_config_selectorIN6thrust23THRUST_200600_302600_NS5tupleIblNS6_9null_typeES8_S8_S8_S8_S8_S8_S8_EEEEZNS1_11reduce_implILb1ES3_NS6_12zip_iteratorINS7_INS6_11hip_rocprim26transform_input_iterator_tIbNSD_35transform_pair_of_input_iterators_tIbNS6_6detail15normal_iteratorINS6_10device_ptrIKfEEEESL_NS6_8equal_toIfEEEENSG_9not_fun_tINSD_8identityEEEEENSD_19counting_iterator_tIlEES8_S8_S8_S8_S8_S8_S8_S8_EEEEPS9_S9_NSD_9__find_if7functorIS9_EEEE10hipError_tPvRmT1_T2_T3_mT4_P12ihipStream_tbEUlT_E1_NS1_11comp_targetILNS1_3genE3ELNS1_11target_archE908ELNS1_3gpuE7ELNS1_3repE0EEENS1_30default_config_static_selectorELNS0_4arch9wavefront6targetE0EEEvS14_,@function
_ZN7rocprim17ROCPRIM_400000_NS6detail17trampoline_kernelINS0_14default_configENS1_22reduce_config_selectorIN6thrust23THRUST_200600_302600_NS5tupleIblNS6_9null_typeES8_S8_S8_S8_S8_S8_S8_EEEEZNS1_11reduce_implILb1ES3_NS6_12zip_iteratorINS7_INS6_11hip_rocprim26transform_input_iterator_tIbNSD_35transform_pair_of_input_iterators_tIbNS6_6detail15normal_iteratorINS6_10device_ptrIKfEEEESL_NS6_8equal_toIfEEEENSG_9not_fun_tINSD_8identityEEEEENSD_19counting_iterator_tIlEES8_S8_S8_S8_S8_S8_S8_S8_EEEEPS9_S9_NSD_9__find_if7functorIS9_EEEE10hipError_tPvRmT1_T2_T3_mT4_P12ihipStream_tbEUlT_E1_NS1_11comp_targetILNS1_3genE3ELNS1_11target_archE908ELNS1_3gpuE7ELNS1_3repE0EEENS1_30default_config_static_selectorELNS0_4arch9wavefront6targetE0EEEvS14_: ; @_ZN7rocprim17ROCPRIM_400000_NS6detail17trampoline_kernelINS0_14default_configENS1_22reduce_config_selectorIN6thrust23THRUST_200600_302600_NS5tupleIblNS6_9null_typeES8_S8_S8_S8_S8_S8_S8_EEEEZNS1_11reduce_implILb1ES3_NS6_12zip_iteratorINS7_INS6_11hip_rocprim26transform_input_iterator_tIbNSD_35transform_pair_of_input_iterators_tIbNS6_6detail15normal_iteratorINS6_10device_ptrIKfEEEESL_NS6_8equal_toIfEEEENSG_9not_fun_tINSD_8identityEEEEENSD_19counting_iterator_tIlEES8_S8_S8_S8_S8_S8_S8_S8_EEEEPS9_S9_NSD_9__find_if7functorIS9_EEEE10hipError_tPvRmT1_T2_T3_mT4_P12ihipStream_tbEUlT_E1_NS1_11comp_targetILNS1_3genE3ELNS1_11target_archE908ELNS1_3gpuE7ELNS1_3repE0EEENS1_30default_config_static_selectorELNS0_4arch9wavefront6targetE0EEEvS14_
; %bb.0:
	.section	.rodata,"a",@progbits
	.p2align	6, 0x0
	.amdhsa_kernel _ZN7rocprim17ROCPRIM_400000_NS6detail17trampoline_kernelINS0_14default_configENS1_22reduce_config_selectorIN6thrust23THRUST_200600_302600_NS5tupleIblNS6_9null_typeES8_S8_S8_S8_S8_S8_S8_EEEEZNS1_11reduce_implILb1ES3_NS6_12zip_iteratorINS7_INS6_11hip_rocprim26transform_input_iterator_tIbNSD_35transform_pair_of_input_iterators_tIbNS6_6detail15normal_iteratorINS6_10device_ptrIKfEEEESL_NS6_8equal_toIfEEEENSG_9not_fun_tINSD_8identityEEEEENSD_19counting_iterator_tIlEES8_S8_S8_S8_S8_S8_S8_S8_EEEEPS9_S9_NSD_9__find_if7functorIS9_EEEE10hipError_tPvRmT1_T2_T3_mT4_P12ihipStream_tbEUlT_E1_NS1_11comp_targetILNS1_3genE3ELNS1_11target_archE908ELNS1_3gpuE7ELNS1_3repE0EEENS1_30default_config_static_selectorELNS0_4arch9wavefront6targetE0EEEvS14_
		.amdhsa_group_segment_fixed_size 0
		.amdhsa_private_segment_fixed_size 0
		.amdhsa_kernarg_size 88
		.amdhsa_user_sgpr_count 2
		.amdhsa_user_sgpr_dispatch_ptr 0
		.amdhsa_user_sgpr_queue_ptr 0
		.amdhsa_user_sgpr_kernarg_segment_ptr 1
		.amdhsa_user_sgpr_dispatch_id 0
		.amdhsa_user_sgpr_kernarg_preload_length 0
		.amdhsa_user_sgpr_kernarg_preload_offset 0
		.amdhsa_user_sgpr_private_segment_size 0
		.amdhsa_wavefront_size32 1
		.amdhsa_uses_dynamic_stack 0
		.amdhsa_enable_private_segment 0
		.amdhsa_system_sgpr_workgroup_id_x 1
		.amdhsa_system_sgpr_workgroup_id_y 0
		.amdhsa_system_sgpr_workgroup_id_z 0
		.amdhsa_system_sgpr_workgroup_info 0
		.amdhsa_system_vgpr_workitem_id 0
		.amdhsa_next_free_vgpr 1
		.amdhsa_next_free_sgpr 1
		.amdhsa_named_barrier_count 0
		.amdhsa_reserve_vcc 0
		.amdhsa_float_round_mode_32 0
		.amdhsa_float_round_mode_16_64 0
		.amdhsa_float_denorm_mode_32 3
		.amdhsa_float_denorm_mode_16_64 3
		.amdhsa_fp16_overflow 0
		.amdhsa_memory_ordered 1
		.amdhsa_forward_progress 1
		.amdhsa_inst_pref_size 0
		.amdhsa_round_robin_scheduling 0
		.amdhsa_exception_fp_ieee_invalid_op 0
		.amdhsa_exception_fp_denorm_src 0
		.amdhsa_exception_fp_ieee_div_zero 0
		.amdhsa_exception_fp_ieee_overflow 0
		.amdhsa_exception_fp_ieee_underflow 0
		.amdhsa_exception_fp_ieee_inexact 0
		.amdhsa_exception_int_div_zero 0
	.end_amdhsa_kernel
	.section	.text._ZN7rocprim17ROCPRIM_400000_NS6detail17trampoline_kernelINS0_14default_configENS1_22reduce_config_selectorIN6thrust23THRUST_200600_302600_NS5tupleIblNS6_9null_typeES8_S8_S8_S8_S8_S8_S8_EEEEZNS1_11reduce_implILb1ES3_NS6_12zip_iteratorINS7_INS6_11hip_rocprim26transform_input_iterator_tIbNSD_35transform_pair_of_input_iterators_tIbNS6_6detail15normal_iteratorINS6_10device_ptrIKfEEEESL_NS6_8equal_toIfEEEENSG_9not_fun_tINSD_8identityEEEEENSD_19counting_iterator_tIlEES8_S8_S8_S8_S8_S8_S8_S8_EEEEPS9_S9_NSD_9__find_if7functorIS9_EEEE10hipError_tPvRmT1_T2_T3_mT4_P12ihipStream_tbEUlT_E1_NS1_11comp_targetILNS1_3genE3ELNS1_11target_archE908ELNS1_3gpuE7ELNS1_3repE0EEENS1_30default_config_static_selectorELNS0_4arch9wavefront6targetE0EEEvS14_,"axG",@progbits,_ZN7rocprim17ROCPRIM_400000_NS6detail17trampoline_kernelINS0_14default_configENS1_22reduce_config_selectorIN6thrust23THRUST_200600_302600_NS5tupleIblNS6_9null_typeES8_S8_S8_S8_S8_S8_S8_EEEEZNS1_11reduce_implILb1ES3_NS6_12zip_iteratorINS7_INS6_11hip_rocprim26transform_input_iterator_tIbNSD_35transform_pair_of_input_iterators_tIbNS6_6detail15normal_iteratorINS6_10device_ptrIKfEEEESL_NS6_8equal_toIfEEEENSG_9not_fun_tINSD_8identityEEEEENSD_19counting_iterator_tIlEES8_S8_S8_S8_S8_S8_S8_S8_EEEEPS9_S9_NSD_9__find_if7functorIS9_EEEE10hipError_tPvRmT1_T2_T3_mT4_P12ihipStream_tbEUlT_E1_NS1_11comp_targetILNS1_3genE3ELNS1_11target_archE908ELNS1_3gpuE7ELNS1_3repE0EEENS1_30default_config_static_selectorELNS0_4arch9wavefront6targetE0EEEvS14_,comdat
.Lfunc_end89:
	.size	_ZN7rocprim17ROCPRIM_400000_NS6detail17trampoline_kernelINS0_14default_configENS1_22reduce_config_selectorIN6thrust23THRUST_200600_302600_NS5tupleIblNS6_9null_typeES8_S8_S8_S8_S8_S8_S8_EEEEZNS1_11reduce_implILb1ES3_NS6_12zip_iteratorINS7_INS6_11hip_rocprim26transform_input_iterator_tIbNSD_35transform_pair_of_input_iterators_tIbNS6_6detail15normal_iteratorINS6_10device_ptrIKfEEEESL_NS6_8equal_toIfEEEENSG_9not_fun_tINSD_8identityEEEEENSD_19counting_iterator_tIlEES8_S8_S8_S8_S8_S8_S8_S8_EEEEPS9_S9_NSD_9__find_if7functorIS9_EEEE10hipError_tPvRmT1_T2_T3_mT4_P12ihipStream_tbEUlT_E1_NS1_11comp_targetILNS1_3genE3ELNS1_11target_archE908ELNS1_3gpuE7ELNS1_3repE0EEENS1_30default_config_static_selectorELNS0_4arch9wavefront6targetE0EEEvS14_, .Lfunc_end89-_ZN7rocprim17ROCPRIM_400000_NS6detail17trampoline_kernelINS0_14default_configENS1_22reduce_config_selectorIN6thrust23THRUST_200600_302600_NS5tupleIblNS6_9null_typeES8_S8_S8_S8_S8_S8_S8_EEEEZNS1_11reduce_implILb1ES3_NS6_12zip_iteratorINS7_INS6_11hip_rocprim26transform_input_iterator_tIbNSD_35transform_pair_of_input_iterators_tIbNS6_6detail15normal_iteratorINS6_10device_ptrIKfEEEESL_NS6_8equal_toIfEEEENSG_9not_fun_tINSD_8identityEEEEENSD_19counting_iterator_tIlEES8_S8_S8_S8_S8_S8_S8_S8_EEEEPS9_S9_NSD_9__find_if7functorIS9_EEEE10hipError_tPvRmT1_T2_T3_mT4_P12ihipStream_tbEUlT_E1_NS1_11comp_targetILNS1_3genE3ELNS1_11target_archE908ELNS1_3gpuE7ELNS1_3repE0EEENS1_30default_config_static_selectorELNS0_4arch9wavefront6targetE0EEEvS14_
                                        ; -- End function
	.set _ZN7rocprim17ROCPRIM_400000_NS6detail17trampoline_kernelINS0_14default_configENS1_22reduce_config_selectorIN6thrust23THRUST_200600_302600_NS5tupleIblNS6_9null_typeES8_S8_S8_S8_S8_S8_S8_EEEEZNS1_11reduce_implILb1ES3_NS6_12zip_iteratorINS7_INS6_11hip_rocprim26transform_input_iterator_tIbNSD_35transform_pair_of_input_iterators_tIbNS6_6detail15normal_iteratorINS6_10device_ptrIKfEEEESL_NS6_8equal_toIfEEEENSG_9not_fun_tINSD_8identityEEEEENSD_19counting_iterator_tIlEES8_S8_S8_S8_S8_S8_S8_S8_EEEEPS9_S9_NSD_9__find_if7functorIS9_EEEE10hipError_tPvRmT1_T2_T3_mT4_P12ihipStream_tbEUlT_E1_NS1_11comp_targetILNS1_3genE3ELNS1_11target_archE908ELNS1_3gpuE7ELNS1_3repE0EEENS1_30default_config_static_selectorELNS0_4arch9wavefront6targetE0EEEvS14_.num_vgpr, 0
	.set _ZN7rocprim17ROCPRIM_400000_NS6detail17trampoline_kernelINS0_14default_configENS1_22reduce_config_selectorIN6thrust23THRUST_200600_302600_NS5tupleIblNS6_9null_typeES8_S8_S8_S8_S8_S8_S8_EEEEZNS1_11reduce_implILb1ES3_NS6_12zip_iteratorINS7_INS6_11hip_rocprim26transform_input_iterator_tIbNSD_35transform_pair_of_input_iterators_tIbNS6_6detail15normal_iteratorINS6_10device_ptrIKfEEEESL_NS6_8equal_toIfEEEENSG_9not_fun_tINSD_8identityEEEEENSD_19counting_iterator_tIlEES8_S8_S8_S8_S8_S8_S8_S8_EEEEPS9_S9_NSD_9__find_if7functorIS9_EEEE10hipError_tPvRmT1_T2_T3_mT4_P12ihipStream_tbEUlT_E1_NS1_11comp_targetILNS1_3genE3ELNS1_11target_archE908ELNS1_3gpuE7ELNS1_3repE0EEENS1_30default_config_static_selectorELNS0_4arch9wavefront6targetE0EEEvS14_.num_agpr, 0
	.set _ZN7rocprim17ROCPRIM_400000_NS6detail17trampoline_kernelINS0_14default_configENS1_22reduce_config_selectorIN6thrust23THRUST_200600_302600_NS5tupleIblNS6_9null_typeES8_S8_S8_S8_S8_S8_S8_EEEEZNS1_11reduce_implILb1ES3_NS6_12zip_iteratorINS7_INS6_11hip_rocprim26transform_input_iterator_tIbNSD_35transform_pair_of_input_iterators_tIbNS6_6detail15normal_iteratorINS6_10device_ptrIKfEEEESL_NS6_8equal_toIfEEEENSG_9not_fun_tINSD_8identityEEEEENSD_19counting_iterator_tIlEES8_S8_S8_S8_S8_S8_S8_S8_EEEEPS9_S9_NSD_9__find_if7functorIS9_EEEE10hipError_tPvRmT1_T2_T3_mT4_P12ihipStream_tbEUlT_E1_NS1_11comp_targetILNS1_3genE3ELNS1_11target_archE908ELNS1_3gpuE7ELNS1_3repE0EEENS1_30default_config_static_selectorELNS0_4arch9wavefront6targetE0EEEvS14_.numbered_sgpr, 0
	.set _ZN7rocprim17ROCPRIM_400000_NS6detail17trampoline_kernelINS0_14default_configENS1_22reduce_config_selectorIN6thrust23THRUST_200600_302600_NS5tupleIblNS6_9null_typeES8_S8_S8_S8_S8_S8_S8_EEEEZNS1_11reduce_implILb1ES3_NS6_12zip_iteratorINS7_INS6_11hip_rocprim26transform_input_iterator_tIbNSD_35transform_pair_of_input_iterators_tIbNS6_6detail15normal_iteratorINS6_10device_ptrIKfEEEESL_NS6_8equal_toIfEEEENSG_9not_fun_tINSD_8identityEEEEENSD_19counting_iterator_tIlEES8_S8_S8_S8_S8_S8_S8_S8_EEEEPS9_S9_NSD_9__find_if7functorIS9_EEEE10hipError_tPvRmT1_T2_T3_mT4_P12ihipStream_tbEUlT_E1_NS1_11comp_targetILNS1_3genE3ELNS1_11target_archE908ELNS1_3gpuE7ELNS1_3repE0EEENS1_30default_config_static_selectorELNS0_4arch9wavefront6targetE0EEEvS14_.num_named_barrier, 0
	.set _ZN7rocprim17ROCPRIM_400000_NS6detail17trampoline_kernelINS0_14default_configENS1_22reduce_config_selectorIN6thrust23THRUST_200600_302600_NS5tupleIblNS6_9null_typeES8_S8_S8_S8_S8_S8_S8_EEEEZNS1_11reduce_implILb1ES3_NS6_12zip_iteratorINS7_INS6_11hip_rocprim26transform_input_iterator_tIbNSD_35transform_pair_of_input_iterators_tIbNS6_6detail15normal_iteratorINS6_10device_ptrIKfEEEESL_NS6_8equal_toIfEEEENSG_9not_fun_tINSD_8identityEEEEENSD_19counting_iterator_tIlEES8_S8_S8_S8_S8_S8_S8_S8_EEEEPS9_S9_NSD_9__find_if7functorIS9_EEEE10hipError_tPvRmT1_T2_T3_mT4_P12ihipStream_tbEUlT_E1_NS1_11comp_targetILNS1_3genE3ELNS1_11target_archE908ELNS1_3gpuE7ELNS1_3repE0EEENS1_30default_config_static_selectorELNS0_4arch9wavefront6targetE0EEEvS14_.private_seg_size, 0
	.set _ZN7rocprim17ROCPRIM_400000_NS6detail17trampoline_kernelINS0_14default_configENS1_22reduce_config_selectorIN6thrust23THRUST_200600_302600_NS5tupleIblNS6_9null_typeES8_S8_S8_S8_S8_S8_S8_EEEEZNS1_11reduce_implILb1ES3_NS6_12zip_iteratorINS7_INS6_11hip_rocprim26transform_input_iterator_tIbNSD_35transform_pair_of_input_iterators_tIbNS6_6detail15normal_iteratorINS6_10device_ptrIKfEEEESL_NS6_8equal_toIfEEEENSG_9not_fun_tINSD_8identityEEEEENSD_19counting_iterator_tIlEES8_S8_S8_S8_S8_S8_S8_S8_EEEEPS9_S9_NSD_9__find_if7functorIS9_EEEE10hipError_tPvRmT1_T2_T3_mT4_P12ihipStream_tbEUlT_E1_NS1_11comp_targetILNS1_3genE3ELNS1_11target_archE908ELNS1_3gpuE7ELNS1_3repE0EEENS1_30default_config_static_selectorELNS0_4arch9wavefront6targetE0EEEvS14_.uses_vcc, 0
	.set _ZN7rocprim17ROCPRIM_400000_NS6detail17trampoline_kernelINS0_14default_configENS1_22reduce_config_selectorIN6thrust23THRUST_200600_302600_NS5tupleIblNS6_9null_typeES8_S8_S8_S8_S8_S8_S8_EEEEZNS1_11reduce_implILb1ES3_NS6_12zip_iteratorINS7_INS6_11hip_rocprim26transform_input_iterator_tIbNSD_35transform_pair_of_input_iterators_tIbNS6_6detail15normal_iteratorINS6_10device_ptrIKfEEEESL_NS6_8equal_toIfEEEENSG_9not_fun_tINSD_8identityEEEEENSD_19counting_iterator_tIlEES8_S8_S8_S8_S8_S8_S8_S8_EEEEPS9_S9_NSD_9__find_if7functorIS9_EEEE10hipError_tPvRmT1_T2_T3_mT4_P12ihipStream_tbEUlT_E1_NS1_11comp_targetILNS1_3genE3ELNS1_11target_archE908ELNS1_3gpuE7ELNS1_3repE0EEENS1_30default_config_static_selectorELNS0_4arch9wavefront6targetE0EEEvS14_.uses_flat_scratch, 0
	.set _ZN7rocprim17ROCPRIM_400000_NS6detail17trampoline_kernelINS0_14default_configENS1_22reduce_config_selectorIN6thrust23THRUST_200600_302600_NS5tupleIblNS6_9null_typeES8_S8_S8_S8_S8_S8_S8_EEEEZNS1_11reduce_implILb1ES3_NS6_12zip_iteratorINS7_INS6_11hip_rocprim26transform_input_iterator_tIbNSD_35transform_pair_of_input_iterators_tIbNS6_6detail15normal_iteratorINS6_10device_ptrIKfEEEESL_NS6_8equal_toIfEEEENSG_9not_fun_tINSD_8identityEEEEENSD_19counting_iterator_tIlEES8_S8_S8_S8_S8_S8_S8_S8_EEEEPS9_S9_NSD_9__find_if7functorIS9_EEEE10hipError_tPvRmT1_T2_T3_mT4_P12ihipStream_tbEUlT_E1_NS1_11comp_targetILNS1_3genE3ELNS1_11target_archE908ELNS1_3gpuE7ELNS1_3repE0EEENS1_30default_config_static_selectorELNS0_4arch9wavefront6targetE0EEEvS14_.has_dyn_sized_stack, 0
	.set _ZN7rocprim17ROCPRIM_400000_NS6detail17trampoline_kernelINS0_14default_configENS1_22reduce_config_selectorIN6thrust23THRUST_200600_302600_NS5tupleIblNS6_9null_typeES8_S8_S8_S8_S8_S8_S8_EEEEZNS1_11reduce_implILb1ES3_NS6_12zip_iteratorINS7_INS6_11hip_rocprim26transform_input_iterator_tIbNSD_35transform_pair_of_input_iterators_tIbNS6_6detail15normal_iteratorINS6_10device_ptrIKfEEEESL_NS6_8equal_toIfEEEENSG_9not_fun_tINSD_8identityEEEEENSD_19counting_iterator_tIlEES8_S8_S8_S8_S8_S8_S8_S8_EEEEPS9_S9_NSD_9__find_if7functorIS9_EEEE10hipError_tPvRmT1_T2_T3_mT4_P12ihipStream_tbEUlT_E1_NS1_11comp_targetILNS1_3genE3ELNS1_11target_archE908ELNS1_3gpuE7ELNS1_3repE0EEENS1_30default_config_static_selectorELNS0_4arch9wavefront6targetE0EEEvS14_.has_recursion, 0
	.set _ZN7rocprim17ROCPRIM_400000_NS6detail17trampoline_kernelINS0_14default_configENS1_22reduce_config_selectorIN6thrust23THRUST_200600_302600_NS5tupleIblNS6_9null_typeES8_S8_S8_S8_S8_S8_S8_EEEEZNS1_11reduce_implILb1ES3_NS6_12zip_iteratorINS7_INS6_11hip_rocprim26transform_input_iterator_tIbNSD_35transform_pair_of_input_iterators_tIbNS6_6detail15normal_iteratorINS6_10device_ptrIKfEEEESL_NS6_8equal_toIfEEEENSG_9not_fun_tINSD_8identityEEEEENSD_19counting_iterator_tIlEES8_S8_S8_S8_S8_S8_S8_S8_EEEEPS9_S9_NSD_9__find_if7functorIS9_EEEE10hipError_tPvRmT1_T2_T3_mT4_P12ihipStream_tbEUlT_E1_NS1_11comp_targetILNS1_3genE3ELNS1_11target_archE908ELNS1_3gpuE7ELNS1_3repE0EEENS1_30default_config_static_selectorELNS0_4arch9wavefront6targetE0EEEvS14_.has_indirect_call, 0
	.section	.AMDGPU.csdata,"",@progbits
; Kernel info:
; codeLenInByte = 0
; TotalNumSgprs: 0
; NumVgprs: 0
; ScratchSize: 0
; MemoryBound: 0
; FloatMode: 240
; IeeeMode: 1
; LDSByteSize: 0 bytes/workgroup (compile time only)
; SGPRBlocks: 0
; VGPRBlocks: 0
; NumSGPRsForWavesPerEU: 1
; NumVGPRsForWavesPerEU: 1
; NamedBarCnt: 0
; Occupancy: 16
; WaveLimiterHint : 0
; COMPUTE_PGM_RSRC2:SCRATCH_EN: 0
; COMPUTE_PGM_RSRC2:USER_SGPR: 2
; COMPUTE_PGM_RSRC2:TRAP_HANDLER: 0
; COMPUTE_PGM_RSRC2:TGID_X_EN: 1
; COMPUTE_PGM_RSRC2:TGID_Y_EN: 0
; COMPUTE_PGM_RSRC2:TGID_Z_EN: 0
; COMPUTE_PGM_RSRC2:TIDIG_COMP_CNT: 0
	.section	.text._ZN7rocprim17ROCPRIM_400000_NS6detail17trampoline_kernelINS0_14default_configENS1_22reduce_config_selectorIN6thrust23THRUST_200600_302600_NS5tupleIblNS6_9null_typeES8_S8_S8_S8_S8_S8_S8_EEEEZNS1_11reduce_implILb1ES3_NS6_12zip_iteratorINS7_INS6_11hip_rocprim26transform_input_iterator_tIbNSD_35transform_pair_of_input_iterators_tIbNS6_6detail15normal_iteratorINS6_10device_ptrIKfEEEESL_NS6_8equal_toIfEEEENSG_9not_fun_tINSD_8identityEEEEENSD_19counting_iterator_tIlEES8_S8_S8_S8_S8_S8_S8_S8_EEEEPS9_S9_NSD_9__find_if7functorIS9_EEEE10hipError_tPvRmT1_T2_T3_mT4_P12ihipStream_tbEUlT_E1_NS1_11comp_targetILNS1_3genE2ELNS1_11target_archE906ELNS1_3gpuE6ELNS1_3repE0EEENS1_30default_config_static_selectorELNS0_4arch9wavefront6targetE0EEEvS14_,"axG",@progbits,_ZN7rocprim17ROCPRIM_400000_NS6detail17trampoline_kernelINS0_14default_configENS1_22reduce_config_selectorIN6thrust23THRUST_200600_302600_NS5tupleIblNS6_9null_typeES8_S8_S8_S8_S8_S8_S8_EEEEZNS1_11reduce_implILb1ES3_NS6_12zip_iteratorINS7_INS6_11hip_rocprim26transform_input_iterator_tIbNSD_35transform_pair_of_input_iterators_tIbNS6_6detail15normal_iteratorINS6_10device_ptrIKfEEEESL_NS6_8equal_toIfEEEENSG_9not_fun_tINSD_8identityEEEEENSD_19counting_iterator_tIlEES8_S8_S8_S8_S8_S8_S8_S8_EEEEPS9_S9_NSD_9__find_if7functorIS9_EEEE10hipError_tPvRmT1_T2_T3_mT4_P12ihipStream_tbEUlT_E1_NS1_11comp_targetILNS1_3genE2ELNS1_11target_archE906ELNS1_3gpuE6ELNS1_3repE0EEENS1_30default_config_static_selectorELNS0_4arch9wavefront6targetE0EEEvS14_,comdat
	.protected	_ZN7rocprim17ROCPRIM_400000_NS6detail17trampoline_kernelINS0_14default_configENS1_22reduce_config_selectorIN6thrust23THRUST_200600_302600_NS5tupleIblNS6_9null_typeES8_S8_S8_S8_S8_S8_S8_EEEEZNS1_11reduce_implILb1ES3_NS6_12zip_iteratorINS7_INS6_11hip_rocprim26transform_input_iterator_tIbNSD_35transform_pair_of_input_iterators_tIbNS6_6detail15normal_iteratorINS6_10device_ptrIKfEEEESL_NS6_8equal_toIfEEEENSG_9not_fun_tINSD_8identityEEEEENSD_19counting_iterator_tIlEES8_S8_S8_S8_S8_S8_S8_S8_EEEEPS9_S9_NSD_9__find_if7functorIS9_EEEE10hipError_tPvRmT1_T2_T3_mT4_P12ihipStream_tbEUlT_E1_NS1_11comp_targetILNS1_3genE2ELNS1_11target_archE906ELNS1_3gpuE6ELNS1_3repE0EEENS1_30default_config_static_selectorELNS0_4arch9wavefront6targetE0EEEvS14_ ; -- Begin function _ZN7rocprim17ROCPRIM_400000_NS6detail17trampoline_kernelINS0_14default_configENS1_22reduce_config_selectorIN6thrust23THRUST_200600_302600_NS5tupleIblNS6_9null_typeES8_S8_S8_S8_S8_S8_S8_EEEEZNS1_11reduce_implILb1ES3_NS6_12zip_iteratorINS7_INS6_11hip_rocprim26transform_input_iterator_tIbNSD_35transform_pair_of_input_iterators_tIbNS6_6detail15normal_iteratorINS6_10device_ptrIKfEEEESL_NS6_8equal_toIfEEEENSG_9not_fun_tINSD_8identityEEEEENSD_19counting_iterator_tIlEES8_S8_S8_S8_S8_S8_S8_S8_EEEEPS9_S9_NSD_9__find_if7functorIS9_EEEE10hipError_tPvRmT1_T2_T3_mT4_P12ihipStream_tbEUlT_E1_NS1_11comp_targetILNS1_3genE2ELNS1_11target_archE906ELNS1_3gpuE6ELNS1_3repE0EEENS1_30default_config_static_selectorELNS0_4arch9wavefront6targetE0EEEvS14_
	.globl	_ZN7rocprim17ROCPRIM_400000_NS6detail17trampoline_kernelINS0_14default_configENS1_22reduce_config_selectorIN6thrust23THRUST_200600_302600_NS5tupleIblNS6_9null_typeES8_S8_S8_S8_S8_S8_S8_EEEEZNS1_11reduce_implILb1ES3_NS6_12zip_iteratorINS7_INS6_11hip_rocprim26transform_input_iterator_tIbNSD_35transform_pair_of_input_iterators_tIbNS6_6detail15normal_iteratorINS6_10device_ptrIKfEEEESL_NS6_8equal_toIfEEEENSG_9not_fun_tINSD_8identityEEEEENSD_19counting_iterator_tIlEES8_S8_S8_S8_S8_S8_S8_S8_EEEEPS9_S9_NSD_9__find_if7functorIS9_EEEE10hipError_tPvRmT1_T2_T3_mT4_P12ihipStream_tbEUlT_E1_NS1_11comp_targetILNS1_3genE2ELNS1_11target_archE906ELNS1_3gpuE6ELNS1_3repE0EEENS1_30default_config_static_selectorELNS0_4arch9wavefront6targetE0EEEvS14_
	.p2align	8
	.type	_ZN7rocprim17ROCPRIM_400000_NS6detail17trampoline_kernelINS0_14default_configENS1_22reduce_config_selectorIN6thrust23THRUST_200600_302600_NS5tupleIblNS6_9null_typeES8_S8_S8_S8_S8_S8_S8_EEEEZNS1_11reduce_implILb1ES3_NS6_12zip_iteratorINS7_INS6_11hip_rocprim26transform_input_iterator_tIbNSD_35transform_pair_of_input_iterators_tIbNS6_6detail15normal_iteratorINS6_10device_ptrIKfEEEESL_NS6_8equal_toIfEEEENSG_9not_fun_tINSD_8identityEEEEENSD_19counting_iterator_tIlEES8_S8_S8_S8_S8_S8_S8_S8_EEEEPS9_S9_NSD_9__find_if7functorIS9_EEEE10hipError_tPvRmT1_T2_T3_mT4_P12ihipStream_tbEUlT_E1_NS1_11comp_targetILNS1_3genE2ELNS1_11target_archE906ELNS1_3gpuE6ELNS1_3repE0EEENS1_30default_config_static_selectorELNS0_4arch9wavefront6targetE0EEEvS14_,@function
_ZN7rocprim17ROCPRIM_400000_NS6detail17trampoline_kernelINS0_14default_configENS1_22reduce_config_selectorIN6thrust23THRUST_200600_302600_NS5tupleIblNS6_9null_typeES8_S8_S8_S8_S8_S8_S8_EEEEZNS1_11reduce_implILb1ES3_NS6_12zip_iteratorINS7_INS6_11hip_rocprim26transform_input_iterator_tIbNSD_35transform_pair_of_input_iterators_tIbNS6_6detail15normal_iteratorINS6_10device_ptrIKfEEEESL_NS6_8equal_toIfEEEENSG_9not_fun_tINSD_8identityEEEEENSD_19counting_iterator_tIlEES8_S8_S8_S8_S8_S8_S8_S8_EEEEPS9_S9_NSD_9__find_if7functorIS9_EEEE10hipError_tPvRmT1_T2_T3_mT4_P12ihipStream_tbEUlT_E1_NS1_11comp_targetILNS1_3genE2ELNS1_11target_archE906ELNS1_3gpuE6ELNS1_3repE0EEENS1_30default_config_static_selectorELNS0_4arch9wavefront6targetE0EEEvS14_: ; @_ZN7rocprim17ROCPRIM_400000_NS6detail17trampoline_kernelINS0_14default_configENS1_22reduce_config_selectorIN6thrust23THRUST_200600_302600_NS5tupleIblNS6_9null_typeES8_S8_S8_S8_S8_S8_S8_EEEEZNS1_11reduce_implILb1ES3_NS6_12zip_iteratorINS7_INS6_11hip_rocprim26transform_input_iterator_tIbNSD_35transform_pair_of_input_iterators_tIbNS6_6detail15normal_iteratorINS6_10device_ptrIKfEEEESL_NS6_8equal_toIfEEEENSG_9not_fun_tINSD_8identityEEEEENSD_19counting_iterator_tIlEES8_S8_S8_S8_S8_S8_S8_S8_EEEEPS9_S9_NSD_9__find_if7functorIS9_EEEE10hipError_tPvRmT1_T2_T3_mT4_P12ihipStream_tbEUlT_E1_NS1_11comp_targetILNS1_3genE2ELNS1_11target_archE906ELNS1_3gpuE6ELNS1_3repE0EEENS1_30default_config_static_selectorELNS0_4arch9wavefront6targetE0EEEvS14_
; %bb.0:
	.section	.rodata,"a",@progbits
	.p2align	6, 0x0
	.amdhsa_kernel _ZN7rocprim17ROCPRIM_400000_NS6detail17trampoline_kernelINS0_14default_configENS1_22reduce_config_selectorIN6thrust23THRUST_200600_302600_NS5tupleIblNS6_9null_typeES8_S8_S8_S8_S8_S8_S8_EEEEZNS1_11reduce_implILb1ES3_NS6_12zip_iteratorINS7_INS6_11hip_rocprim26transform_input_iterator_tIbNSD_35transform_pair_of_input_iterators_tIbNS6_6detail15normal_iteratorINS6_10device_ptrIKfEEEESL_NS6_8equal_toIfEEEENSG_9not_fun_tINSD_8identityEEEEENSD_19counting_iterator_tIlEES8_S8_S8_S8_S8_S8_S8_S8_EEEEPS9_S9_NSD_9__find_if7functorIS9_EEEE10hipError_tPvRmT1_T2_T3_mT4_P12ihipStream_tbEUlT_E1_NS1_11comp_targetILNS1_3genE2ELNS1_11target_archE906ELNS1_3gpuE6ELNS1_3repE0EEENS1_30default_config_static_selectorELNS0_4arch9wavefront6targetE0EEEvS14_
		.amdhsa_group_segment_fixed_size 0
		.amdhsa_private_segment_fixed_size 0
		.amdhsa_kernarg_size 88
		.amdhsa_user_sgpr_count 2
		.amdhsa_user_sgpr_dispatch_ptr 0
		.amdhsa_user_sgpr_queue_ptr 0
		.amdhsa_user_sgpr_kernarg_segment_ptr 1
		.amdhsa_user_sgpr_dispatch_id 0
		.amdhsa_user_sgpr_kernarg_preload_length 0
		.amdhsa_user_sgpr_kernarg_preload_offset 0
		.amdhsa_user_sgpr_private_segment_size 0
		.amdhsa_wavefront_size32 1
		.amdhsa_uses_dynamic_stack 0
		.amdhsa_enable_private_segment 0
		.amdhsa_system_sgpr_workgroup_id_x 1
		.amdhsa_system_sgpr_workgroup_id_y 0
		.amdhsa_system_sgpr_workgroup_id_z 0
		.amdhsa_system_sgpr_workgroup_info 0
		.amdhsa_system_vgpr_workitem_id 0
		.amdhsa_next_free_vgpr 1
		.amdhsa_next_free_sgpr 1
		.amdhsa_named_barrier_count 0
		.amdhsa_reserve_vcc 0
		.amdhsa_float_round_mode_32 0
		.amdhsa_float_round_mode_16_64 0
		.amdhsa_float_denorm_mode_32 3
		.amdhsa_float_denorm_mode_16_64 3
		.amdhsa_fp16_overflow 0
		.amdhsa_memory_ordered 1
		.amdhsa_forward_progress 1
		.amdhsa_inst_pref_size 0
		.amdhsa_round_robin_scheduling 0
		.amdhsa_exception_fp_ieee_invalid_op 0
		.amdhsa_exception_fp_denorm_src 0
		.amdhsa_exception_fp_ieee_div_zero 0
		.amdhsa_exception_fp_ieee_overflow 0
		.amdhsa_exception_fp_ieee_underflow 0
		.amdhsa_exception_fp_ieee_inexact 0
		.amdhsa_exception_int_div_zero 0
	.end_amdhsa_kernel
	.section	.text._ZN7rocprim17ROCPRIM_400000_NS6detail17trampoline_kernelINS0_14default_configENS1_22reduce_config_selectorIN6thrust23THRUST_200600_302600_NS5tupleIblNS6_9null_typeES8_S8_S8_S8_S8_S8_S8_EEEEZNS1_11reduce_implILb1ES3_NS6_12zip_iteratorINS7_INS6_11hip_rocprim26transform_input_iterator_tIbNSD_35transform_pair_of_input_iterators_tIbNS6_6detail15normal_iteratorINS6_10device_ptrIKfEEEESL_NS6_8equal_toIfEEEENSG_9not_fun_tINSD_8identityEEEEENSD_19counting_iterator_tIlEES8_S8_S8_S8_S8_S8_S8_S8_EEEEPS9_S9_NSD_9__find_if7functorIS9_EEEE10hipError_tPvRmT1_T2_T3_mT4_P12ihipStream_tbEUlT_E1_NS1_11comp_targetILNS1_3genE2ELNS1_11target_archE906ELNS1_3gpuE6ELNS1_3repE0EEENS1_30default_config_static_selectorELNS0_4arch9wavefront6targetE0EEEvS14_,"axG",@progbits,_ZN7rocprim17ROCPRIM_400000_NS6detail17trampoline_kernelINS0_14default_configENS1_22reduce_config_selectorIN6thrust23THRUST_200600_302600_NS5tupleIblNS6_9null_typeES8_S8_S8_S8_S8_S8_S8_EEEEZNS1_11reduce_implILb1ES3_NS6_12zip_iteratorINS7_INS6_11hip_rocprim26transform_input_iterator_tIbNSD_35transform_pair_of_input_iterators_tIbNS6_6detail15normal_iteratorINS6_10device_ptrIKfEEEESL_NS6_8equal_toIfEEEENSG_9not_fun_tINSD_8identityEEEEENSD_19counting_iterator_tIlEES8_S8_S8_S8_S8_S8_S8_S8_EEEEPS9_S9_NSD_9__find_if7functorIS9_EEEE10hipError_tPvRmT1_T2_T3_mT4_P12ihipStream_tbEUlT_E1_NS1_11comp_targetILNS1_3genE2ELNS1_11target_archE906ELNS1_3gpuE6ELNS1_3repE0EEENS1_30default_config_static_selectorELNS0_4arch9wavefront6targetE0EEEvS14_,comdat
.Lfunc_end90:
	.size	_ZN7rocprim17ROCPRIM_400000_NS6detail17trampoline_kernelINS0_14default_configENS1_22reduce_config_selectorIN6thrust23THRUST_200600_302600_NS5tupleIblNS6_9null_typeES8_S8_S8_S8_S8_S8_S8_EEEEZNS1_11reduce_implILb1ES3_NS6_12zip_iteratorINS7_INS6_11hip_rocprim26transform_input_iterator_tIbNSD_35transform_pair_of_input_iterators_tIbNS6_6detail15normal_iteratorINS6_10device_ptrIKfEEEESL_NS6_8equal_toIfEEEENSG_9not_fun_tINSD_8identityEEEEENSD_19counting_iterator_tIlEES8_S8_S8_S8_S8_S8_S8_S8_EEEEPS9_S9_NSD_9__find_if7functorIS9_EEEE10hipError_tPvRmT1_T2_T3_mT4_P12ihipStream_tbEUlT_E1_NS1_11comp_targetILNS1_3genE2ELNS1_11target_archE906ELNS1_3gpuE6ELNS1_3repE0EEENS1_30default_config_static_selectorELNS0_4arch9wavefront6targetE0EEEvS14_, .Lfunc_end90-_ZN7rocprim17ROCPRIM_400000_NS6detail17trampoline_kernelINS0_14default_configENS1_22reduce_config_selectorIN6thrust23THRUST_200600_302600_NS5tupleIblNS6_9null_typeES8_S8_S8_S8_S8_S8_S8_EEEEZNS1_11reduce_implILb1ES3_NS6_12zip_iteratorINS7_INS6_11hip_rocprim26transform_input_iterator_tIbNSD_35transform_pair_of_input_iterators_tIbNS6_6detail15normal_iteratorINS6_10device_ptrIKfEEEESL_NS6_8equal_toIfEEEENSG_9not_fun_tINSD_8identityEEEEENSD_19counting_iterator_tIlEES8_S8_S8_S8_S8_S8_S8_S8_EEEEPS9_S9_NSD_9__find_if7functorIS9_EEEE10hipError_tPvRmT1_T2_T3_mT4_P12ihipStream_tbEUlT_E1_NS1_11comp_targetILNS1_3genE2ELNS1_11target_archE906ELNS1_3gpuE6ELNS1_3repE0EEENS1_30default_config_static_selectorELNS0_4arch9wavefront6targetE0EEEvS14_
                                        ; -- End function
	.set _ZN7rocprim17ROCPRIM_400000_NS6detail17trampoline_kernelINS0_14default_configENS1_22reduce_config_selectorIN6thrust23THRUST_200600_302600_NS5tupleIblNS6_9null_typeES8_S8_S8_S8_S8_S8_S8_EEEEZNS1_11reduce_implILb1ES3_NS6_12zip_iteratorINS7_INS6_11hip_rocprim26transform_input_iterator_tIbNSD_35transform_pair_of_input_iterators_tIbNS6_6detail15normal_iteratorINS6_10device_ptrIKfEEEESL_NS6_8equal_toIfEEEENSG_9not_fun_tINSD_8identityEEEEENSD_19counting_iterator_tIlEES8_S8_S8_S8_S8_S8_S8_S8_EEEEPS9_S9_NSD_9__find_if7functorIS9_EEEE10hipError_tPvRmT1_T2_T3_mT4_P12ihipStream_tbEUlT_E1_NS1_11comp_targetILNS1_3genE2ELNS1_11target_archE906ELNS1_3gpuE6ELNS1_3repE0EEENS1_30default_config_static_selectorELNS0_4arch9wavefront6targetE0EEEvS14_.num_vgpr, 0
	.set _ZN7rocprim17ROCPRIM_400000_NS6detail17trampoline_kernelINS0_14default_configENS1_22reduce_config_selectorIN6thrust23THRUST_200600_302600_NS5tupleIblNS6_9null_typeES8_S8_S8_S8_S8_S8_S8_EEEEZNS1_11reduce_implILb1ES3_NS6_12zip_iteratorINS7_INS6_11hip_rocprim26transform_input_iterator_tIbNSD_35transform_pair_of_input_iterators_tIbNS6_6detail15normal_iteratorINS6_10device_ptrIKfEEEESL_NS6_8equal_toIfEEEENSG_9not_fun_tINSD_8identityEEEEENSD_19counting_iterator_tIlEES8_S8_S8_S8_S8_S8_S8_S8_EEEEPS9_S9_NSD_9__find_if7functorIS9_EEEE10hipError_tPvRmT1_T2_T3_mT4_P12ihipStream_tbEUlT_E1_NS1_11comp_targetILNS1_3genE2ELNS1_11target_archE906ELNS1_3gpuE6ELNS1_3repE0EEENS1_30default_config_static_selectorELNS0_4arch9wavefront6targetE0EEEvS14_.num_agpr, 0
	.set _ZN7rocprim17ROCPRIM_400000_NS6detail17trampoline_kernelINS0_14default_configENS1_22reduce_config_selectorIN6thrust23THRUST_200600_302600_NS5tupleIblNS6_9null_typeES8_S8_S8_S8_S8_S8_S8_EEEEZNS1_11reduce_implILb1ES3_NS6_12zip_iteratorINS7_INS6_11hip_rocprim26transform_input_iterator_tIbNSD_35transform_pair_of_input_iterators_tIbNS6_6detail15normal_iteratorINS6_10device_ptrIKfEEEESL_NS6_8equal_toIfEEEENSG_9not_fun_tINSD_8identityEEEEENSD_19counting_iterator_tIlEES8_S8_S8_S8_S8_S8_S8_S8_EEEEPS9_S9_NSD_9__find_if7functorIS9_EEEE10hipError_tPvRmT1_T2_T3_mT4_P12ihipStream_tbEUlT_E1_NS1_11comp_targetILNS1_3genE2ELNS1_11target_archE906ELNS1_3gpuE6ELNS1_3repE0EEENS1_30default_config_static_selectorELNS0_4arch9wavefront6targetE0EEEvS14_.numbered_sgpr, 0
	.set _ZN7rocprim17ROCPRIM_400000_NS6detail17trampoline_kernelINS0_14default_configENS1_22reduce_config_selectorIN6thrust23THRUST_200600_302600_NS5tupleIblNS6_9null_typeES8_S8_S8_S8_S8_S8_S8_EEEEZNS1_11reduce_implILb1ES3_NS6_12zip_iteratorINS7_INS6_11hip_rocprim26transform_input_iterator_tIbNSD_35transform_pair_of_input_iterators_tIbNS6_6detail15normal_iteratorINS6_10device_ptrIKfEEEESL_NS6_8equal_toIfEEEENSG_9not_fun_tINSD_8identityEEEEENSD_19counting_iterator_tIlEES8_S8_S8_S8_S8_S8_S8_S8_EEEEPS9_S9_NSD_9__find_if7functorIS9_EEEE10hipError_tPvRmT1_T2_T3_mT4_P12ihipStream_tbEUlT_E1_NS1_11comp_targetILNS1_3genE2ELNS1_11target_archE906ELNS1_3gpuE6ELNS1_3repE0EEENS1_30default_config_static_selectorELNS0_4arch9wavefront6targetE0EEEvS14_.num_named_barrier, 0
	.set _ZN7rocprim17ROCPRIM_400000_NS6detail17trampoline_kernelINS0_14default_configENS1_22reduce_config_selectorIN6thrust23THRUST_200600_302600_NS5tupleIblNS6_9null_typeES8_S8_S8_S8_S8_S8_S8_EEEEZNS1_11reduce_implILb1ES3_NS6_12zip_iteratorINS7_INS6_11hip_rocprim26transform_input_iterator_tIbNSD_35transform_pair_of_input_iterators_tIbNS6_6detail15normal_iteratorINS6_10device_ptrIKfEEEESL_NS6_8equal_toIfEEEENSG_9not_fun_tINSD_8identityEEEEENSD_19counting_iterator_tIlEES8_S8_S8_S8_S8_S8_S8_S8_EEEEPS9_S9_NSD_9__find_if7functorIS9_EEEE10hipError_tPvRmT1_T2_T3_mT4_P12ihipStream_tbEUlT_E1_NS1_11comp_targetILNS1_3genE2ELNS1_11target_archE906ELNS1_3gpuE6ELNS1_3repE0EEENS1_30default_config_static_selectorELNS0_4arch9wavefront6targetE0EEEvS14_.private_seg_size, 0
	.set _ZN7rocprim17ROCPRIM_400000_NS6detail17trampoline_kernelINS0_14default_configENS1_22reduce_config_selectorIN6thrust23THRUST_200600_302600_NS5tupleIblNS6_9null_typeES8_S8_S8_S8_S8_S8_S8_EEEEZNS1_11reduce_implILb1ES3_NS6_12zip_iteratorINS7_INS6_11hip_rocprim26transform_input_iterator_tIbNSD_35transform_pair_of_input_iterators_tIbNS6_6detail15normal_iteratorINS6_10device_ptrIKfEEEESL_NS6_8equal_toIfEEEENSG_9not_fun_tINSD_8identityEEEEENSD_19counting_iterator_tIlEES8_S8_S8_S8_S8_S8_S8_S8_EEEEPS9_S9_NSD_9__find_if7functorIS9_EEEE10hipError_tPvRmT1_T2_T3_mT4_P12ihipStream_tbEUlT_E1_NS1_11comp_targetILNS1_3genE2ELNS1_11target_archE906ELNS1_3gpuE6ELNS1_3repE0EEENS1_30default_config_static_selectorELNS0_4arch9wavefront6targetE0EEEvS14_.uses_vcc, 0
	.set _ZN7rocprim17ROCPRIM_400000_NS6detail17trampoline_kernelINS0_14default_configENS1_22reduce_config_selectorIN6thrust23THRUST_200600_302600_NS5tupleIblNS6_9null_typeES8_S8_S8_S8_S8_S8_S8_EEEEZNS1_11reduce_implILb1ES3_NS6_12zip_iteratorINS7_INS6_11hip_rocprim26transform_input_iterator_tIbNSD_35transform_pair_of_input_iterators_tIbNS6_6detail15normal_iteratorINS6_10device_ptrIKfEEEESL_NS6_8equal_toIfEEEENSG_9not_fun_tINSD_8identityEEEEENSD_19counting_iterator_tIlEES8_S8_S8_S8_S8_S8_S8_S8_EEEEPS9_S9_NSD_9__find_if7functorIS9_EEEE10hipError_tPvRmT1_T2_T3_mT4_P12ihipStream_tbEUlT_E1_NS1_11comp_targetILNS1_3genE2ELNS1_11target_archE906ELNS1_3gpuE6ELNS1_3repE0EEENS1_30default_config_static_selectorELNS0_4arch9wavefront6targetE0EEEvS14_.uses_flat_scratch, 0
	.set _ZN7rocprim17ROCPRIM_400000_NS6detail17trampoline_kernelINS0_14default_configENS1_22reduce_config_selectorIN6thrust23THRUST_200600_302600_NS5tupleIblNS6_9null_typeES8_S8_S8_S8_S8_S8_S8_EEEEZNS1_11reduce_implILb1ES3_NS6_12zip_iteratorINS7_INS6_11hip_rocprim26transform_input_iterator_tIbNSD_35transform_pair_of_input_iterators_tIbNS6_6detail15normal_iteratorINS6_10device_ptrIKfEEEESL_NS6_8equal_toIfEEEENSG_9not_fun_tINSD_8identityEEEEENSD_19counting_iterator_tIlEES8_S8_S8_S8_S8_S8_S8_S8_EEEEPS9_S9_NSD_9__find_if7functorIS9_EEEE10hipError_tPvRmT1_T2_T3_mT4_P12ihipStream_tbEUlT_E1_NS1_11comp_targetILNS1_3genE2ELNS1_11target_archE906ELNS1_3gpuE6ELNS1_3repE0EEENS1_30default_config_static_selectorELNS0_4arch9wavefront6targetE0EEEvS14_.has_dyn_sized_stack, 0
	.set _ZN7rocprim17ROCPRIM_400000_NS6detail17trampoline_kernelINS0_14default_configENS1_22reduce_config_selectorIN6thrust23THRUST_200600_302600_NS5tupleIblNS6_9null_typeES8_S8_S8_S8_S8_S8_S8_EEEEZNS1_11reduce_implILb1ES3_NS6_12zip_iteratorINS7_INS6_11hip_rocprim26transform_input_iterator_tIbNSD_35transform_pair_of_input_iterators_tIbNS6_6detail15normal_iteratorINS6_10device_ptrIKfEEEESL_NS6_8equal_toIfEEEENSG_9not_fun_tINSD_8identityEEEEENSD_19counting_iterator_tIlEES8_S8_S8_S8_S8_S8_S8_S8_EEEEPS9_S9_NSD_9__find_if7functorIS9_EEEE10hipError_tPvRmT1_T2_T3_mT4_P12ihipStream_tbEUlT_E1_NS1_11comp_targetILNS1_3genE2ELNS1_11target_archE906ELNS1_3gpuE6ELNS1_3repE0EEENS1_30default_config_static_selectorELNS0_4arch9wavefront6targetE0EEEvS14_.has_recursion, 0
	.set _ZN7rocprim17ROCPRIM_400000_NS6detail17trampoline_kernelINS0_14default_configENS1_22reduce_config_selectorIN6thrust23THRUST_200600_302600_NS5tupleIblNS6_9null_typeES8_S8_S8_S8_S8_S8_S8_EEEEZNS1_11reduce_implILb1ES3_NS6_12zip_iteratorINS7_INS6_11hip_rocprim26transform_input_iterator_tIbNSD_35transform_pair_of_input_iterators_tIbNS6_6detail15normal_iteratorINS6_10device_ptrIKfEEEESL_NS6_8equal_toIfEEEENSG_9not_fun_tINSD_8identityEEEEENSD_19counting_iterator_tIlEES8_S8_S8_S8_S8_S8_S8_S8_EEEEPS9_S9_NSD_9__find_if7functorIS9_EEEE10hipError_tPvRmT1_T2_T3_mT4_P12ihipStream_tbEUlT_E1_NS1_11comp_targetILNS1_3genE2ELNS1_11target_archE906ELNS1_3gpuE6ELNS1_3repE0EEENS1_30default_config_static_selectorELNS0_4arch9wavefront6targetE0EEEvS14_.has_indirect_call, 0
	.section	.AMDGPU.csdata,"",@progbits
; Kernel info:
; codeLenInByte = 0
; TotalNumSgprs: 0
; NumVgprs: 0
; ScratchSize: 0
; MemoryBound: 0
; FloatMode: 240
; IeeeMode: 1
; LDSByteSize: 0 bytes/workgroup (compile time only)
; SGPRBlocks: 0
; VGPRBlocks: 0
; NumSGPRsForWavesPerEU: 1
; NumVGPRsForWavesPerEU: 1
; NamedBarCnt: 0
; Occupancy: 16
; WaveLimiterHint : 0
; COMPUTE_PGM_RSRC2:SCRATCH_EN: 0
; COMPUTE_PGM_RSRC2:USER_SGPR: 2
; COMPUTE_PGM_RSRC2:TRAP_HANDLER: 0
; COMPUTE_PGM_RSRC2:TGID_X_EN: 1
; COMPUTE_PGM_RSRC2:TGID_Y_EN: 0
; COMPUTE_PGM_RSRC2:TGID_Z_EN: 0
; COMPUTE_PGM_RSRC2:TIDIG_COMP_CNT: 0
	.section	.text._ZN7rocprim17ROCPRIM_400000_NS6detail17trampoline_kernelINS0_14default_configENS1_22reduce_config_selectorIN6thrust23THRUST_200600_302600_NS5tupleIblNS6_9null_typeES8_S8_S8_S8_S8_S8_S8_EEEEZNS1_11reduce_implILb1ES3_NS6_12zip_iteratorINS7_INS6_11hip_rocprim26transform_input_iterator_tIbNSD_35transform_pair_of_input_iterators_tIbNS6_6detail15normal_iteratorINS6_10device_ptrIKfEEEESL_NS6_8equal_toIfEEEENSG_9not_fun_tINSD_8identityEEEEENSD_19counting_iterator_tIlEES8_S8_S8_S8_S8_S8_S8_S8_EEEEPS9_S9_NSD_9__find_if7functorIS9_EEEE10hipError_tPvRmT1_T2_T3_mT4_P12ihipStream_tbEUlT_E1_NS1_11comp_targetILNS1_3genE10ELNS1_11target_archE1201ELNS1_3gpuE5ELNS1_3repE0EEENS1_30default_config_static_selectorELNS0_4arch9wavefront6targetE0EEEvS14_,"axG",@progbits,_ZN7rocprim17ROCPRIM_400000_NS6detail17trampoline_kernelINS0_14default_configENS1_22reduce_config_selectorIN6thrust23THRUST_200600_302600_NS5tupleIblNS6_9null_typeES8_S8_S8_S8_S8_S8_S8_EEEEZNS1_11reduce_implILb1ES3_NS6_12zip_iteratorINS7_INS6_11hip_rocprim26transform_input_iterator_tIbNSD_35transform_pair_of_input_iterators_tIbNS6_6detail15normal_iteratorINS6_10device_ptrIKfEEEESL_NS6_8equal_toIfEEEENSG_9not_fun_tINSD_8identityEEEEENSD_19counting_iterator_tIlEES8_S8_S8_S8_S8_S8_S8_S8_EEEEPS9_S9_NSD_9__find_if7functorIS9_EEEE10hipError_tPvRmT1_T2_T3_mT4_P12ihipStream_tbEUlT_E1_NS1_11comp_targetILNS1_3genE10ELNS1_11target_archE1201ELNS1_3gpuE5ELNS1_3repE0EEENS1_30default_config_static_selectorELNS0_4arch9wavefront6targetE0EEEvS14_,comdat
	.protected	_ZN7rocprim17ROCPRIM_400000_NS6detail17trampoline_kernelINS0_14default_configENS1_22reduce_config_selectorIN6thrust23THRUST_200600_302600_NS5tupleIblNS6_9null_typeES8_S8_S8_S8_S8_S8_S8_EEEEZNS1_11reduce_implILb1ES3_NS6_12zip_iteratorINS7_INS6_11hip_rocprim26transform_input_iterator_tIbNSD_35transform_pair_of_input_iterators_tIbNS6_6detail15normal_iteratorINS6_10device_ptrIKfEEEESL_NS6_8equal_toIfEEEENSG_9not_fun_tINSD_8identityEEEEENSD_19counting_iterator_tIlEES8_S8_S8_S8_S8_S8_S8_S8_EEEEPS9_S9_NSD_9__find_if7functorIS9_EEEE10hipError_tPvRmT1_T2_T3_mT4_P12ihipStream_tbEUlT_E1_NS1_11comp_targetILNS1_3genE10ELNS1_11target_archE1201ELNS1_3gpuE5ELNS1_3repE0EEENS1_30default_config_static_selectorELNS0_4arch9wavefront6targetE0EEEvS14_ ; -- Begin function _ZN7rocprim17ROCPRIM_400000_NS6detail17trampoline_kernelINS0_14default_configENS1_22reduce_config_selectorIN6thrust23THRUST_200600_302600_NS5tupleIblNS6_9null_typeES8_S8_S8_S8_S8_S8_S8_EEEEZNS1_11reduce_implILb1ES3_NS6_12zip_iteratorINS7_INS6_11hip_rocprim26transform_input_iterator_tIbNSD_35transform_pair_of_input_iterators_tIbNS6_6detail15normal_iteratorINS6_10device_ptrIKfEEEESL_NS6_8equal_toIfEEEENSG_9not_fun_tINSD_8identityEEEEENSD_19counting_iterator_tIlEES8_S8_S8_S8_S8_S8_S8_S8_EEEEPS9_S9_NSD_9__find_if7functorIS9_EEEE10hipError_tPvRmT1_T2_T3_mT4_P12ihipStream_tbEUlT_E1_NS1_11comp_targetILNS1_3genE10ELNS1_11target_archE1201ELNS1_3gpuE5ELNS1_3repE0EEENS1_30default_config_static_selectorELNS0_4arch9wavefront6targetE0EEEvS14_
	.globl	_ZN7rocprim17ROCPRIM_400000_NS6detail17trampoline_kernelINS0_14default_configENS1_22reduce_config_selectorIN6thrust23THRUST_200600_302600_NS5tupleIblNS6_9null_typeES8_S8_S8_S8_S8_S8_S8_EEEEZNS1_11reduce_implILb1ES3_NS6_12zip_iteratorINS7_INS6_11hip_rocprim26transform_input_iterator_tIbNSD_35transform_pair_of_input_iterators_tIbNS6_6detail15normal_iteratorINS6_10device_ptrIKfEEEESL_NS6_8equal_toIfEEEENSG_9not_fun_tINSD_8identityEEEEENSD_19counting_iterator_tIlEES8_S8_S8_S8_S8_S8_S8_S8_EEEEPS9_S9_NSD_9__find_if7functorIS9_EEEE10hipError_tPvRmT1_T2_T3_mT4_P12ihipStream_tbEUlT_E1_NS1_11comp_targetILNS1_3genE10ELNS1_11target_archE1201ELNS1_3gpuE5ELNS1_3repE0EEENS1_30default_config_static_selectorELNS0_4arch9wavefront6targetE0EEEvS14_
	.p2align	8
	.type	_ZN7rocprim17ROCPRIM_400000_NS6detail17trampoline_kernelINS0_14default_configENS1_22reduce_config_selectorIN6thrust23THRUST_200600_302600_NS5tupleIblNS6_9null_typeES8_S8_S8_S8_S8_S8_S8_EEEEZNS1_11reduce_implILb1ES3_NS6_12zip_iteratorINS7_INS6_11hip_rocprim26transform_input_iterator_tIbNSD_35transform_pair_of_input_iterators_tIbNS6_6detail15normal_iteratorINS6_10device_ptrIKfEEEESL_NS6_8equal_toIfEEEENSG_9not_fun_tINSD_8identityEEEEENSD_19counting_iterator_tIlEES8_S8_S8_S8_S8_S8_S8_S8_EEEEPS9_S9_NSD_9__find_if7functorIS9_EEEE10hipError_tPvRmT1_T2_T3_mT4_P12ihipStream_tbEUlT_E1_NS1_11comp_targetILNS1_3genE10ELNS1_11target_archE1201ELNS1_3gpuE5ELNS1_3repE0EEENS1_30default_config_static_selectorELNS0_4arch9wavefront6targetE0EEEvS14_,@function
_ZN7rocprim17ROCPRIM_400000_NS6detail17trampoline_kernelINS0_14default_configENS1_22reduce_config_selectorIN6thrust23THRUST_200600_302600_NS5tupleIblNS6_9null_typeES8_S8_S8_S8_S8_S8_S8_EEEEZNS1_11reduce_implILb1ES3_NS6_12zip_iteratorINS7_INS6_11hip_rocprim26transform_input_iterator_tIbNSD_35transform_pair_of_input_iterators_tIbNS6_6detail15normal_iteratorINS6_10device_ptrIKfEEEESL_NS6_8equal_toIfEEEENSG_9not_fun_tINSD_8identityEEEEENSD_19counting_iterator_tIlEES8_S8_S8_S8_S8_S8_S8_S8_EEEEPS9_S9_NSD_9__find_if7functorIS9_EEEE10hipError_tPvRmT1_T2_T3_mT4_P12ihipStream_tbEUlT_E1_NS1_11comp_targetILNS1_3genE10ELNS1_11target_archE1201ELNS1_3gpuE5ELNS1_3repE0EEENS1_30default_config_static_selectorELNS0_4arch9wavefront6targetE0EEEvS14_: ; @_ZN7rocprim17ROCPRIM_400000_NS6detail17trampoline_kernelINS0_14default_configENS1_22reduce_config_selectorIN6thrust23THRUST_200600_302600_NS5tupleIblNS6_9null_typeES8_S8_S8_S8_S8_S8_S8_EEEEZNS1_11reduce_implILb1ES3_NS6_12zip_iteratorINS7_INS6_11hip_rocprim26transform_input_iterator_tIbNSD_35transform_pair_of_input_iterators_tIbNS6_6detail15normal_iteratorINS6_10device_ptrIKfEEEESL_NS6_8equal_toIfEEEENSG_9not_fun_tINSD_8identityEEEEENSD_19counting_iterator_tIlEES8_S8_S8_S8_S8_S8_S8_S8_EEEEPS9_S9_NSD_9__find_if7functorIS9_EEEE10hipError_tPvRmT1_T2_T3_mT4_P12ihipStream_tbEUlT_E1_NS1_11comp_targetILNS1_3genE10ELNS1_11target_archE1201ELNS1_3gpuE5ELNS1_3repE0EEENS1_30default_config_static_selectorELNS0_4arch9wavefront6targetE0EEEvS14_
; %bb.0:
	.section	.rodata,"a",@progbits
	.p2align	6, 0x0
	.amdhsa_kernel _ZN7rocprim17ROCPRIM_400000_NS6detail17trampoline_kernelINS0_14default_configENS1_22reduce_config_selectorIN6thrust23THRUST_200600_302600_NS5tupleIblNS6_9null_typeES8_S8_S8_S8_S8_S8_S8_EEEEZNS1_11reduce_implILb1ES3_NS6_12zip_iteratorINS7_INS6_11hip_rocprim26transform_input_iterator_tIbNSD_35transform_pair_of_input_iterators_tIbNS6_6detail15normal_iteratorINS6_10device_ptrIKfEEEESL_NS6_8equal_toIfEEEENSG_9not_fun_tINSD_8identityEEEEENSD_19counting_iterator_tIlEES8_S8_S8_S8_S8_S8_S8_S8_EEEEPS9_S9_NSD_9__find_if7functorIS9_EEEE10hipError_tPvRmT1_T2_T3_mT4_P12ihipStream_tbEUlT_E1_NS1_11comp_targetILNS1_3genE10ELNS1_11target_archE1201ELNS1_3gpuE5ELNS1_3repE0EEENS1_30default_config_static_selectorELNS0_4arch9wavefront6targetE0EEEvS14_
		.amdhsa_group_segment_fixed_size 0
		.amdhsa_private_segment_fixed_size 0
		.amdhsa_kernarg_size 88
		.amdhsa_user_sgpr_count 2
		.amdhsa_user_sgpr_dispatch_ptr 0
		.amdhsa_user_sgpr_queue_ptr 0
		.amdhsa_user_sgpr_kernarg_segment_ptr 1
		.amdhsa_user_sgpr_dispatch_id 0
		.amdhsa_user_sgpr_kernarg_preload_length 0
		.amdhsa_user_sgpr_kernarg_preload_offset 0
		.amdhsa_user_sgpr_private_segment_size 0
		.amdhsa_wavefront_size32 1
		.amdhsa_uses_dynamic_stack 0
		.amdhsa_enable_private_segment 0
		.amdhsa_system_sgpr_workgroup_id_x 1
		.amdhsa_system_sgpr_workgroup_id_y 0
		.amdhsa_system_sgpr_workgroup_id_z 0
		.amdhsa_system_sgpr_workgroup_info 0
		.amdhsa_system_vgpr_workitem_id 0
		.amdhsa_next_free_vgpr 1
		.amdhsa_next_free_sgpr 1
		.amdhsa_named_barrier_count 0
		.amdhsa_reserve_vcc 0
		.amdhsa_float_round_mode_32 0
		.amdhsa_float_round_mode_16_64 0
		.amdhsa_float_denorm_mode_32 3
		.amdhsa_float_denorm_mode_16_64 3
		.amdhsa_fp16_overflow 0
		.amdhsa_memory_ordered 1
		.amdhsa_forward_progress 1
		.amdhsa_inst_pref_size 0
		.amdhsa_round_robin_scheduling 0
		.amdhsa_exception_fp_ieee_invalid_op 0
		.amdhsa_exception_fp_denorm_src 0
		.amdhsa_exception_fp_ieee_div_zero 0
		.amdhsa_exception_fp_ieee_overflow 0
		.amdhsa_exception_fp_ieee_underflow 0
		.amdhsa_exception_fp_ieee_inexact 0
		.amdhsa_exception_int_div_zero 0
	.end_amdhsa_kernel
	.section	.text._ZN7rocprim17ROCPRIM_400000_NS6detail17trampoline_kernelINS0_14default_configENS1_22reduce_config_selectorIN6thrust23THRUST_200600_302600_NS5tupleIblNS6_9null_typeES8_S8_S8_S8_S8_S8_S8_EEEEZNS1_11reduce_implILb1ES3_NS6_12zip_iteratorINS7_INS6_11hip_rocprim26transform_input_iterator_tIbNSD_35transform_pair_of_input_iterators_tIbNS6_6detail15normal_iteratorINS6_10device_ptrIKfEEEESL_NS6_8equal_toIfEEEENSG_9not_fun_tINSD_8identityEEEEENSD_19counting_iterator_tIlEES8_S8_S8_S8_S8_S8_S8_S8_EEEEPS9_S9_NSD_9__find_if7functorIS9_EEEE10hipError_tPvRmT1_T2_T3_mT4_P12ihipStream_tbEUlT_E1_NS1_11comp_targetILNS1_3genE10ELNS1_11target_archE1201ELNS1_3gpuE5ELNS1_3repE0EEENS1_30default_config_static_selectorELNS0_4arch9wavefront6targetE0EEEvS14_,"axG",@progbits,_ZN7rocprim17ROCPRIM_400000_NS6detail17trampoline_kernelINS0_14default_configENS1_22reduce_config_selectorIN6thrust23THRUST_200600_302600_NS5tupleIblNS6_9null_typeES8_S8_S8_S8_S8_S8_S8_EEEEZNS1_11reduce_implILb1ES3_NS6_12zip_iteratorINS7_INS6_11hip_rocprim26transform_input_iterator_tIbNSD_35transform_pair_of_input_iterators_tIbNS6_6detail15normal_iteratorINS6_10device_ptrIKfEEEESL_NS6_8equal_toIfEEEENSG_9not_fun_tINSD_8identityEEEEENSD_19counting_iterator_tIlEES8_S8_S8_S8_S8_S8_S8_S8_EEEEPS9_S9_NSD_9__find_if7functorIS9_EEEE10hipError_tPvRmT1_T2_T3_mT4_P12ihipStream_tbEUlT_E1_NS1_11comp_targetILNS1_3genE10ELNS1_11target_archE1201ELNS1_3gpuE5ELNS1_3repE0EEENS1_30default_config_static_selectorELNS0_4arch9wavefront6targetE0EEEvS14_,comdat
.Lfunc_end91:
	.size	_ZN7rocprim17ROCPRIM_400000_NS6detail17trampoline_kernelINS0_14default_configENS1_22reduce_config_selectorIN6thrust23THRUST_200600_302600_NS5tupleIblNS6_9null_typeES8_S8_S8_S8_S8_S8_S8_EEEEZNS1_11reduce_implILb1ES3_NS6_12zip_iteratorINS7_INS6_11hip_rocprim26transform_input_iterator_tIbNSD_35transform_pair_of_input_iterators_tIbNS6_6detail15normal_iteratorINS6_10device_ptrIKfEEEESL_NS6_8equal_toIfEEEENSG_9not_fun_tINSD_8identityEEEEENSD_19counting_iterator_tIlEES8_S8_S8_S8_S8_S8_S8_S8_EEEEPS9_S9_NSD_9__find_if7functorIS9_EEEE10hipError_tPvRmT1_T2_T3_mT4_P12ihipStream_tbEUlT_E1_NS1_11comp_targetILNS1_3genE10ELNS1_11target_archE1201ELNS1_3gpuE5ELNS1_3repE0EEENS1_30default_config_static_selectorELNS0_4arch9wavefront6targetE0EEEvS14_, .Lfunc_end91-_ZN7rocprim17ROCPRIM_400000_NS6detail17trampoline_kernelINS0_14default_configENS1_22reduce_config_selectorIN6thrust23THRUST_200600_302600_NS5tupleIblNS6_9null_typeES8_S8_S8_S8_S8_S8_S8_EEEEZNS1_11reduce_implILb1ES3_NS6_12zip_iteratorINS7_INS6_11hip_rocprim26transform_input_iterator_tIbNSD_35transform_pair_of_input_iterators_tIbNS6_6detail15normal_iteratorINS6_10device_ptrIKfEEEESL_NS6_8equal_toIfEEEENSG_9not_fun_tINSD_8identityEEEEENSD_19counting_iterator_tIlEES8_S8_S8_S8_S8_S8_S8_S8_EEEEPS9_S9_NSD_9__find_if7functorIS9_EEEE10hipError_tPvRmT1_T2_T3_mT4_P12ihipStream_tbEUlT_E1_NS1_11comp_targetILNS1_3genE10ELNS1_11target_archE1201ELNS1_3gpuE5ELNS1_3repE0EEENS1_30default_config_static_selectorELNS0_4arch9wavefront6targetE0EEEvS14_
                                        ; -- End function
	.set _ZN7rocprim17ROCPRIM_400000_NS6detail17trampoline_kernelINS0_14default_configENS1_22reduce_config_selectorIN6thrust23THRUST_200600_302600_NS5tupleIblNS6_9null_typeES8_S8_S8_S8_S8_S8_S8_EEEEZNS1_11reduce_implILb1ES3_NS6_12zip_iteratorINS7_INS6_11hip_rocprim26transform_input_iterator_tIbNSD_35transform_pair_of_input_iterators_tIbNS6_6detail15normal_iteratorINS6_10device_ptrIKfEEEESL_NS6_8equal_toIfEEEENSG_9not_fun_tINSD_8identityEEEEENSD_19counting_iterator_tIlEES8_S8_S8_S8_S8_S8_S8_S8_EEEEPS9_S9_NSD_9__find_if7functorIS9_EEEE10hipError_tPvRmT1_T2_T3_mT4_P12ihipStream_tbEUlT_E1_NS1_11comp_targetILNS1_3genE10ELNS1_11target_archE1201ELNS1_3gpuE5ELNS1_3repE0EEENS1_30default_config_static_selectorELNS0_4arch9wavefront6targetE0EEEvS14_.num_vgpr, 0
	.set _ZN7rocprim17ROCPRIM_400000_NS6detail17trampoline_kernelINS0_14default_configENS1_22reduce_config_selectorIN6thrust23THRUST_200600_302600_NS5tupleIblNS6_9null_typeES8_S8_S8_S8_S8_S8_S8_EEEEZNS1_11reduce_implILb1ES3_NS6_12zip_iteratorINS7_INS6_11hip_rocprim26transform_input_iterator_tIbNSD_35transform_pair_of_input_iterators_tIbNS6_6detail15normal_iteratorINS6_10device_ptrIKfEEEESL_NS6_8equal_toIfEEEENSG_9not_fun_tINSD_8identityEEEEENSD_19counting_iterator_tIlEES8_S8_S8_S8_S8_S8_S8_S8_EEEEPS9_S9_NSD_9__find_if7functorIS9_EEEE10hipError_tPvRmT1_T2_T3_mT4_P12ihipStream_tbEUlT_E1_NS1_11comp_targetILNS1_3genE10ELNS1_11target_archE1201ELNS1_3gpuE5ELNS1_3repE0EEENS1_30default_config_static_selectorELNS0_4arch9wavefront6targetE0EEEvS14_.num_agpr, 0
	.set _ZN7rocprim17ROCPRIM_400000_NS6detail17trampoline_kernelINS0_14default_configENS1_22reduce_config_selectorIN6thrust23THRUST_200600_302600_NS5tupleIblNS6_9null_typeES8_S8_S8_S8_S8_S8_S8_EEEEZNS1_11reduce_implILb1ES3_NS6_12zip_iteratorINS7_INS6_11hip_rocprim26transform_input_iterator_tIbNSD_35transform_pair_of_input_iterators_tIbNS6_6detail15normal_iteratorINS6_10device_ptrIKfEEEESL_NS6_8equal_toIfEEEENSG_9not_fun_tINSD_8identityEEEEENSD_19counting_iterator_tIlEES8_S8_S8_S8_S8_S8_S8_S8_EEEEPS9_S9_NSD_9__find_if7functorIS9_EEEE10hipError_tPvRmT1_T2_T3_mT4_P12ihipStream_tbEUlT_E1_NS1_11comp_targetILNS1_3genE10ELNS1_11target_archE1201ELNS1_3gpuE5ELNS1_3repE0EEENS1_30default_config_static_selectorELNS0_4arch9wavefront6targetE0EEEvS14_.numbered_sgpr, 0
	.set _ZN7rocprim17ROCPRIM_400000_NS6detail17trampoline_kernelINS0_14default_configENS1_22reduce_config_selectorIN6thrust23THRUST_200600_302600_NS5tupleIblNS6_9null_typeES8_S8_S8_S8_S8_S8_S8_EEEEZNS1_11reduce_implILb1ES3_NS6_12zip_iteratorINS7_INS6_11hip_rocprim26transform_input_iterator_tIbNSD_35transform_pair_of_input_iterators_tIbNS6_6detail15normal_iteratorINS6_10device_ptrIKfEEEESL_NS6_8equal_toIfEEEENSG_9not_fun_tINSD_8identityEEEEENSD_19counting_iterator_tIlEES8_S8_S8_S8_S8_S8_S8_S8_EEEEPS9_S9_NSD_9__find_if7functorIS9_EEEE10hipError_tPvRmT1_T2_T3_mT4_P12ihipStream_tbEUlT_E1_NS1_11comp_targetILNS1_3genE10ELNS1_11target_archE1201ELNS1_3gpuE5ELNS1_3repE0EEENS1_30default_config_static_selectorELNS0_4arch9wavefront6targetE0EEEvS14_.num_named_barrier, 0
	.set _ZN7rocprim17ROCPRIM_400000_NS6detail17trampoline_kernelINS0_14default_configENS1_22reduce_config_selectorIN6thrust23THRUST_200600_302600_NS5tupleIblNS6_9null_typeES8_S8_S8_S8_S8_S8_S8_EEEEZNS1_11reduce_implILb1ES3_NS6_12zip_iteratorINS7_INS6_11hip_rocprim26transform_input_iterator_tIbNSD_35transform_pair_of_input_iterators_tIbNS6_6detail15normal_iteratorINS6_10device_ptrIKfEEEESL_NS6_8equal_toIfEEEENSG_9not_fun_tINSD_8identityEEEEENSD_19counting_iterator_tIlEES8_S8_S8_S8_S8_S8_S8_S8_EEEEPS9_S9_NSD_9__find_if7functorIS9_EEEE10hipError_tPvRmT1_T2_T3_mT4_P12ihipStream_tbEUlT_E1_NS1_11comp_targetILNS1_3genE10ELNS1_11target_archE1201ELNS1_3gpuE5ELNS1_3repE0EEENS1_30default_config_static_selectorELNS0_4arch9wavefront6targetE0EEEvS14_.private_seg_size, 0
	.set _ZN7rocprim17ROCPRIM_400000_NS6detail17trampoline_kernelINS0_14default_configENS1_22reduce_config_selectorIN6thrust23THRUST_200600_302600_NS5tupleIblNS6_9null_typeES8_S8_S8_S8_S8_S8_S8_EEEEZNS1_11reduce_implILb1ES3_NS6_12zip_iteratorINS7_INS6_11hip_rocprim26transform_input_iterator_tIbNSD_35transform_pair_of_input_iterators_tIbNS6_6detail15normal_iteratorINS6_10device_ptrIKfEEEESL_NS6_8equal_toIfEEEENSG_9not_fun_tINSD_8identityEEEEENSD_19counting_iterator_tIlEES8_S8_S8_S8_S8_S8_S8_S8_EEEEPS9_S9_NSD_9__find_if7functorIS9_EEEE10hipError_tPvRmT1_T2_T3_mT4_P12ihipStream_tbEUlT_E1_NS1_11comp_targetILNS1_3genE10ELNS1_11target_archE1201ELNS1_3gpuE5ELNS1_3repE0EEENS1_30default_config_static_selectorELNS0_4arch9wavefront6targetE0EEEvS14_.uses_vcc, 0
	.set _ZN7rocprim17ROCPRIM_400000_NS6detail17trampoline_kernelINS0_14default_configENS1_22reduce_config_selectorIN6thrust23THRUST_200600_302600_NS5tupleIblNS6_9null_typeES8_S8_S8_S8_S8_S8_S8_EEEEZNS1_11reduce_implILb1ES3_NS6_12zip_iteratorINS7_INS6_11hip_rocprim26transform_input_iterator_tIbNSD_35transform_pair_of_input_iterators_tIbNS6_6detail15normal_iteratorINS6_10device_ptrIKfEEEESL_NS6_8equal_toIfEEEENSG_9not_fun_tINSD_8identityEEEEENSD_19counting_iterator_tIlEES8_S8_S8_S8_S8_S8_S8_S8_EEEEPS9_S9_NSD_9__find_if7functorIS9_EEEE10hipError_tPvRmT1_T2_T3_mT4_P12ihipStream_tbEUlT_E1_NS1_11comp_targetILNS1_3genE10ELNS1_11target_archE1201ELNS1_3gpuE5ELNS1_3repE0EEENS1_30default_config_static_selectorELNS0_4arch9wavefront6targetE0EEEvS14_.uses_flat_scratch, 0
	.set _ZN7rocprim17ROCPRIM_400000_NS6detail17trampoline_kernelINS0_14default_configENS1_22reduce_config_selectorIN6thrust23THRUST_200600_302600_NS5tupleIblNS6_9null_typeES8_S8_S8_S8_S8_S8_S8_EEEEZNS1_11reduce_implILb1ES3_NS6_12zip_iteratorINS7_INS6_11hip_rocprim26transform_input_iterator_tIbNSD_35transform_pair_of_input_iterators_tIbNS6_6detail15normal_iteratorINS6_10device_ptrIKfEEEESL_NS6_8equal_toIfEEEENSG_9not_fun_tINSD_8identityEEEEENSD_19counting_iterator_tIlEES8_S8_S8_S8_S8_S8_S8_S8_EEEEPS9_S9_NSD_9__find_if7functorIS9_EEEE10hipError_tPvRmT1_T2_T3_mT4_P12ihipStream_tbEUlT_E1_NS1_11comp_targetILNS1_3genE10ELNS1_11target_archE1201ELNS1_3gpuE5ELNS1_3repE0EEENS1_30default_config_static_selectorELNS0_4arch9wavefront6targetE0EEEvS14_.has_dyn_sized_stack, 0
	.set _ZN7rocprim17ROCPRIM_400000_NS6detail17trampoline_kernelINS0_14default_configENS1_22reduce_config_selectorIN6thrust23THRUST_200600_302600_NS5tupleIblNS6_9null_typeES8_S8_S8_S8_S8_S8_S8_EEEEZNS1_11reduce_implILb1ES3_NS6_12zip_iteratorINS7_INS6_11hip_rocprim26transform_input_iterator_tIbNSD_35transform_pair_of_input_iterators_tIbNS6_6detail15normal_iteratorINS6_10device_ptrIKfEEEESL_NS6_8equal_toIfEEEENSG_9not_fun_tINSD_8identityEEEEENSD_19counting_iterator_tIlEES8_S8_S8_S8_S8_S8_S8_S8_EEEEPS9_S9_NSD_9__find_if7functorIS9_EEEE10hipError_tPvRmT1_T2_T3_mT4_P12ihipStream_tbEUlT_E1_NS1_11comp_targetILNS1_3genE10ELNS1_11target_archE1201ELNS1_3gpuE5ELNS1_3repE0EEENS1_30default_config_static_selectorELNS0_4arch9wavefront6targetE0EEEvS14_.has_recursion, 0
	.set _ZN7rocprim17ROCPRIM_400000_NS6detail17trampoline_kernelINS0_14default_configENS1_22reduce_config_selectorIN6thrust23THRUST_200600_302600_NS5tupleIblNS6_9null_typeES8_S8_S8_S8_S8_S8_S8_EEEEZNS1_11reduce_implILb1ES3_NS6_12zip_iteratorINS7_INS6_11hip_rocprim26transform_input_iterator_tIbNSD_35transform_pair_of_input_iterators_tIbNS6_6detail15normal_iteratorINS6_10device_ptrIKfEEEESL_NS6_8equal_toIfEEEENSG_9not_fun_tINSD_8identityEEEEENSD_19counting_iterator_tIlEES8_S8_S8_S8_S8_S8_S8_S8_EEEEPS9_S9_NSD_9__find_if7functorIS9_EEEE10hipError_tPvRmT1_T2_T3_mT4_P12ihipStream_tbEUlT_E1_NS1_11comp_targetILNS1_3genE10ELNS1_11target_archE1201ELNS1_3gpuE5ELNS1_3repE0EEENS1_30default_config_static_selectorELNS0_4arch9wavefront6targetE0EEEvS14_.has_indirect_call, 0
	.section	.AMDGPU.csdata,"",@progbits
; Kernel info:
; codeLenInByte = 0
; TotalNumSgprs: 0
; NumVgprs: 0
; ScratchSize: 0
; MemoryBound: 0
; FloatMode: 240
; IeeeMode: 1
; LDSByteSize: 0 bytes/workgroup (compile time only)
; SGPRBlocks: 0
; VGPRBlocks: 0
; NumSGPRsForWavesPerEU: 1
; NumVGPRsForWavesPerEU: 1
; NamedBarCnt: 0
; Occupancy: 16
; WaveLimiterHint : 0
; COMPUTE_PGM_RSRC2:SCRATCH_EN: 0
; COMPUTE_PGM_RSRC2:USER_SGPR: 2
; COMPUTE_PGM_RSRC2:TRAP_HANDLER: 0
; COMPUTE_PGM_RSRC2:TGID_X_EN: 1
; COMPUTE_PGM_RSRC2:TGID_Y_EN: 0
; COMPUTE_PGM_RSRC2:TGID_Z_EN: 0
; COMPUTE_PGM_RSRC2:TIDIG_COMP_CNT: 0
	.section	.text._ZN7rocprim17ROCPRIM_400000_NS6detail17trampoline_kernelINS0_14default_configENS1_22reduce_config_selectorIN6thrust23THRUST_200600_302600_NS5tupleIblNS6_9null_typeES8_S8_S8_S8_S8_S8_S8_EEEEZNS1_11reduce_implILb1ES3_NS6_12zip_iteratorINS7_INS6_11hip_rocprim26transform_input_iterator_tIbNSD_35transform_pair_of_input_iterators_tIbNS6_6detail15normal_iteratorINS6_10device_ptrIKfEEEESL_NS6_8equal_toIfEEEENSG_9not_fun_tINSD_8identityEEEEENSD_19counting_iterator_tIlEES8_S8_S8_S8_S8_S8_S8_S8_EEEEPS9_S9_NSD_9__find_if7functorIS9_EEEE10hipError_tPvRmT1_T2_T3_mT4_P12ihipStream_tbEUlT_E1_NS1_11comp_targetILNS1_3genE10ELNS1_11target_archE1200ELNS1_3gpuE4ELNS1_3repE0EEENS1_30default_config_static_selectorELNS0_4arch9wavefront6targetE0EEEvS14_,"axG",@progbits,_ZN7rocprim17ROCPRIM_400000_NS6detail17trampoline_kernelINS0_14default_configENS1_22reduce_config_selectorIN6thrust23THRUST_200600_302600_NS5tupleIblNS6_9null_typeES8_S8_S8_S8_S8_S8_S8_EEEEZNS1_11reduce_implILb1ES3_NS6_12zip_iteratorINS7_INS6_11hip_rocprim26transform_input_iterator_tIbNSD_35transform_pair_of_input_iterators_tIbNS6_6detail15normal_iteratorINS6_10device_ptrIKfEEEESL_NS6_8equal_toIfEEEENSG_9not_fun_tINSD_8identityEEEEENSD_19counting_iterator_tIlEES8_S8_S8_S8_S8_S8_S8_S8_EEEEPS9_S9_NSD_9__find_if7functorIS9_EEEE10hipError_tPvRmT1_T2_T3_mT4_P12ihipStream_tbEUlT_E1_NS1_11comp_targetILNS1_3genE10ELNS1_11target_archE1200ELNS1_3gpuE4ELNS1_3repE0EEENS1_30default_config_static_selectorELNS0_4arch9wavefront6targetE0EEEvS14_,comdat
	.protected	_ZN7rocprim17ROCPRIM_400000_NS6detail17trampoline_kernelINS0_14default_configENS1_22reduce_config_selectorIN6thrust23THRUST_200600_302600_NS5tupleIblNS6_9null_typeES8_S8_S8_S8_S8_S8_S8_EEEEZNS1_11reduce_implILb1ES3_NS6_12zip_iteratorINS7_INS6_11hip_rocprim26transform_input_iterator_tIbNSD_35transform_pair_of_input_iterators_tIbNS6_6detail15normal_iteratorINS6_10device_ptrIKfEEEESL_NS6_8equal_toIfEEEENSG_9not_fun_tINSD_8identityEEEEENSD_19counting_iterator_tIlEES8_S8_S8_S8_S8_S8_S8_S8_EEEEPS9_S9_NSD_9__find_if7functorIS9_EEEE10hipError_tPvRmT1_T2_T3_mT4_P12ihipStream_tbEUlT_E1_NS1_11comp_targetILNS1_3genE10ELNS1_11target_archE1200ELNS1_3gpuE4ELNS1_3repE0EEENS1_30default_config_static_selectorELNS0_4arch9wavefront6targetE0EEEvS14_ ; -- Begin function _ZN7rocprim17ROCPRIM_400000_NS6detail17trampoline_kernelINS0_14default_configENS1_22reduce_config_selectorIN6thrust23THRUST_200600_302600_NS5tupleIblNS6_9null_typeES8_S8_S8_S8_S8_S8_S8_EEEEZNS1_11reduce_implILb1ES3_NS6_12zip_iteratorINS7_INS6_11hip_rocprim26transform_input_iterator_tIbNSD_35transform_pair_of_input_iterators_tIbNS6_6detail15normal_iteratorINS6_10device_ptrIKfEEEESL_NS6_8equal_toIfEEEENSG_9not_fun_tINSD_8identityEEEEENSD_19counting_iterator_tIlEES8_S8_S8_S8_S8_S8_S8_S8_EEEEPS9_S9_NSD_9__find_if7functorIS9_EEEE10hipError_tPvRmT1_T2_T3_mT4_P12ihipStream_tbEUlT_E1_NS1_11comp_targetILNS1_3genE10ELNS1_11target_archE1200ELNS1_3gpuE4ELNS1_3repE0EEENS1_30default_config_static_selectorELNS0_4arch9wavefront6targetE0EEEvS14_
	.globl	_ZN7rocprim17ROCPRIM_400000_NS6detail17trampoline_kernelINS0_14default_configENS1_22reduce_config_selectorIN6thrust23THRUST_200600_302600_NS5tupleIblNS6_9null_typeES8_S8_S8_S8_S8_S8_S8_EEEEZNS1_11reduce_implILb1ES3_NS6_12zip_iteratorINS7_INS6_11hip_rocprim26transform_input_iterator_tIbNSD_35transform_pair_of_input_iterators_tIbNS6_6detail15normal_iteratorINS6_10device_ptrIKfEEEESL_NS6_8equal_toIfEEEENSG_9not_fun_tINSD_8identityEEEEENSD_19counting_iterator_tIlEES8_S8_S8_S8_S8_S8_S8_S8_EEEEPS9_S9_NSD_9__find_if7functorIS9_EEEE10hipError_tPvRmT1_T2_T3_mT4_P12ihipStream_tbEUlT_E1_NS1_11comp_targetILNS1_3genE10ELNS1_11target_archE1200ELNS1_3gpuE4ELNS1_3repE0EEENS1_30default_config_static_selectorELNS0_4arch9wavefront6targetE0EEEvS14_
	.p2align	8
	.type	_ZN7rocprim17ROCPRIM_400000_NS6detail17trampoline_kernelINS0_14default_configENS1_22reduce_config_selectorIN6thrust23THRUST_200600_302600_NS5tupleIblNS6_9null_typeES8_S8_S8_S8_S8_S8_S8_EEEEZNS1_11reduce_implILb1ES3_NS6_12zip_iteratorINS7_INS6_11hip_rocprim26transform_input_iterator_tIbNSD_35transform_pair_of_input_iterators_tIbNS6_6detail15normal_iteratorINS6_10device_ptrIKfEEEESL_NS6_8equal_toIfEEEENSG_9not_fun_tINSD_8identityEEEEENSD_19counting_iterator_tIlEES8_S8_S8_S8_S8_S8_S8_S8_EEEEPS9_S9_NSD_9__find_if7functorIS9_EEEE10hipError_tPvRmT1_T2_T3_mT4_P12ihipStream_tbEUlT_E1_NS1_11comp_targetILNS1_3genE10ELNS1_11target_archE1200ELNS1_3gpuE4ELNS1_3repE0EEENS1_30default_config_static_selectorELNS0_4arch9wavefront6targetE0EEEvS14_,@function
_ZN7rocprim17ROCPRIM_400000_NS6detail17trampoline_kernelINS0_14default_configENS1_22reduce_config_selectorIN6thrust23THRUST_200600_302600_NS5tupleIblNS6_9null_typeES8_S8_S8_S8_S8_S8_S8_EEEEZNS1_11reduce_implILb1ES3_NS6_12zip_iteratorINS7_INS6_11hip_rocprim26transform_input_iterator_tIbNSD_35transform_pair_of_input_iterators_tIbNS6_6detail15normal_iteratorINS6_10device_ptrIKfEEEESL_NS6_8equal_toIfEEEENSG_9not_fun_tINSD_8identityEEEEENSD_19counting_iterator_tIlEES8_S8_S8_S8_S8_S8_S8_S8_EEEEPS9_S9_NSD_9__find_if7functorIS9_EEEE10hipError_tPvRmT1_T2_T3_mT4_P12ihipStream_tbEUlT_E1_NS1_11comp_targetILNS1_3genE10ELNS1_11target_archE1200ELNS1_3gpuE4ELNS1_3repE0EEENS1_30default_config_static_selectorELNS0_4arch9wavefront6targetE0EEEvS14_: ; @_ZN7rocprim17ROCPRIM_400000_NS6detail17trampoline_kernelINS0_14default_configENS1_22reduce_config_selectorIN6thrust23THRUST_200600_302600_NS5tupleIblNS6_9null_typeES8_S8_S8_S8_S8_S8_S8_EEEEZNS1_11reduce_implILb1ES3_NS6_12zip_iteratorINS7_INS6_11hip_rocprim26transform_input_iterator_tIbNSD_35transform_pair_of_input_iterators_tIbNS6_6detail15normal_iteratorINS6_10device_ptrIKfEEEESL_NS6_8equal_toIfEEEENSG_9not_fun_tINSD_8identityEEEEENSD_19counting_iterator_tIlEES8_S8_S8_S8_S8_S8_S8_S8_EEEEPS9_S9_NSD_9__find_if7functorIS9_EEEE10hipError_tPvRmT1_T2_T3_mT4_P12ihipStream_tbEUlT_E1_NS1_11comp_targetILNS1_3genE10ELNS1_11target_archE1200ELNS1_3gpuE4ELNS1_3repE0EEENS1_30default_config_static_selectorELNS0_4arch9wavefront6targetE0EEEvS14_
; %bb.0:
	.section	.rodata,"a",@progbits
	.p2align	6, 0x0
	.amdhsa_kernel _ZN7rocprim17ROCPRIM_400000_NS6detail17trampoline_kernelINS0_14default_configENS1_22reduce_config_selectorIN6thrust23THRUST_200600_302600_NS5tupleIblNS6_9null_typeES8_S8_S8_S8_S8_S8_S8_EEEEZNS1_11reduce_implILb1ES3_NS6_12zip_iteratorINS7_INS6_11hip_rocprim26transform_input_iterator_tIbNSD_35transform_pair_of_input_iterators_tIbNS6_6detail15normal_iteratorINS6_10device_ptrIKfEEEESL_NS6_8equal_toIfEEEENSG_9not_fun_tINSD_8identityEEEEENSD_19counting_iterator_tIlEES8_S8_S8_S8_S8_S8_S8_S8_EEEEPS9_S9_NSD_9__find_if7functorIS9_EEEE10hipError_tPvRmT1_T2_T3_mT4_P12ihipStream_tbEUlT_E1_NS1_11comp_targetILNS1_3genE10ELNS1_11target_archE1200ELNS1_3gpuE4ELNS1_3repE0EEENS1_30default_config_static_selectorELNS0_4arch9wavefront6targetE0EEEvS14_
		.amdhsa_group_segment_fixed_size 0
		.amdhsa_private_segment_fixed_size 0
		.amdhsa_kernarg_size 88
		.amdhsa_user_sgpr_count 2
		.amdhsa_user_sgpr_dispatch_ptr 0
		.amdhsa_user_sgpr_queue_ptr 0
		.amdhsa_user_sgpr_kernarg_segment_ptr 1
		.amdhsa_user_sgpr_dispatch_id 0
		.amdhsa_user_sgpr_kernarg_preload_length 0
		.amdhsa_user_sgpr_kernarg_preload_offset 0
		.amdhsa_user_sgpr_private_segment_size 0
		.amdhsa_wavefront_size32 1
		.amdhsa_uses_dynamic_stack 0
		.amdhsa_enable_private_segment 0
		.amdhsa_system_sgpr_workgroup_id_x 1
		.amdhsa_system_sgpr_workgroup_id_y 0
		.amdhsa_system_sgpr_workgroup_id_z 0
		.amdhsa_system_sgpr_workgroup_info 0
		.amdhsa_system_vgpr_workitem_id 0
		.amdhsa_next_free_vgpr 1
		.amdhsa_next_free_sgpr 1
		.amdhsa_named_barrier_count 0
		.amdhsa_reserve_vcc 0
		.amdhsa_float_round_mode_32 0
		.amdhsa_float_round_mode_16_64 0
		.amdhsa_float_denorm_mode_32 3
		.amdhsa_float_denorm_mode_16_64 3
		.amdhsa_fp16_overflow 0
		.amdhsa_memory_ordered 1
		.amdhsa_forward_progress 1
		.amdhsa_inst_pref_size 0
		.amdhsa_round_robin_scheduling 0
		.amdhsa_exception_fp_ieee_invalid_op 0
		.amdhsa_exception_fp_denorm_src 0
		.amdhsa_exception_fp_ieee_div_zero 0
		.amdhsa_exception_fp_ieee_overflow 0
		.amdhsa_exception_fp_ieee_underflow 0
		.amdhsa_exception_fp_ieee_inexact 0
		.amdhsa_exception_int_div_zero 0
	.end_amdhsa_kernel
	.section	.text._ZN7rocprim17ROCPRIM_400000_NS6detail17trampoline_kernelINS0_14default_configENS1_22reduce_config_selectorIN6thrust23THRUST_200600_302600_NS5tupleIblNS6_9null_typeES8_S8_S8_S8_S8_S8_S8_EEEEZNS1_11reduce_implILb1ES3_NS6_12zip_iteratorINS7_INS6_11hip_rocprim26transform_input_iterator_tIbNSD_35transform_pair_of_input_iterators_tIbNS6_6detail15normal_iteratorINS6_10device_ptrIKfEEEESL_NS6_8equal_toIfEEEENSG_9not_fun_tINSD_8identityEEEEENSD_19counting_iterator_tIlEES8_S8_S8_S8_S8_S8_S8_S8_EEEEPS9_S9_NSD_9__find_if7functorIS9_EEEE10hipError_tPvRmT1_T2_T3_mT4_P12ihipStream_tbEUlT_E1_NS1_11comp_targetILNS1_3genE10ELNS1_11target_archE1200ELNS1_3gpuE4ELNS1_3repE0EEENS1_30default_config_static_selectorELNS0_4arch9wavefront6targetE0EEEvS14_,"axG",@progbits,_ZN7rocprim17ROCPRIM_400000_NS6detail17trampoline_kernelINS0_14default_configENS1_22reduce_config_selectorIN6thrust23THRUST_200600_302600_NS5tupleIblNS6_9null_typeES8_S8_S8_S8_S8_S8_S8_EEEEZNS1_11reduce_implILb1ES3_NS6_12zip_iteratorINS7_INS6_11hip_rocprim26transform_input_iterator_tIbNSD_35transform_pair_of_input_iterators_tIbNS6_6detail15normal_iteratorINS6_10device_ptrIKfEEEESL_NS6_8equal_toIfEEEENSG_9not_fun_tINSD_8identityEEEEENSD_19counting_iterator_tIlEES8_S8_S8_S8_S8_S8_S8_S8_EEEEPS9_S9_NSD_9__find_if7functorIS9_EEEE10hipError_tPvRmT1_T2_T3_mT4_P12ihipStream_tbEUlT_E1_NS1_11comp_targetILNS1_3genE10ELNS1_11target_archE1200ELNS1_3gpuE4ELNS1_3repE0EEENS1_30default_config_static_selectorELNS0_4arch9wavefront6targetE0EEEvS14_,comdat
.Lfunc_end92:
	.size	_ZN7rocprim17ROCPRIM_400000_NS6detail17trampoline_kernelINS0_14default_configENS1_22reduce_config_selectorIN6thrust23THRUST_200600_302600_NS5tupleIblNS6_9null_typeES8_S8_S8_S8_S8_S8_S8_EEEEZNS1_11reduce_implILb1ES3_NS6_12zip_iteratorINS7_INS6_11hip_rocprim26transform_input_iterator_tIbNSD_35transform_pair_of_input_iterators_tIbNS6_6detail15normal_iteratorINS6_10device_ptrIKfEEEESL_NS6_8equal_toIfEEEENSG_9not_fun_tINSD_8identityEEEEENSD_19counting_iterator_tIlEES8_S8_S8_S8_S8_S8_S8_S8_EEEEPS9_S9_NSD_9__find_if7functorIS9_EEEE10hipError_tPvRmT1_T2_T3_mT4_P12ihipStream_tbEUlT_E1_NS1_11comp_targetILNS1_3genE10ELNS1_11target_archE1200ELNS1_3gpuE4ELNS1_3repE0EEENS1_30default_config_static_selectorELNS0_4arch9wavefront6targetE0EEEvS14_, .Lfunc_end92-_ZN7rocprim17ROCPRIM_400000_NS6detail17trampoline_kernelINS0_14default_configENS1_22reduce_config_selectorIN6thrust23THRUST_200600_302600_NS5tupleIblNS6_9null_typeES8_S8_S8_S8_S8_S8_S8_EEEEZNS1_11reduce_implILb1ES3_NS6_12zip_iteratorINS7_INS6_11hip_rocprim26transform_input_iterator_tIbNSD_35transform_pair_of_input_iterators_tIbNS6_6detail15normal_iteratorINS6_10device_ptrIKfEEEESL_NS6_8equal_toIfEEEENSG_9not_fun_tINSD_8identityEEEEENSD_19counting_iterator_tIlEES8_S8_S8_S8_S8_S8_S8_S8_EEEEPS9_S9_NSD_9__find_if7functorIS9_EEEE10hipError_tPvRmT1_T2_T3_mT4_P12ihipStream_tbEUlT_E1_NS1_11comp_targetILNS1_3genE10ELNS1_11target_archE1200ELNS1_3gpuE4ELNS1_3repE0EEENS1_30default_config_static_selectorELNS0_4arch9wavefront6targetE0EEEvS14_
                                        ; -- End function
	.set _ZN7rocprim17ROCPRIM_400000_NS6detail17trampoline_kernelINS0_14default_configENS1_22reduce_config_selectorIN6thrust23THRUST_200600_302600_NS5tupleIblNS6_9null_typeES8_S8_S8_S8_S8_S8_S8_EEEEZNS1_11reduce_implILb1ES3_NS6_12zip_iteratorINS7_INS6_11hip_rocprim26transform_input_iterator_tIbNSD_35transform_pair_of_input_iterators_tIbNS6_6detail15normal_iteratorINS6_10device_ptrIKfEEEESL_NS6_8equal_toIfEEEENSG_9not_fun_tINSD_8identityEEEEENSD_19counting_iterator_tIlEES8_S8_S8_S8_S8_S8_S8_S8_EEEEPS9_S9_NSD_9__find_if7functorIS9_EEEE10hipError_tPvRmT1_T2_T3_mT4_P12ihipStream_tbEUlT_E1_NS1_11comp_targetILNS1_3genE10ELNS1_11target_archE1200ELNS1_3gpuE4ELNS1_3repE0EEENS1_30default_config_static_selectorELNS0_4arch9wavefront6targetE0EEEvS14_.num_vgpr, 0
	.set _ZN7rocprim17ROCPRIM_400000_NS6detail17trampoline_kernelINS0_14default_configENS1_22reduce_config_selectorIN6thrust23THRUST_200600_302600_NS5tupleIblNS6_9null_typeES8_S8_S8_S8_S8_S8_S8_EEEEZNS1_11reduce_implILb1ES3_NS6_12zip_iteratorINS7_INS6_11hip_rocprim26transform_input_iterator_tIbNSD_35transform_pair_of_input_iterators_tIbNS6_6detail15normal_iteratorINS6_10device_ptrIKfEEEESL_NS6_8equal_toIfEEEENSG_9not_fun_tINSD_8identityEEEEENSD_19counting_iterator_tIlEES8_S8_S8_S8_S8_S8_S8_S8_EEEEPS9_S9_NSD_9__find_if7functorIS9_EEEE10hipError_tPvRmT1_T2_T3_mT4_P12ihipStream_tbEUlT_E1_NS1_11comp_targetILNS1_3genE10ELNS1_11target_archE1200ELNS1_3gpuE4ELNS1_3repE0EEENS1_30default_config_static_selectorELNS0_4arch9wavefront6targetE0EEEvS14_.num_agpr, 0
	.set _ZN7rocprim17ROCPRIM_400000_NS6detail17trampoline_kernelINS0_14default_configENS1_22reduce_config_selectorIN6thrust23THRUST_200600_302600_NS5tupleIblNS6_9null_typeES8_S8_S8_S8_S8_S8_S8_EEEEZNS1_11reduce_implILb1ES3_NS6_12zip_iteratorINS7_INS6_11hip_rocprim26transform_input_iterator_tIbNSD_35transform_pair_of_input_iterators_tIbNS6_6detail15normal_iteratorINS6_10device_ptrIKfEEEESL_NS6_8equal_toIfEEEENSG_9not_fun_tINSD_8identityEEEEENSD_19counting_iterator_tIlEES8_S8_S8_S8_S8_S8_S8_S8_EEEEPS9_S9_NSD_9__find_if7functorIS9_EEEE10hipError_tPvRmT1_T2_T3_mT4_P12ihipStream_tbEUlT_E1_NS1_11comp_targetILNS1_3genE10ELNS1_11target_archE1200ELNS1_3gpuE4ELNS1_3repE0EEENS1_30default_config_static_selectorELNS0_4arch9wavefront6targetE0EEEvS14_.numbered_sgpr, 0
	.set _ZN7rocprim17ROCPRIM_400000_NS6detail17trampoline_kernelINS0_14default_configENS1_22reduce_config_selectorIN6thrust23THRUST_200600_302600_NS5tupleIblNS6_9null_typeES8_S8_S8_S8_S8_S8_S8_EEEEZNS1_11reduce_implILb1ES3_NS6_12zip_iteratorINS7_INS6_11hip_rocprim26transform_input_iterator_tIbNSD_35transform_pair_of_input_iterators_tIbNS6_6detail15normal_iteratorINS6_10device_ptrIKfEEEESL_NS6_8equal_toIfEEEENSG_9not_fun_tINSD_8identityEEEEENSD_19counting_iterator_tIlEES8_S8_S8_S8_S8_S8_S8_S8_EEEEPS9_S9_NSD_9__find_if7functorIS9_EEEE10hipError_tPvRmT1_T2_T3_mT4_P12ihipStream_tbEUlT_E1_NS1_11comp_targetILNS1_3genE10ELNS1_11target_archE1200ELNS1_3gpuE4ELNS1_3repE0EEENS1_30default_config_static_selectorELNS0_4arch9wavefront6targetE0EEEvS14_.num_named_barrier, 0
	.set _ZN7rocprim17ROCPRIM_400000_NS6detail17trampoline_kernelINS0_14default_configENS1_22reduce_config_selectorIN6thrust23THRUST_200600_302600_NS5tupleIblNS6_9null_typeES8_S8_S8_S8_S8_S8_S8_EEEEZNS1_11reduce_implILb1ES3_NS6_12zip_iteratorINS7_INS6_11hip_rocprim26transform_input_iterator_tIbNSD_35transform_pair_of_input_iterators_tIbNS6_6detail15normal_iteratorINS6_10device_ptrIKfEEEESL_NS6_8equal_toIfEEEENSG_9not_fun_tINSD_8identityEEEEENSD_19counting_iterator_tIlEES8_S8_S8_S8_S8_S8_S8_S8_EEEEPS9_S9_NSD_9__find_if7functorIS9_EEEE10hipError_tPvRmT1_T2_T3_mT4_P12ihipStream_tbEUlT_E1_NS1_11comp_targetILNS1_3genE10ELNS1_11target_archE1200ELNS1_3gpuE4ELNS1_3repE0EEENS1_30default_config_static_selectorELNS0_4arch9wavefront6targetE0EEEvS14_.private_seg_size, 0
	.set _ZN7rocprim17ROCPRIM_400000_NS6detail17trampoline_kernelINS0_14default_configENS1_22reduce_config_selectorIN6thrust23THRUST_200600_302600_NS5tupleIblNS6_9null_typeES8_S8_S8_S8_S8_S8_S8_EEEEZNS1_11reduce_implILb1ES3_NS6_12zip_iteratorINS7_INS6_11hip_rocprim26transform_input_iterator_tIbNSD_35transform_pair_of_input_iterators_tIbNS6_6detail15normal_iteratorINS6_10device_ptrIKfEEEESL_NS6_8equal_toIfEEEENSG_9not_fun_tINSD_8identityEEEEENSD_19counting_iterator_tIlEES8_S8_S8_S8_S8_S8_S8_S8_EEEEPS9_S9_NSD_9__find_if7functorIS9_EEEE10hipError_tPvRmT1_T2_T3_mT4_P12ihipStream_tbEUlT_E1_NS1_11comp_targetILNS1_3genE10ELNS1_11target_archE1200ELNS1_3gpuE4ELNS1_3repE0EEENS1_30default_config_static_selectorELNS0_4arch9wavefront6targetE0EEEvS14_.uses_vcc, 0
	.set _ZN7rocprim17ROCPRIM_400000_NS6detail17trampoline_kernelINS0_14default_configENS1_22reduce_config_selectorIN6thrust23THRUST_200600_302600_NS5tupleIblNS6_9null_typeES8_S8_S8_S8_S8_S8_S8_EEEEZNS1_11reduce_implILb1ES3_NS6_12zip_iteratorINS7_INS6_11hip_rocprim26transform_input_iterator_tIbNSD_35transform_pair_of_input_iterators_tIbNS6_6detail15normal_iteratorINS6_10device_ptrIKfEEEESL_NS6_8equal_toIfEEEENSG_9not_fun_tINSD_8identityEEEEENSD_19counting_iterator_tIlEES8_S8_S8_S8_S8_S8_S8_S8_EEEEPS9_S9_NSD_9__find_if7functorIS9_EEEE10hipError_tPvRmT1_T2_T3_mT4_P12ihipStream_tbEUlT_E1_NS1_11comp_targetILNS1_3genE10ELNS1_11target_archE1200ELNS1_3gpuE4ELNS1_3repE0EEENS1_30default_config_static_selectorELNS0_4arch9wavefront6targetE0EEEvS14_.uses_flat_scratch, 0
	.set _ZN7rocprim17ROCPRIM_400000_NS6detail17trampoline_kernelINS0_14default_configENS1_22reduce_config_selectorIN6thrust23THRUST_200600_302600_NS5tupleIblNS6_9null_typeES8_S8_S8_S8_S8_S8_S8_EEEEZNS1_11reduce_implILb1ES3_NS6_12zip_iteratorINS7_INS6_11hip_rocprim26transform_input_iterator_tIbNSD_35transform_pair_of_input_iterators_tIbNS6_6detail15normal_iteratorINS6_10device_ptrIKfEEEESL_NS6_8equal_toIfEEEENSG_9not_fun_tINSD_8identityEEEEENSD_19counting_iterator_tIlEES8_S8_S8_S8_S8_S8_S8_S8_EEEEPS9_S9_NSD_9__find_if7functorIS9_EEEE10hipError_tPvRmT1_T2_T3_mT4_P12ihipStream_tbEUlT_E1_NS1_11comp_targetILNS1_3genE10ELNS1_11target_archE1200ELNS1_3gpuE4ELNS1_3repE0EEENS1_30default_config_static_selectorELNS0_4arch9wavefront6targetE0EEEvS14_.has_dyn_sized_stack, 0
	.set _ZN7rocprim17ROCPRIM_400000_NS6detail17trampoline_kernelINS0_14default_configENS1_22reduce_config_selectorIN6thrust23THRUST_200600_302600_NS5tupleIblNS6_9null_typeES8_S8_S8_S8_S8_S8_S8_EEEEZNS1_11reduce_implILb1ES3_NS6_12zip_iteratorINS7_INS6_11hip_rocprim26transform_input_iterator_tIbNSD_35transform_pair_of_input_iterators_tIbNS6_6detail15normal_iteratorINS6_10device_ptrIKfEEEESL_NS6_8equal_toIfEEEENSG_9not_fun_tINSD_8identityEEEEENSD_19counting_iterator_tIlEES8_S8_S8_S8_S8_S8_S8_S8_EEEEPS9_S9_NSD_9__find_if7functorIS9_EEEE10hipError_tPvRmT1_T2_T3_mT4_P12ihipStream_tbEUlT_E1_NS1_11comp_targetILNS1_3genE10ELNS1_11target_archE1200ELNS1_3gpuE4ELNS1_3repE0EEENS1_30default_config_static_selectorELNS0_4arch9wavefront6targetE0EEEvS14_.has_recursion, 0
	.set _ZN7rocprim17ROCPRIM_400000_NS6detail17trampoline_kernelINS0_14default_configENS1_22reduce_config_selectorIN6thrust23THRUST_200600_302600_NS5tupleIblNS6_9null_typeES8_S8_S8_S8_S8_S8_S8_EEEEZNS1_11reduce_implILb1ES3_NS6_12zip_iteratorINS7_INS6_11hip_rocprim26transform_input_iterator_tIbNSD_35transform_pair_of_input_iterators_tIbNS6_6detail15normal_iteratorINS6_10device_ptrIKfEEEESL_NS6_8equal_toIfEEEENSG_9not_fun_tINSD_8identityEEEEENSD_19counting_iterator_tIlEES8_S8_S8_S8_S8_S8_S8_S8_EEEEPS9_S9_NSD_9__find_if7functorIS9_EEEE10hipError_tPvRmT1_T2_T3_mT4_P12ihipStream_tbEUlT_E1_NS1_11comp_targetILNS1_3genE10ELNS1_11target_archE1200ELNS1_3gpuE4ELNS1_3repE0EEENS1_30default_config_static_selectorELNS0_4arch9wavefront6targetE0EEEvS14_.has_indirect_call, 0
	.section	.AMDGPU.csdata,"",@progbits
; Kernel info:
; codeLenInByte = 0
; TotalNumSgprs: 0
; NumVgprs: 0
; ScratchSize: 0
; MemoryBound: 0
; FloatMode: 240
; IeeeMode: 1
; LDSByteSize: 0 bytes/workgroup (compile time only)
; SGPRBlocks: 0
; VGPRBlocks: 0
; NumSGPRsForWavesPerEU: 1
; NumVGPRsForWavesPerEU: 1
; NamedBarCnt: 0
; Occupancy: 16
; WaveLimiterHint : 0
; COMPUTE_PGM_RSRC2:SCRATCH_EN: 0
; COMPUTE_PGM_RSRC2:USER_SGPR: 2
; COMPUTE_PGM_RSRC2:TRAP_HANDLER: 0
; COMPUTE_PGM_RSRC2:TGID_X_EN: 1
; COMPUTE_PGM_RSRC2:TGID_Y_EN: 0
; COMPUTE_PGM_RSRC2:TGID_Z_EN: 0
; COMPUTE_PGM_RSRC2:TIDIG_COMP_CNT: 0
	.section	.text._ZN7rocprim17ROCPRIM_400000_NS6detail17trampoline_kernelINS0_14default_configENS1_22reduce_config_selectorIN6thrust23THRUST_200600_302600_NS5tupleIblNS6_9null_typeES8_S8_S8_S8_S8_S8_S8_EEEEZNS1_11reduce_implILb1ES3_NS6_12zip_iteratorINS7_INS6_11hip_rocprim26transform_input_iterator_tIbNSD_35transform_pair_of_input_iterators_tIbNS6_6detail15normal_iteratorINS6_10device_ptrIKfEEEESL_NS6_8equal_toIfEEEENSG_9not_fun_tINSD_8identityEEEEENSD_19counting_iterator_tIlEES8_S8_S8_S8_S8_S8_S8_S8_EEEEPS9_S9_NSD_9__find_if7functorIS9_EEEE10hipError_tPvRmT1_T2_T3_mT4_P12ihipStream_tbEUlT_E1_NS1_11comp_targetILNS1_3genE9ELNS1_11target_archE1100ELNS1_3gpuE3ELNS1_3repE0EEENS1_30default_config_static_selectorELNS0_4arch9wavefront6targetE0EEEvS14_,"axG",@progbits,_ZN7rocprim17ROCPRIM_400000_NS6detail17trampoline_kernelINS0_14default_configENS1_22reduce_config_selectorIN6thrust23THRUST_200600_302600_NS5tupleIblNS6_9null_typeES8_S8_S8_S8_S8_S8_S8_EEEEZNS1_11reduce_implILb1ES3_NS6_12zip_iteratorINS7_INS6_11hip_rocprim26transform_input_iterator_tIbNSD_35transform_pair_of_input_iterators_tIbNS6_6detail15normal_iteratorINS6_10device_ptrIKfEEEESL_NS6_8equal_toIfEEEENSG_9not_fun_tINSD_8identityEEEEENSD_19counting_iterator_tIlEES8_S8_S8_S8_S8_S8_S8_S8_EEEEPS9_S9_NSD_9__find_if7functorIS9_EEEE10hipError_tPvRmT1_T2_T3_mT4_P12ihipStream_tbEUlT_E1_NS1_11comp_targetILNS1_3genE9ELNS1_11target_archE1100ELNS1_3gpuE3ELNS1_3repE0EEENS1_30default_config_static_selectorELNS0_4arch9wavefront6targetE0EEEvS14_,comdat
	.protected	_ZN7rocprim17ROCPRIM_400000_NS6detail17trampoline_kernelINS0_14default_configENS1_22reduce_config_selectorIN6thrust23THRUST_200600_302600_NS5tupleIblNS6_9null_typeES8_S8_S8_S8_S8_S8_S8_EEEEZNS1_11reduce_implILb1ES3_NS6_12zip_iteratorINS7_INS6_11hip_rocprim26transform_input_iterator_tIbNSD_35transform_pair_of_input_iterators_tIbNS6_6detail15normal_iteratorINS6_10device_ptrIKfEEEESL_NS6_8equal_toIfEEEENSG_9not_fun_tINSD_8identityEEEEENSD_19counting_iterator_tIlEES8_S8_S8_S8_S8_S8_S8_S8_EEEEPS9_S9_NSD_9__find_if7functorIS9_EEEE10hipError_tPvRmT1_T2_T3_mT4_P12ihipStream_tbEUlT_E1_NS1_11comp_targetILNS1_3genE9ELNS1_11target_archE1100ELNS1_3gpuE3ELNS1_3repE0EEENS1_30default_config_static_selectorELNS0_4arch9wavefront6targetE0EEEvS14_ ; -- Begin function _ZN7rocprim17ROCPRIM_400000_NS6detail17trampoline_kernelINS0_14default_configENS1_22reduce_config_selectorIN6thrust23THRUST_200600_302600_NS5tupleIblNS6_9null_typeES8_S8_S8_S8_S8_S8_S8_EEEEZNS1_11reduce_implILb1ES3_NS6_12zip_iteratorINS7_INS6_11hip_rocprim26transform_input_iterator_tIbNSD_35transform_pair_of_input_iterators_tIbNS6_6detail15normal_iteratorINS6_10device_ptrIKfEEEESL_NS6_8equal_toIfEEEENSG_9not_fun_tINSD_8identityEEEEENSD_19counting_iterator_tIlEES8_S8_S8_S8_S8_S8_S8_S8_EEEEPS9_S9_NSD_9__find_if7functorIS9_EEEE10hipError_tPvRmT1_T2_T3_mT4_P12ihipStream_tbEUlT_E1_NS1_11comp_targetILNS1_3genE9ELNS1_11target_archE1100ELNS1_3gpuE3ELNS1_3repE0EEENS1_30default_config_static_selectorELNS0_4arch9wavefront6targetE0EEEvS14_
	.globl	_ZN7rocprim17ROCPRIM_400000_NS6detail17trampoline_kernelINS0_14default_configENS1_22reduce_config_selectorIN6thrust23THRUST_200600_302600_NS5tupleIblNS6_9null_typeES8_S8_S8_S8_S8_S8_S8_EEEEZNS1_11reduce_implILb1ES3_NS6_12zip_iteratorINS7_INS6_11hip_rocprim26transform_input_iterator_tIbNSD_35transform_pair_of_input_iterators_tIbNS6_6detail15normal_iteratorINS6_10device_ptrIKfEEEESL_NS6_8equal_toIfEEEENSG_9not_fun_tINSD_8identityEEEEENSD_19counting_iterator_tIlEES8_S8_S8_S8_S8_S8_S8_S8_EEEEPS9_S9_NSD_9__find_if7functorIS9_EEEE10hipError_tPvRmT1_T2_T3_mT4_P12ihipStream_tbEUlT_E1_NS1_11comp_targetILNS1_3genE9ELNS1_11target_archE1100ELNS1_3gpuE3ELNS1_3repE0EEENS1_30default_config_static_selectorELNS0_4arch9wavefront6targetE0EEEvS14_
	.p2align	8
	.type	_ZN7rocprim17ROCPRIM_400000_NS6detail17trampoline_kernelINS0_14default_configENS1_22reduce_config_selectorIN6thrust23THRUST_200600_302600_NS5tupleIblNS6_9null_typeES8_S8_S8_S8_S8_S8_S8_EEEEZNS1_11reduce_implILb1ES3_NS6_12zip_iteratorINS7_INS6_11hip_rocprim26transform_input_iterator_tIbNSD_35transform_pair_of_input_iterators_tIbNS6_6detail15normal_iteratorINS6_10device_ptrIKfEEEESL_NS6_8equal_toIfEEEENSG_9not_fun_tINSD_8identityEEEEENSD_19counting_iterator_tIlEES8_S8_S8_S8_S8_S8_S8_S8_EEEEPS9_S9_NSD_9__find_if7functorIS9_EEEE10hipError_tPvRmT1_T2_T3_mT4_P12ihipStream_tbEUlT_E1_NS1_11comp_targetILNS1_3genE9ELNS1_11target_archE1100ELNS1_3gpuE3ELNS1_3repE0EEENS1_30default_config_static_selectorELNS0_4arch9wavefront6targetE0EEEvS14_,@function
_ZN7rocprim17ROCPRIM_400000_NS6detail17trampoline_kernelINS0_14default_configENS1_22reduce_config_selectorIN6thrust23THRUST_200600_302600_NS5tupleIblNS6_9null_typeES8_S8_S8_S8_S8_S8_S8_EEEEZNS1_11reduce_implILb1ES3_NS6_12zip_iteratorINS7_INS6_11hip_rocprim26transform_input_iterator_tIbNSD_35transform_pair_of_input_iterators_tIbNS6_6detail15normal_iteratorINS6_10device_ptrIKfEEEESL_NS6_8equal_toIfEEEENSG_9not_fun_tINSD_8identityEEEEENSD_19counting_iterator_tIlEES8_S8_S8_S8_S8_S8_S8_S8_EEEEPS9_S9_NSD_9__find_if7functorIS9_EEEE10hipError_tPvRmT1_T2_T3_mT4_P12ihipStream_tbEUlT_E1_NS1_11comp_targetILNS1_3genE9ELNS1_11target_archE1100ELNS1_3gpuE3ELNS1_3repE0EEENS1_30default_config_static_selectorELNS0_4arch9wavefront6targetE0EEEvS14_: ; @_ZN7rocprim17ROCPRIM_400000_NS6detail17trampoline_kernelINS0_14default_configENS1_22reduce_config_selectorIN6thrust23THRUST_200600_302600_NS5tupleIblNS6_9null_typeES8_S8_S8_S8_S8_S8_S8_EEEEZNS1_11reduce_implILb1ES3_NS6_12zip_iteratorINS7_INS6_11hip_rocprim26transform_input_iterator_tIbNSD_35transform_pair_of_input_iterators_tIbNS6_6detail15normal_iteratorINS6_10device_ptrIKfEEEESL_NS6_8equal_toIfEEEENSG_9not_fun_tINSD_8identityEEEEENSD_19counting_iterator_tIlEES8_S8_S8_S8_S8_S8_S8_S8_EEEEPS9_S9_NSD_9__find_if7functorIS9_EEEE10hipError_tPvRmT1_T2_T3_mT4_P12ihipStream_tbEUlT_E1_NS1_11comp_targetILNS1_3genE9ELNS1_11target_archE1100ELNS1_3gpuE3ELNS1_3repE0EEENS1_30default_config_static_selectorELNS0_4arch9wavefront6targetE0EEEvS14_
; %bb.0:
	.section	.rodata,"a",@progbits
	.p2align	6, 0x0
	.amdhsa_kernel _ZN7rocprim17ROCPRIM_400000_NS6detail17trampoline_kernelINS0_14default_configENS1_22reduce_config_selectorIN6thrust23THRUST_200600_302600_NS5tupleIblNS6_9null_typeES8_S8_S8_S8_S8_S8_S8_EEEEZNS1_11reduce_implILb1ES3_NS6_12zip_iteratorINS7_INS6_11hip_rocprim26transform_input_iterator_tIbNSD_35transform_pair_of_input_iterators_tIbNS6_6detail15normal_iteratorINS6_10device_ptrIKfEEEESL_NS6_8equal_toIfEEEENSG_9not_fun_tINSD_8identityEEEEENSD_19counting_iterator_tIlEES8_S8_S8_S8_S8_S8_S8_S8_EEEEPS9_S9_NSD_9__find_if7functorIS9_EEEE10hipError_tPvRmT1_T2_T3_mT4_P12ihipStream_tbEUlT_E1_NS1_11comp_targetILNS1_3genE9ELNS1_11target_archE1100ELNS1_3gpuE3ELNS1_3repE0EEENS1_30default_config_static_selectorELNS0_4arch9wavefront6targetE0EEEvS14_
		.amdhsa_group_segment_fixed_size 0
		.amdhsa_private_segment_fixed_size 0
		.amdhsa_kernarg_size 88
		.amdhsa_user_sgpr_count 2
		.amdhsa_user_sgpr_dispatch_ptr 0
		.amdhsa_user_sgpr_queue_ptr 0
		.amdhsa_user_sgpr_kernarg_segment_ptr 1
		.amdhsa_user_sgpr_dispatch_id 0
		.amdhsa_user_sgpr_kernarg_preload_length 0
		.amdhsa_user_sgpr_kernarg_preload_offset 0
		.amdhsa_user_sgpr_private_segment_size 0
		.amdhsa_wavefront_size32 1
		.amdhsa_uses_dynamic_stack 0
		.amdhsa_enable_private_segment 0
		.amdhsa_system_sgpr_workgroup_id_x 1
		.amdhsa_system_sgpr_workgroup_id_y 0
		.amdhsa_system_sgpr_workgroup_id_z 0
		.amdhsa_system_sgpr_workgroup_info 0
		.amdhsa_system_vgpr_workitem_id 0
		.amdhsa_next_free_vgpr 1
		.amdhsa_next_free_sgpr 1
		.amdhsa_named_barrier_count 0
		.amdhsa_reserve_vcc 0
		.amdhsa_float_round_mode_32 0
		.amdhsa_float_round_mode_16_64 0
		.amdhsa_float_denorm_mode_32 3
		.amdhsa_float_denorm_mode_16_64 3
		.amdhsa_fp16_overflow 0
		.amdhsa_memory_ordered 1
		.amdhsa_forward_progress 1
		.amdhsa_inst_pref_size 0
		.amdhsa_round_robin_scheduling 0
		.amdhsa_exception_fp_ieee_invalid_op 0
		.amdhsa_exception_fp_denorm_src 0
		.amdhsa_exception_fp_ieee_div_zero 0
		.amdhsa_exception_fp_ieee_overflow 0
		.amdhsa_exception_fp_ieee_underflow 0
		.amdhsa_exception_fp_ieee_inexact 0
		.amdhsa_exception_int_div_zero 0
	.end_amdhsa_kernel
	.section	.text._ZN7rocprim17ROCPRIM_400000_NS6detail17trampoline_kernelINS0_14default_configENS1_22reduce_config_selectorIN6thrust23THRUST_200600_302600_NS5tupleIblNS6_9null_typeES8_S8_S8_S8_S8_S8_S8_EEEEZNS1_11reduce_implILb1ES3_NS6_12zip_iteratorINS7_INS6_11hip_rocprim26transform_input_iterator_tIbNSD_35transform_pair_of_input_iterators_tIbNS6_6detail15normal_iteratorINS6_10device_ptrIKfEEEESL_NS6_8equal_toIfEEEENSG_9not_fun_tINSD_8identityEEEEENSD_19counting_iterator_tIlEES8_S8_S8_S8_S8_S8_S8_S8_EEEEPS9_S9_NSD_9__find_if7functorIS9_EEEE10hipError_tPvRmT1_T2_T3_mT4_P12ihipStream_tbEUlT_E1_NS1_11comp_targetILNS1_3genE9ELNS1_11target_archE1100ELNS1_3gpuE3ELNS1_3repE0EEENS1_30default_config_static_selectorELNS0_4arch9wavefront6targetE0EEEvS14_,"axG",@progbits,_ZN7rocprim17ROCPRIM_400000_NS6detail17trampoline_kernelINS0_14default_configENS1_22reduce_config_selectorIN6thrust23THRUST_200600_302600_NS5tupleIblNS6_9null_typeES8_S8_S8_S8_S8_S8_S8_EEEEZNS1_11reduce_implILb1ES3_NS6_12zip_iteratorINS7_INS6_11hip_rocprim26transform_input_iterator_tIbNSD_35transform_pair_of_input_iterators_tIbNS6_6detail15normal_iteratorINS6_10device_ptrIKfEEEESL_NS6_8equal_toIfEEEENSG_9not_fun_tINSD_8identityEEEEENSD_19counting_iterator_tIlEES8_S8_S8_S8_S8_S8_S8_S8_EEEEPS9_S9_NSD_9__find_if7functorIS9_EEEE10hipError_tPvRmT1_T2_T3_mT4_P12ihipStream_tbEUlT_E1_NS1_11comp_targetILNS1_3genE9ELNS1_11target_archE1100ELNS1_3gpuE3ELNS1_3repE0EEENS1_30default_config_static_selectorELNS0_4arch9wavefront6targetE0EEEvS14_,comdat
.Lfunc_end93:
	.size	_ZN7rocprim17ROCPRIM_400000_NS6detail17trampoline_kernelINS0_14default_configENS1_22reduce_config_selectorIN6thrust23THRUST_200600_302600_NS5tupleIblNS6_9null_typeES8_S8_S8_S8_S8_S8_S8_EEEEZNS1_11reduce_implILb1ES3_NS6_12zip_iteratorINS7_INS6_11hip_rocprim26transform_input_iterator_tIbNSD_35transform_pair_of_input_iterators_tIbNS6_6detail15normal_iteratorINS6_10device_ptrIKfEEEESL_NS6_8equal_toIfEEEENSG_9not_fun_tINSD_8identityEEEEENSD_19counting_iterator_tIlEES8_S8_S8_S8_S8_S8_S8_S8_EEEEPS9_S9_NSD_9__find_if7functorIS9_EEEE10hipError_tPvRmT1_T2_T3_mT4_P12ihipStream_tbEUlT_E1_NS1_11comp_targetILNS1_3genE9ELNS1_11target_archE1100ELNS1_3gpuE3ELNS1_3repE0EEENS1_30default_config_static_selectorELNS0_4arch9wavefront6targetE0EEEvS14_, .Lfunc_end93-_ZN7rocprim17ROCPRIM_400000_NS6detail17trampoline_kernelINS0_14default_configENS1_22reduce_config_selectorIN6thrust23THRUST_200600_302600_NS5tupleIblNS6_9null_typeES8_S8_S8_S8_S8_S8_S8_EEEEZNS1_11reduce_implILb1ES3_NS6_12zip_iteratorINS7_INS6_11hip_rocprim26transform_input_iterator_tIbNSD_35transform_pair_of_input_iterators_tIbNS6_6detail15normal_iteratorINS6_10device_ptrIKfEEEESL_NS6_8equal_toIfEEEENSG_9not_fun_tINSD_8identityEEEEENSD_19counting_iterator_tIlEES8_S8_S8_S8_S8_S8_S8_S8_EEEEPS9_S9_NSD_9__find_if7functorIS9_EEEE10hipError_tPvRmT1_T2_T3_mT4_P12ihipStream_tbEUlT_E1_NS1_11comp_targetILNS1_3genE9ELNS1_11target_archE1100ELNS1_3gpuE3ELNS1_3repE0EEENS1_30default_config_static_selectorELNS0_4arch9wavefront6targetE0EEEvS14_
                                        ; -- End function
	.set _ZN7rocprim17ROCPRIM_400000_NS6detail17trampoline_kernelINS0_14default_configENS1_22reduce_config_selectorIN6thrust23THRUST_200600_302600_NS5tupleIblNS6_9null_typeES8_S8_S8_S8_S8_S8_S8_EEEEZNS1_11reduce_implILb1ES3_NS6_12zip_iteratorINS7_INS6_11hip_rocprim26transform_input_iterator_tIbNSD_35transform_pair_of_input_iterators_tIbNS6_6detail15normal_iteratorINS6_10device_ptrIKfEEEESL_NS6_8equal_toIfEEEENSG_9not_fun_tINSD_8identityEEEEENSD_19counting_iterator_tIlEES8_S8_S8_S8_S8_S8_S8_S8_EEEEPS9_S9_NSD_9__find_if7functorIS9_EEEE10hipError_tPvRmT1_T2_T3_mT4_P12ihipStream_tbEUlT_E1_NS1_11comp_targetILNS1_3genE9ELNS1_11target_archE1100ELNS1_3gpuE3ELNS1_3repE0EEENS1_30default_config_static_selectorELNS0_4arch9wavefront6targetE0EEEvS14_.num_vgpr, 0
	.set _ZN7rocprim17ROCPRIM_400000_NS6detail17trampoline_kernelINS0_14default_configENS1_22reduce_config_selectorIN6thrust23THRUST_200600_302600_NS5tupleIblNS6_9null_typeES8_S8_S8_S8_S8_S8_S8_EEEEZNS1_11reduce_implILb1ES3_NS6_12zip_iteratorINS7_INS6_11hip_rocprim26transform_input_iterator_tIbNSD_35transform_pair_of_input_iterators_tIbNS6_6detail15normal_iteratorINS6_10device_ptrIKfEEEESL_NS6_8equal_toIfEEEENSG_9not_fun_tINSD_8identityEEEEENSD_19counting_iterator_tIlEES8_S8_S8_S8_S8_S8_S8_S8_EEEEPS9_S9_NSD_9__find_if7functorIS9_EEEE10hipError_tPvRmT1_T2_T3_mT4_P12ihipStream_tbEUlT_E1_NS1_11comp_targetILNS1_3genE9ELNS1_11target_archE1100ELNS1_3gpuE3ELNS1_3repE0EEENS1_30default_config_static_selectorELNS0_4arch9wavefront6targetE0EEEvS14_.num_agpr, 0
	.set _ZN7rocprim17ROCPRIM_400000_NS6detail17trampoline_kernelINS0_14default_configENS1_22reduce_config_selectorIN6thrust23THRUST_200600_302600_NS5tupleIblNS6_9null_typeES8_S8_S8_S8_S8_S8_S8_EEEEZNS1_11reduce_implILb1ES3_NS6_12zip_iteratorINS7_INS6_11hip_rocprim26transform_input_iterator_tIbNSD_35transform_pair_of_input_iterators_tIbNS6_6detail15normal_iteratorINS6_10device_ptrIKfEEEESL_NS6_8equal_toIfEEEENSG_9not_fun_tINSD_8identityEEEEENSD_19counting_iterator_tIlEES8_S8_S8_S8_S8_S8_S8_S8_EEEEPS9_S9_NSD_9__find_if7functorIS9_EEEE10hipError_tPvRmT1_T2_T3_mT4_P12ihipStream_tbEUlT_E1_NS1_11comp_targetILNS1_3genE9ELNS1_11target_archE1100ELNS1_3gpuE3ELNS1_3repE0EEENS1_30default_config_static_selectorELNS0_4arch9wavefront6targetE0EEEvS14_.numbered_sgpr, 0
	.set _ZN7rocprim17ROCPRIM_400000_NS6detail17trampoline_kernelINS0_14default_configENS1_22reduce_config_selectorIN6thrust23THRUST_200600_302600_NS5tupleIblNS6_9null_typeES8_S8_S8_S8_S8_S8_S8_EEEEZNS1_11reduce_implILb1ES3_NS6_12zip_iteratorINS7_INS6_11hip_rocprim26transform_input_iterator_tIbNSD_35transform_pair_of_input_iterators_tIbNS6_6detail15normal_iteratorINS6_10device_ptrIKfEEEESL_NS6_8equal_toIfEEEENSG_9not_fun_tINSD_8identityEEEEENSD_19counting_iterator_tIlEES8_S8_S8_S8_S8_S8_S8_S8_EEEEPS9_S9_NSD_9__find_if7functorIS9_EEEE10hipError_tPvRmT1_T2_T3_mT4_P12ihipStream_tbEUlT_E1_NS1_11comp_targetILNS1_3genE9ELNS1_11target_archE1100ELNS1_3gpuE3ELNS1_3repE0EEENS1_30default_config_static_selectorELNS0_4arch9wavefront6targetE0EEEvS14_.num_named_barrier, 0
	.set _ZN7rocprim17ROCPRIM_400000_NS6detail17trampoline_kernelINS0_14default_configENS1_22reduce_config_selectorIN6thrust23THRUST_200600_302600_NS5tupleIblNS6_9null_typeES8_S8_S8_S8_S8_S8_S8_EEEEZNS1_11reduce_implILb1ES3_NS6_12zip_iteratorINS7_INS6_11hip_rocprim26transform_input_iterator_tIbNSD_35transform_pair_of_input_iterators_tIbNS6_6detail15normal_iteratorINS6_10device_ptrIKfEEEESL_NS6_8equal_toIfEEEENSG_9not_fun_tINSD_8identityEEEEENSD_19counting_iterator_tIlEES8_S8_S8_S8_S8_S8_S8_S8_EEEEPS9_S9_NSD_9__find_if7functorIS9_EEEE10hipError_tPvRmT1_T2_T3_mT4_P12ihipStream_tbEUlT_E1_NS1_11comp_targetILNS1_3genE9ELNS1_11target_archE1100ELNS1_3gpuE3ELNS1_3repE0EEENS1_30default_config_static_selectorELNS0_4arch9wavefront6targetE0EEEvS14_.private_seg_size, 0
	.set _ZN7rocprim17ROCPRIM_400000_NS6detail17trampoline_kernelINS0_14default_configENS1_22reduce_config_selectorIN6thrust23THRUST_200600_302600_NS5tupleIblNS6_9null_typeES8_S8_S8_S8_S8_S8_S8_EEEEZNS1_11reduce_implILb1ES3_NS6_12zip_iteratorINS7_INS6_11hip_rocprim26transform_input_iterator_tIbNSD_35transform_pair_of_input_iterators_tIbNS6_6detail15normal_iteratorINS6_10device_ptrIKfEEEESL_NS6_8equal_toIfEEEENSG_9not_fun_tINSD_8identityEEEEENSD_19counting_iterator_tIlEES8_S8_S8_S8_S8_S8_S8_S8_EEEEPS9_S9_NSD_9__find_if7functorIS9_EEEE10hipError_tPvRmT1_T2_T3_mT4_P12ihipStream_tbEUlT_E1_NS1_11comp_targetILNS1_3genE9ELNS1_11target_archE1100ELNS1_3gpuE3ELNS1_3repE0EEENS1_30default_config_static_selectorELNS0_4arch9wavefront6targetE0EEEvS14_.uses_vcc, 0
	.set _ZN7rocprim17ROCPRIM_400000_NS6detail17trampoline_kernelINS0_14default_configENS1_22reduce_config_selectorIN6thrust23THRUST_200600_302600_NS5tupleIblNS6_9null_typeES8_S8_S8_S8_S8_S8_S8_EEEEZNS1_11reduce_implILb1ES3_NS6_12zip_iteratorINS7_INS6_11hip_rocprim26transform_input_iterator_tIbNSD_35transform_pair_of_input_iterators_tIbNS6_6detail15normal_iteratorINS6_10device_ptrIKfEEEESL_NS6_8equal_toIfEEEENSG_9not_fun_tINSD_8identityEEEEENSD_19counting_iterator_tIlEES8_S8_S8_S8_S8_S8_S8_S8_EEEEPS9_S9_NSD_9__find_if7functorIS9_EEEE10hipError_tPvRmT1_T2_T3_mT4_P12ihipStream_tbEUlT_E1_NS1_11comp_targetILNS1_3genE9ELNS1_11target_archE1100ELNS1_3gpuE3ELNS1_3repE0EEENS1_30default_config_static_selectorELNS0_4arch9wavefront6targetE0EEEvS14_.uses_flat_scratch, 0
	.set _ZN7rocprim17ROCPRIM_400000_NS6detail17trampoline_kernelINS0_14default_configENS1_22reduce_config_selectorIN6thrust23THRUST_200600_302600_NS5tupleIblNS6_9null_typeES8_S8_S8_S8_S8_S8_S8_EEEEZNS1_11reduce_implILb1ES3_NS6_12zip_iteratorINS7_INS6_11hip_rocprim26transform_input_iterator_tIbNSD_35transform_pair_of_input_iterators_tIbNS6_6detail15normal_iteratorINS6_10device_ptrIKfEEEESL_NS6_8equal_toIfEEEENSG_9not_fun_tINSD_8identityEEEEENSD_19counting_iterator_tIlEES8_S8_S8_S8_S8_S8_S8_S8_EEEEPS9_S9_NSD_9__find_if7functorIS9_EEEE10hipError_tPvRmT1_T2_T3_mT4_P12ihipStream_tbEUlT_E1_NS1_11comp_targetILNS1_3genE9ELNS1_11target_archE1100ELNS1_3gpuE3ELNS1_3repE0EEENS1_30default_config_static_selectorELNS0_4arch9wavefront6targetE0EEEvS14_.has_dyn_sized_stack, 0
	.set _ZN7rocprim17ROCPRIM_400000_NS6detail17trampoline_kernelINS0_14default_configENS1_22reduce_config_selectorIN6thrust23THRUST_200600_302600_NS5tupleIblNS6_9null_typeES8_S8_S8_S8_S8_S8_S8_EEEEZNS1_11reduce_implILb1ES3_NS6_12zip_iteratorINS7_INS6_11hip_rocprim26transform_input_iterator_tIbNSD_35transform_pair_of_input_iterators_tIbNS6_6detail15normal_iteratorINS6_10device_ptrIKfEEEESL_NS6_8equal_toIfEEEENSG_9not_fun_tINSD_8identityEEEEENSD_19counting_iterator_tIlEES8_S8_S8_S8_S8_S8_S8_S8_EEEEPS9_S9_NSD_9__find_if7functorIS9_EEEE10hipError_tPvRmT1_T2_T3_mT4_P12ihipStream_tbEUlT_E1_NS1_11comp_targetILNS1_3genE9ELNS1_11target_archE1100ELNS1_3gpuE3ELNS1_3repE0EEENS1_30default_config_static_selectorELNS0_4arch9wavefront6targetE0EEEvS14_.has_recursion, 0
	.set _ZN7rocprim17ROCPRIM_400000_NS6detail17trampoline_kernelINS0_14default_configENS1_22reduce_config_selectorIN6thrust23THRUST_200600_302600_NS5tupleIblNS6_9null_typeES8_S8_S8_S8_S8_S8_S8_EEEEZNS1_11reduce_implILb1ES3_NS6_12zip_iteratorINS7_INS6_11hip_rocprim26transform_input_iterator_tIbNSD_35transform_pair_of_input_iterators_tIbNS6_6detail15normal_iteratorINS6_10device_ptrIKfEEEESL_NS6_8equal_toIfEEEENSG_9not_fun_tINSD_8identityEEEEENSD_19counting_iterator_tIlEES8_S8_S8_S8_S8_S8_S8_S8_EEEEPS9_S9_NSD_9__find_if7functorIS9_EEEE10hipError_tPvRmT1_T2_T3_mT4_P12ihipStream_tbEUlT_E1_NS1_11comp_targetILNS1_3genE9ELNS1_11target_archE1100ELNS1_3gpuE3ELNS1_3repE0EEENS1_30default_config_static_selectorELNS0_4arch9wavefront6targetE0EEEvS14_.has_indirect_call, 0
	.section	.AMDGPU.csdata,"",@progbits
; Kernel info:
; codeLenInByte = 0
; TotalNumSgprs: 0
; NumVgprs: 0
; ScratchSize: 0
; MemoryBound: 0
; FloatMode: 240
; IeeeMode: 1
; LDSByteSize: 0 bytes/workgroup (compile time only)
; SGPRBlocks: 0
; VGPRBlocks: 0
; NumSGPRsForWavesPerEU: 1
; NumVGPRsForWavesPerEU: 1
; NamedBarCnt: 0
; Occupancy: 16
; WaveLimiterHint : 0
; COMPUTE_PGM_RSRC2:SCRATCH_EN: 0
; COMPUTE_PGM_RSRC2:USER_SGPR: 2
; COMPUTE_PGM_RSRC2:TRAP_HANDLER: 0
; COMPUTE_PGM_RSRC2:TGID_X_EN: 1
; COMPUTE_PGM_RSRC2:TGID_Y_EN: 0
; COMPUTE_PGM_RSRC2:TGID_Z_EN: 0
; COMPUTE_PGM_RSRC2:TIDIG_COMP_CNT: 0
	.section	.text._ZN7rocprim17ROCPRIM_400000_NS6detail17trampoline_kernelINS0_14default_configENS1_22reduce_config_selectorIN6thrust23THRUST_200600_302600_NS5tupleIblNS6_9null_typeES8_S8_S8_S8_S8_S8_S8_EEEEZNS1_11reduce_implILb1ES3_NS6_12zip_iteratorINS7_INS6_11hip_rocprim26transform_input_iterator_tIbNSD_35transform_pair_of_input_iterators_tIbNS6_6detail15normal_iteratorINS6_10device_ptrIKfEEEESL_NS6_8equal_toIfEEEENSG_9not_fun_tINSD_8identityEEEEENSD_19counting_iterator_tIlEES8_S8_S8_S8_S8_S8_S8_S8_EEEEPS9_S9_NSD_9__find_if7functorIS9_EEEE10hipError_tPvRmT1_T2_T3_mT4_P12ihipStream_tbEUlT_E1_NS1_11comp_targetILNS1_3genE8ELNS1_11target_archE1030ELNS1_3gpuE2ELNS1_3repE0EEENS1_30default_config_static_selectorELNS0_4arch9wavefront6targetE0EEEvS14_,"axG",@progbits,_ZN7rocprim17ROCPRIM_400000_NS6detail17trampoline_kernelINS0_14default_configENS1_22reduce_config_selectorIN6thrust23THRUST_200600_302600_NS5tupleIblNS6_9null_typeES8_S8_S8_S8_S8_S8_S8_EEEEZNS1_11reduce_implILb1ES3_NS6_12zip_iteratorINS7_INS6_11hip_rocprim26transform_input_iterator_tIbNSD_35transform_pair_of_input_iterators_tIbNS6_6detail15normal_iteratorINS6_10device_ptrIKfEEEESL_NS6_8equal_toIfEEEENSG_9not_fun_tINSD_8identityEEEEENSD_19counting_iterator_tIlEES8_S8_S8_S8_S8_S8_S8_S8_EEEEPS9_S9_NSD_9__find_if7functorIS9_EEEE10hipError_tPvRmT1_T2_T3_mT4_P12ihipStream_tbEUlT_E1_NS1_11comp_targetILNS1_3genE8ELNS1_11target_archE1030ELNS1_3gpuE2ELNS1_3repE0EEENS1_30default_config_static_selectorELNS0_4arch9wavefront6targetE0EEEvS14_,comdat
	.protected	_ZN7rocprim17ROCPRIM_400000_NS6detail17trampoline_kernelINS0_14default_configENS1_22reduce_config_selectorIN6thrust23THRUST_200600_302600_NS5tupleIblNS6_9null_typeES8_S8_S8_S8_S8_S8_S8_EEEEZNS1_11reduce_implILb1ES3_NS6_12zip_iteratorINS7_INS6_11hip_rocprim26transform_input_iterator_tIbNSD_35transform_pair_of_input_iterators_tIbNS6_6detail15normal_iteratorINS6_10device_ptrIKfEEEESL_NS6_8equal_toIfEEEENSG_9not_fun_tINSD_8identityEEEEENSD_19counting_iterator_tIlEES8_S8_S8_S8_S8_S8_S8_S8_EEEEPS9_S9_NSD_9__find_if7functorIS9_EEEE10hipError_tPvRmT1_T2_T3_mT4_P12ihipStream_tbEUlT_E1_NS1_11comp_targetILNS1_3genE8ELNS1_11target_archE1030ELNS1_3gpuE2ELNS1_3repE0EEENS1_30default_config_static_selectorELNS0_4arch9wavefront6targetE0EEEvS14_ ; -- Begin function _ZN7rocprim17ROCPRIM_400000_NS6detail17trampoline_kernelINS0_14default_configENS1_22reduce_config_selectorIN6thrust23THRUST_200600_302600_NS5tupleIblNS6_9null_typeES8_S8_S8_S8_S8_S8_S8_EEEEZNS1_11reduce_implILb1ES3_NS6_12zip_iteratorINS7_INS6_11hip_rocprim26transform_input_iterator_tIbNSD_35transform_pair_of_input_iterators_tIbNS6_6detail15normal_iteratorINS6_10device_ptrIKfEEEESL_NS6_8equal_toIfEEEENSG_9not_fun_tINSD_8identityEEEEENSD_19counting_iterator_tIlEES8_S8_S8_S8_S8_S8_S8_S8_EEEEPS9_S9_NSD_9__find_if7functorIS9_EEEE10hipError_tPvRmT1_T2_T3_mT4_P12ihipStream_tbEUlT_E1_NS1_11comp_targetILNS1_3genE8ELNS1_11target_archE1030ELNS1_3gpuE2ELNS1_3repE0EEENS1_30default_config_static_selectorELNS0_4arch9wavefront6targetE0EEEvS14_
	.globl	_ZN7rocprim17ROCPRIM_400000_NS6detail17trampoline_kernelINS0_14default_configENS1_22reduce_config_selectorIN6thrust23THRUST_200600_302600_NS5tupleIblNS6_9null_typeES8_S8_S8_S8_S8_S8_S8_EEEEZNS1_11reduce_implILb1ES3_NS6_12zip_iteratorINS7_INS6_11hip_rocprim26transform_input_iterator_tIbNSD_35transform_pair_of_input_iterators_tIbNS6_6detail15normal_iteratorINS6_10device_ptrIKfEEEESL_NS6_8equal_toIfEEEENSG_9not_fun_tINSD_8identityEEEEENSD_19counting_iterator_tIlEES8_S8_S8_S8_S8_S8_S8_S8_EEEEPS9_S9_NSD_9__find_if7functorIS9_EEEE10hipError_tPvRmT1_T2_T3_mT4_P12ihipStream_tbEUlT_E1_NS1_11comp_targetILNS1_3genE8ELNS1_11target_archE1030ELNS1_3gpuE2ELNS1_3repE0EEENS1_30default_config_static_selectorELNS0_4arch9wavefront6targetE0EEEvS14_
	.p2align	8
	.type	_ZN7rocprim17ROCPRIM_400000_NS6detail17trampoline_kernelINS0_14default_configENS1_22reduce_config_selectorIN6thrust23THRUST_200600_302600_NS5tupleIblNS6_9null_typeES8_S8_S8_S8_S8_S8_S8_EEEEZNS1_11reduce_implILb1ES3_NS6_12zip_iteratorINS7_INS6_11hip_rocprim26transform_input_iterator_tIbNSD_35transform_pair_of_input_iterators_tIbNS6_6detail15normal_iteratorINS6_10device_ptrIKfEEEESL_NS6_8equal_toIfEEEENSG_9not_fun_tINSD_8identityEEEEENSD_19counting_iterator_tIlEES8_S8_S8_S8_S8_S8_S8_S8_EEEEPS9_S9_NSD_9__find_if7functorIS9_EEEE10hipError_tPvRmT1_T2_T3_mT4_P12ihipStream_tbEUlT_E1_NS1_11comp_targetILNS1_3genE8ELNS1_11target_archE1030ELNS1_3gpuE2ELNS1_3repE0EEENS1_30default_config_static_selectorELNS0_4arch9wavefront6targetE0EEEvS14_,@function
_ZN7rocprim17ROCPRIM_400000_NS6detail17trampoline_kernelINS0_14default_configENS1_22reduce_config_selectorIN6thrust23THRUST_200600_302600_NS5tupleIblNS6_9null_typeES8_S8_S8_S8_S8_S8_S8_EEEEZNS1_11reduce_implILb1ES3_NS6_12zip_iteratorINS7_INS6_11hip_rocprim26transform_input_iterator_tIbNSD_35transform_pair_of_input_iterators_tIbNS6_6detail15normal_iteratorINS6_10device_ptrIKfEEEESL_NS6_8equal_toIfEEEENSG_9not_fun_tINSD_8identityEEEEENSD_19counting_iterator_tIlEES8_S8_S8_S8_S8_S8_S8_S8_EEEEPS9_S9_NSD_9__find_if7functorIS9_EEEE10hipError_tPvRmT1_T2_T3_mT4_P12ihipStream_tbEUlT_E1_NS1_11comp_targetILNS1_3genE8ELNS1_11target_archE1030ELNS1_3gpuE2ELNS1_3repE0EEENS1_30default_config_static_selectorELNS0_4arch9wavefront6targetE0EEEvS14_: ; @_ZN7rocprim17ROCPRIM_400000_NS6detail17trampoline_kernelINS0_14default_configENS1_22reduce_config_selectorIN6thrust23THRUST_200600_302600_NS5tupleIblNS6_9null_typeES8_S8_S8_S8_S8_S8_S8_EEEEZNS1_11reduce_implILb1ES3_NS6_12zip_iteratorINS7_INS6_11hip_rocprim26transform_input_iterator_tIbNSD_35transform_pair_of_input_iterators_tIbNS6_6detail15normal_iteratorINS6_10device_ptrIKfEEEESL_NS6_8equal_toIfEEEENSG_9not_fun_tINSD_8identityEEEEENSD_19counting_iterator_tIlEES8_S8_S8_S8_S8_S8_S8_S8_EEEEPS9_S9_NSD_9__find_if7functorIS9_EEEE10hipError_tPvRmT1_T2_T3_mT4_P12ihipStream_tbEUlT_E1_NS1_11comp_targetILNS1_3genE8ELNS1_11target_archE1030ELNS1_3gpuE2ELNS1_3repE0EEENS1_30default_config_static_selectorELNS0_4arch9wavefront6targetE0EEEvS14_
; %bb.0:
	.section	.rodata,"a",@progbits
	.p2align	6, 0x0
	.amdhsa_kernel _ZN7rocprim17ROCPRIM_400000_NS6detail17trampoline_kernelINS0_14default_configENS1_22reduce_config_selectorIN6thrust23THRUST_200600_302600_NS5tupleIblNS6_9null_typeES8_S8_S8_S8_S8_S8_S8_EEEEZNS1_11reduce_implILb1ES3_NS6_12zip_iteratorINS7_INS6_11hip_rocprim26transform_input_iterator_tIbNSD_35transform_pair_of_input_iterators_tIbNS6_6detail15normal_iteratorINS6_10device_ptrIKfEEEESL_NS6_8equal_toIfEEEENSG_9not_fun_tINSD_8identityEEEEENSD_19counting_iterator_tIlEES8_S8_S8_S8_S8_S8_S8_S8_EEEEPS9_S9_NSD_9__find_if7functorIS9_EEEE10hipError_tPvRmT1_T2_T3_mT4_P12ihipStream_tbEUlT_E1_NS1_11comp_targetILNS1_3genE8ELNS1_11target_archE1030ELNS1_3gpuE2ELNS1_3repE0EEENS1_30default_config_static_selectorELNS0_4arch9wavefront6targetE0EEEvS14_
		.amdhsa_group_segment_fixed_size 0
		.amdhsa_private_segment_fixed_size 0
		.amdhsa_kernarg_size 88
		.amdhsa_user_sgpr_count 2
		.amdhsa_user_sgpr_dispatch_ptr 0
		.amdhsa_user_sgpr_queue_ptr 0
		.amdhsa_user_sgpr_kernarg_segment_ptr 1
		.amdhsa_user_sgpr_dispatch_id 0
		.amdhsa_user_sgpr_kernarg_preload_length 0
		.amdhsa_user_sgpr_kernarg_preload_offset 0
		.amdhsa_user_sgpr_private_segment_size 0
		.amdhsa_wavefront_size32 1
		.amdhsa_uses_dynamic_stack 0
		.amdhsa_enable_private_segment 0
		.amdhsa_system_sgpr_workgroup_id_x 1
		.amdhsa_system_sgpr_workgroup_id_y 0
		.amdhsa_system_sgpr_workgroup_id_z 0
		.amdhsa_system_sgpr_workgroup_info 0
		.amdhsa_system_vgpr_workitem_id 0
		.amdhsa_next_free_vgpr 1
		.amdhsa_next_free_sgpr 1
		.amdhsa_named_barrier_count 0
		.amdhsa_reserve_vcc 0
		.amdhsa_float_round_mode_32 0
		.amdhsa_float_round_mode_16_64 0
		.amdhsa_float_denorm_mode_32 3
		.amdhsa_float_denorm_mode_16_64 3
		.amdhsa_fp16_overflow 0
		.amdhsa_memory_ordered 1
		.amdhsa_forward_progress 1
		.amdhsa_inst_pref_size 0
		.amdhsa_round_robin_scheduling 0
		.amdhsa_exception_fp_ieee_invalid_op 0
		.amdhsa_exception_fp_denorm_src 0
		.amdhsa_exception_fp_ieee_div_zero 0
		.amdhsa_exception_fp_ieee_overflow 0
		.amdhsa_exception_fp_ieee_underflow 0
		.amdhsa_exception_fp_ieee_inexact 0
		.amdhsa_exception_int_div_zero 0
	.end_amdhsa_kernel
	.section	.text._ZN7rocprim17ROCPRIM_400000_NS6detail17trampoline_kernelINS0_14default_configENS1_22reduce_config_selectorIN6thrust23THRUST_200600_302600_NS5tupleIblNS6_9null_typeES8_S8_S8_S8_S8_S8_S8_EEEEZNS1_11reduce_implILb1ES3_NS6_12zip_iteratorINS7_INS6_11hip_rocprim26transform_input_iterator_tIbNSD_35transform_pair_of_input_iterators_tIbNS6_6detail15normal_iteratorINS6_10device_ptrIKfEEEESL_NS6_8equal_toIfEEEENSG_9not_fun_tINSD_8identityEEEEENSD_19counting_iterator_tIlEES8_S8_S8_S8_S8_S8_S8_S8_EEEEPS9_S9_NSD_9__find_if7functorIS9_EEEE10hipError_tPvRmT1_T2_T3_mT4_P12ihipStream_tbEUlT_E1_NS1_11comp_targetILNS1_3genE8ELNS1_11target_archE1030ELNS1_3gpuE2ELNS1_3repE0EEENS1_30default_config_static_selectorELNS0_4arch9wavefront6targetE0EEEvS14_,"axG",@progbits,_ZN7rocprim17ROCPRIM_400000_NS6detail17trampoline_kernelINS0_14default_configENS1_22reduce_config_selectorIN6thrust23THRUST_200600_302600_NS5tupleIblNS6_9null_typeES8_S8_S8_S8_S8_S8_S8_EEEEZNS1_11reduce_implILb1ES3_NS6_12zip_iteratorINS7_INS6_11hip_rocprim26transform_input_iterator_tIbNSD_35transform_pair_of_input_iterators_tIbNS6_6detail15normal_iteratorINS6_10device_ptrIKfEEEESL_NS6_8equal_toIfEEEENSG_9not_fun_tINSD_8identityEEEEENSD_19counting_iterator_tIlEES8_S8_S8_S8_S8_S8_S8_S8_EEEEPS9_S9_NSD_9__find_if7functorIS9_EEEE10hipError_tPvRmT1_T2_T3_mT4_P12ihipStream_tbEUlT_E1_NS1_11comp_targetILNS1_3genE8ELNS1_11target_archE1030ELNS1_3gpuE2ELNS1_3repE0EEENS1_30default_config_static_selectorELNS0_4arch9wavefront6targetE0EEEvS14_,comdat
.Lfunc_end94:
	.size	_ZN7rocprim17ROCPRIM_400000_NS6detail17trampoline_kernelINS0_14default_configENS1_22reduce_config_selectorIN6thrust23THRUST_200600_302600_NS5tupleIblNS6_9null_typeES8_S8_S8_S8_S8_S8_S8_EEEEZNS1_11reduce_implILb1ES3_NS6_12zip_iteratorINS7_INS6_11hip_rocprim26transform_input_iterator_tIbNSD_35transform_pair_of_input_iterators_tIbNS6_6detail15normal_iteratorINS6_10device_ptrIKfEEEESL_NS6_8equal_toIfEEEENSG_9not_fun_tINSD_8identityEEEEENSD_19counting_iterator_tIlEES8_S8_S8_S8_S8_S8_S8_S8_EEEEPS9_S9_NSD_9__find_if7functorIS9_EEEE10hipError_tPvRmT1_T2_T3_mT4_P12ihipStream_tbEUlT_E1_NS1_11comp_targetILNS1_3genE8ELNS1_11target_archE1030ELNS1_3gpuE2ELNS1_3repE0EEENS1_30default_config_static_selectorELNS0_4arch9wavefront6targetE0EEEvS14_, .Lfunc_end94-_ZN7rocprim17ROCPRIM_400000_NS6detail17trampoline_kernelINS0_14default_configENS1_22reduce_config_selectorIN6thrust23THRUST_200600_302600_NS5tupleIblNS6_9null_typeES8_S8_S8_S8_S8_S8_S8_EEEEZNS1_11reduce_implILb1ES3_NS6_12zip_iteratorINS7_INS6_11hip_rocprim26transform_input_iterator_tIbNSD_35transform_pair_of_input_iterators_tIbNS6_6detail15normal_iteratorINS6_10device_ptrIKfEEEESL_NS6_8equal_toIfEEEENSG_9not_fun_tINSD_8identityEEEEENSD_19counting_iterator_tIlEES8_S8_S8_S8_S8_S8_S8_S8_EEEEPS9_S9_NSD_9__find_if7functorIS9_EEEE10hipError_tPvRmT1_T2_T3_mT4_P12ihipStream_tbEUlT_E1_NS1_11comp_targetILNS1_3genE8ELNS1_11target_archE1030ELNS1_3gpuE2ELNS1_3repE0EEENS1_30default_config_static_selectorELNS0_4arch9wavefront6targetE0EEEvS14_
                                        ; -- End function
	.set _ZN7rocprim17ROCPRIM_400000_NS6detail17trampoline_kernelINS0_14default_configENS1_22reduce_config_selectorIN6thrust23THRUST_200600_302600_NS5tupleIblNS6_9null_typeES8_S8_S8_S8_S8_S8_S8_EEEEZNS1_11reduce_implILb1ES3_NS6_12zip_iteratorINS7_INS6_11hip_rocprim26transform_input_iterator_tIbNSD_35transform_pair_of_input_iterators_tIbNS6_6detail15normal_iteratorINS6_10device_ptrIKfEEEESL_NS6_8equal_toIfEEEENSG_9not_fun_tINSD_8identityEEEEENSD_19counting_iterator_tIlEES8_S8_S8_S8_S8_S8_S8_S8_EEEEPS9_S9_NSD_9__find_if7functorIS9_EEEE10hipError_tPvRmT1_T2_T3_mT4_P12ihipStream_tbEUlT_E1_NS1_11comp_targetILNS1_3genE8ELNS1_11target_archE1030ELNS1_3gpuE2ELNS1_3repE0EEENS1_30default_config_static_selectorELNS0_4arch9wavefront6targetE0EEEvS14_.num_vgpr, 0
	.set _ZN7rocprim17ROCPRIM_400000_NS6detail17trampoline_kernelINS0_14default_configENS1_22reduce_config_selectorIN6thrust23THRUST_200600_302600_NS5tupleIblNS6_9null_typeES8_S8_S8_S8_S8_S8_S8_EEEEZNS1_11reduce_implILb1ES3_NS6_12zip_iteratorINS7_INS6_11hip_rocprim26transform_input_iterator_tIbNSD_35transform_pair_of_input_iterators_tIbNS6_6detail15normal_iteratorINS6_10device_ptrIKfEEEESL_NS6_8equal_toIfEEEENSG_9not_fun_tINSD_8identityEEEEENSD_19counting_iterator_tIlEES8_S8_S8_S8_S8_S8_S8_S8_EEEEPS9_S9_NSD_9__find_if7functorIS9_EEEE10hipError_tPvRmT1_T2_T3_mT4_P12ihipStream_tbEUlT_E1_NS1_11comp_targetILNS1_3genE8ELNS1_11target_archE1030ELNS1_3gpuE2ELNS1_3repE0EEENS1_30default_config_static_selectorELNS0_4arch9wavefront6targetE0EEEvS14_.num_agpr, 0
	.set _ZN7rocprim17ROCPRIM_400000_NS6detail17trampoline_kernelINS0_14default_configENS1_22reduce_config_selectorIN6thrust23THRUST_200600_302600_NS5tupleIblNS6_9null_typeES8_S8_S8_S8_S8_S8_S8_EEEEZNS1_11reduce_implILb1ES3_NS6_12zip_iteratorINS7_INS6_11hip_rocprim26transform_input_iterator_tIbNSD_35transform_pair_of_input_iterators_tIbNS6_6detail15normal_iteratorINS6_10device_ptrIKfEEEESL_NS6_8equal_toIfEEEENSG_9not_fun_tINSD_8identityEEEEENSD_19counting_iterator_tIlEES8_S8_S8_S8_S8_S8_S8_S8_EEEEPS9_S9_NSD_9__find_if7functorIS9_EEEE10hipError_tPvRmT1_T2_T3_mT4_P12ihipStream_tbEUlT_E1_NS1_11comp_targetILNS1_3genE8ELNS1_11target_archE1030ELNS1_3gpuE2ELNS1_3repE0EEENS1_30default_config_static_selectorELNS0_4arch9wavefront6targetE0EEEvS14_.numbered_sgpr, 0
	.set _ZN7rocprim17ROCPRIM_400000_NS6detail17trampoline_kernelINS0_14default_configENS1_22reduce_config_selectorIN6thrust23THRUST_200600_302600_NS5tupleIblNS6_9null_typeES8_S8_S8_S8_S8_S8_S8_EEEEZNS1_11reduce_implILb1ES3_NS6_12zip_iteratorINS7_INS6_11hip_rocprim26transform_input_iterator_tIbNSD_35transform_pair_of_input_iterators_tIbNS6_6detail15normal_iteratorINS6_10device_ptrIKfEEEESL_NS6_8equal_toIfEEEENSG_9not_fun_tINSD_8identityEEEEENSD_19counting_iterator_tIlEES8_S8_S8_S8_S8_S8_S8_S8_EEEEPS9_S9_NSD_9__find_if7functorIS9_EEEE10hipError_tPvRmT1_T2_T3_mT4_P12ihipStream_tbEUlT_E1_NS1_11comp_targetILNS1_3genE8ELNS1_11target_archE1030ELNS1_3gpuE2ELNS1_3repE0EEENS1_30default_config_static_selectorELNS0_4arch9wavefront6targetE0EEEvS14_.num_named_barrier, 0
	.set _ZN7rocprim17ROCPRIM_400000_NS6detail17trampoline_kernelINS0_14default_configENS1_22reduce_config_selectorIN6thrust23THRUST_200600_302600_NS5tupleIblNS6_9null_typeES8_S8_S8_S8_S8_S8_S8_EEEEZNS1_11reduce_implILb1ES3_NS6_12zip_iteratorINS7_INS6_11hip_rocprim26transform_input_iterator_tIbNSD_35transform_pair_of_input_iterators_tIbNS6_6detail15normal_iteratorINS6_10device_ptrIKfEEEESL_NS6_8equal_toIfEEEENSG_9not_fun_tINSD_8identityEEEEENSD_19counting_iterator_tIlEES8_S8_S8_S8_S8_S8_S8_S8_EEEEPS9_S9_NSD_9__find_if7functorIS9_EEEE10hipError_tPvRmT1_T2_T3_mT4_P12ihipStream_tbEUlT_E1_NS1_11comp_targetILNS1_3genE8ELNS1_11target_archE1030ELNS1_3gpuE2ELNS1_3repE0EEENS1_30default_config_static_selectorELNS0_4arch9wavefront6targetE0EEEvS14_.private_seg_size, 0
	.set _ZN7rocprim17ROCPRIM_400000_NS6detail17trampoline_kernelINS0_14default_configENS1_22reduce_config_selectorIN6thrust23THRUST_200600_302600_NS5tupleIblNS6_9null_typeES8_S8_S8_S8_S8_S8_S8_EEEEZNS1_11reduce_implILb1ES3_NS6_12zip_iteratorINS7_INS6_11hip_rocprim26transform_input_iterator_tIbNSD_35transform_pair_of_input_iterators_tIbNS6_6detail15normal_iteratorINS6_10device_ptrIKfEEEESL_NS6_8equal_toIfEEEENSG_9not_fun_tINSD_8identityEEEEENSD_19counting_iterator_tIlEES8_S8_S8_S8_S8_S8_S8_S8_EEEEPS9_S9_NSD_9__find_if7functorIS9_EEEE10hipError_tPvRmT1_T2_T3_mT4_P12ihipStream_tbEUlT_E1_NS1_11comp_targetILNS1_3genE8ELNS1_11target_archE1030ELNS1_3gpuE2ELNS1_3repE0EEENS1_30default_config_static_selectorELNS0_4arch9wavefront6targetE0EEEvS14_.uses_vcc, 0
	.set _ZN7rocprim17ROCPRIM_400000_NS6detail17trampoline_kernelINS0_14default_configENS1_22reduce_config_selectorIN6thrust23THRUST_200600_302600_NS5tupleIblNS6_9null_typeES8_S8_S8_S8_S8_S8_S8_EEEEZNS1_11reduce_implILb1ES3_NS6_12zip_iteratorINS7_INS6_11hip_rocprim26transform_input_iterator_tIbNSD_35transform_pair_of_input_iterators_tIbNS6_6detail15normal_iteratorINS6_10device_ptrIKfEEEESL_NS6_8equal_toIfEEEENSG_9not_fun_tINSD_8identityEEEEENSD_19counting_iterator_tIlEES8_S8_S8_S8_S8_S8_S8_S8_EEEEPS9_S9_NSD_9__find_if7functorIS9_EEEE10hipError_tPvRmT1_T2_T3_mT4_P12ihipStream_tbEUlT_E1_NS1_11comp_targetILNS1_3genE8ELNS1_11target_archE1030ELNS1_3gpuE2ELNS1_3repE0EEENS1_30default_config_static_selectorELNS0_4arch9wavefront6targetE0EEEvS14_.uses_flat_scratch, 0
	.set _ZN7rocprim17ROCPRIM_400000_NS6detail17trampoline_kernelINS0_14default_configENS1_22reduce_config_selectorIN6thrust23THRUST_200600_302600_NS5tupleIblNS6_9null_typeES8_S8_S8_S8_S8_S8_S8_EEEEZNS1_11reduce_implILb1ES3_NS6_12zip_iteratorINS7_INS6_11hip_rocprim26transform_input_iterator_tIbNSD_35transform_pair_of_input_iterators_tIbNS6_6detail15normal_iteratorINS6_10device_ptrIKfEEEESL_NS6_8equal_toIfEEEENSG_9not_fun_tINSD_8identityEEEEENSD_19counting_iterator_tIlEES8_S8_S8_S8_S8_S8_S8_S8_EEEEPS9_S9_NSD_9__find_if7functorIS9_EEEE10hipError_tPvRmT1_T2_T3_mT4_P12ihipStream_tbEUlT_E1_NS1_11comp_targetILNS1_3genE8ELNS1_11target_archE1030ELNS1_3gpuE2ELNS1_3repE0EEENS1_30default_config_static_selectorELNS0_4arch9wavefront6targetE0EEEvS14_.has_dyn_sized_stack, 0
	.set _ZN7rocprim17ROCPRIM_400000_NS6detail17trampoline_kernelINS0_14default_configENS1_22reduce_config_selectorIN6thrust23THRUST_200600_302600_NS5tupleIblNS6_9null_typeES8_S8_S8_S8_S8_S8_S8_EEEEZNS1_11reduce_implILb1ES3_NS6_12zip_iteratorINS7_INS6_11hip_rocprim26transform_input_iterator_tIbNSD_35transform_pair_of_input_iterators_tIbNS6_6detail15normal_iteratorINS6_10device_ptrIKfEEEESL_NS6_8equal_toIfEEEENSG_9not_fun_tINSD_8identityEEEEENSD_19counting_iterator_tIlEES8_S8_S8_S8_S8_S8_S8_S8_EEEEPS9_S9_NSD_9__find_if7functorIS9_EEEE10hipError_tPvRmT1_T2_T3_mT4_P12ihipStream_tbEUlT_E1_NS1_11comp_targetILNS1_3genE8ELNS1_11target_archE1030ELNS1_3gpuE2ELNS1_3repE0EEENS1_30default_config_static_selectorELNS0_4arch9wavefront6targetE0EEEvS14_.has_recursion, 0
	.set _ZN7rocprim17ROCPRIM_400000_NS6detail17trampoline_kernelINS0_14default_configENS1_22reduce_config_selectorIN6thrust23THRUST_200600_302600_NS5tupleIblNS6_9null_typeES8_S8_S8_S8_S8_S8_S8_EEEEZNS1_11reduce_implILb1ES3_NS6_12zip_iteratorINS7_INS6_11hip_rocprim26transform_input_iterator_tIbNSD_35transform_pair_of_input_iterators_tIbNS6_6detail15normal_iteratorINS6_10device_ptrIKfEEEESL_NS6_8equal_toIfEEEENSG_9not_fun_tINSD_8identityEEEEENSD_19counting_iterator_tIlEES8_S8_S8_S8_S8_S8_S8_S8_EEEEPS9_S9_NSD_9__find_if7functorIS9_EEEE10hipError_tPvRmT1_T2_T3_mT4_P12ihipStream_tbEUlT_E1_NS1_11comp_targetILNS1_3genE8ELNS1_11target_archE1030ELNS1_3gpuE2ELNS1_3repE0EEENS1_30default_config_static_selectorELNS0_4arch9wavefront6targetE0EEEvS14_.has_indirect_call, 0
	.section	.AMDGPU.csdata,"",@progbits
; Kernel info:
; codeLenInByte = 0
; TotalNumSgprs: 0
; NumVgprs: 0
; ScratchSize: 0
; MemoryBound: 0
; FloatMode: 240
; IeeeMode: 1
; LDSByteSize: 0 bytes/workgroup (compile time only)
; SGPRBlocks: 0
; VGPRBlocks: 0
; NumSGPRsForWavesPerEU: 1
; NumVGPRsForWavesPerEU: 1
; NamedBarCnt: 0
; Occupancy: 16
; WaveLimiterHint : 0
; COMPUTE_PGM_RSRC2:SCRATCH_EN: 0
; COMPUTE_PGM_RSRC2:USER_SGPR: 2
; COMPUTE_PGM_RSRC2:TRAP_HANDLER: 0
; COMPUTE_PGM_RSRC2:TGID_X_EN: 1
; COMPUTE_PGM_RSRC2:TGID_Y_EN: 0
; COMPUTE_PGM_RSRC2:TGID_Z_EN: 0
; COMPUTE_PGM_RSRC2:TIDIG_COMP_CNT: 0
	.section	.text._ZN6thrust23THRUST_200600_302600_NS11hip_rocprim14__parallel_for6kernelILj256ENS1_20__uninitialized_fill7functorINS0_10device_ptrIyEEyEEmLj1EEEvT0_T1_SA_,"axG",@progbits,_ZN6thrust23THRUST_200600_302600_NS11hip_rocprim14__parallel_for6kernelILj256ENS1_20__uninitialized_fill7functorINS0_10device_ptrIyEEyEEmLj1EEEvT0_T1_SA_,comdat
	.protected	_ZN6thrust23THRUST_200600_302600_NS11hip_rocprim14__parallel_for6kernelILj256ENS1_20__uninitialized_fill7functorINS0_10device_ptrIyEEyEEmLj1EEEvT0_T1_SA_ ; -- Begin function _ZN6thrust23THRUST_200600_302600_NS11hip_rocprim14__parallel_for6kernelILj256ENS1_20__uninitialized_fill7functorINS0_10device_ptrIyEEyEEmLj1EEEvT0_T1_SA_
	.globl	_ZN6thrust23THRUST_200600_302600_NS11hip_rocprim14__parallel_for6kernelILj256ENS1_20__uninitialized_fill7functorINS0_10device_ptrIyEEyEEmLj1EEEvT0_T1_SA_
	.p2align	8
	.type	_ZN6thrust23THRUST_200600_302600_NS11hip_rocprim14__parallel_for6kernelILj256ENS1_20__uninitialized_fill7functorINS0_10device_ptrIyEEyEEmLj1EEEvT0_T1_SA_,@function
_ZN6thrust23THRUST_200600_302600_NS11hip_rocprim14__parallel_for6kernelILj256ENS1_20__uninitialized_fill7functorINS0_10device_ptrIyEEyEEmLj1EEEvT0_T1_SA_: ; @_ZN6thrust23THRUST_200600_302600_NS11hip_rocprim14__parallel_for6kernelILj256ENS1_20__uninitialized_fill7functorINS0_10device_ptrIyEEyEEmLj1EEEvT0_T1_SA_
; %bb.0:
	s_load_b256 s[4:11], s[0:1], 0x0
	s_wait_xcnt 0x0
	s_bfe_u32 s0, ttmp6, 0x4000c
	s_and_b32 s1, ttmp6, 15
	s_add_co_i32 s0, s0, 1
	s_getreg_b32 s2, hwreg(HW_REG_IB_STS2, 6, 4)
	s_mul_i32 s0, ttmp9, s0
	s_delay_alu instid0(SALU_CYCLE_1)
	s_add_co_i32 s1, s1, s0
	s_cmp_eq_u32 s2, 0
	s_cselect_b32 s0, ttmp9, s1
	s_mov_b32 s1, 0
	s_lshl_b32 s0, s0, 8
	s_wait_kmcnt 0x0
	s_add_nc_u64 s[0:1], s[10:11], s[0:1]
	s_delay_alu instid0(SALU_CYCLE_1) | instskip(NEXT) | instid1(SALU_CYCLE_1)
	s_sub_nc_u64 s[2:3], s[8:9], s[0:1]
	v_cmp_lt_u64_e64 s3, 0xff, s[2:3]
	s_and_b32 vcc_lo, exec_lo, s3
	s_mov_b32 s3, -1
	s_cbranch_vccz .LBB95_3
; %bb.1:
	s_and_not1_b32 vcc_lo, exec_lo, s3
	s_cbranch_vccz .LBB95_6
.LBB95_2:
	s_endpgm
.LBB95_3:
	v_cmp_gt_u32_e32 vcc_lo, s2, v0
	s_and_saveexec_b32 s2, vcc_lo
	s_cbranch_execz .LBB95_5
; %bb.4:
	v_mov_b64_e32 v[2:3], s[6:7]
	s_lshl_b64 s[8:9], s[0:1], 3
	s_delay_alu instid0(SALU_CYCLE_1)
	s_add_nc_u64 s[8:9], s[4:5], s[8:9]
	flat_store_b64 v0, v[2:3], s[8:9] scale_offset
.LBB95_5:
	s_wait_xcnt 0x0
	s_or_b32 exec_lo, exec_lo, s2
	s_cbranch_execnz .LBB95_2
.LBB95_6:
	v_mov_b64_e32 v[2:3], s[6:7]
	s_lshl_b64 s[0:1], s[0:1], 3
	s_delay_alu instid0(SALU_CYCLE_1)
	s_add_nc_u64 s[0:1], s[4:5], s[0:1]
	flat_store_b64 v0, v[2:3], s[0:1] scale_offset
	s_endpgm
	.section	.rodata,"a",@progbits
	.p2align	6, 0x0
	.amdhsa_kernel _ZN6thrust23THRUST_200600_302600_NS11hip_rocprim14__parallel_for6kernelILj256ENS1_20__uninitialized_fill7functorINS0_10device_ptrIyEEyEEmLj1EEEvT0_T1_SA_
		.amdhsa_group_segment_fixed_size 0
		.amdhsa_private_segment_fixed_size 0
		.amdhsa_kernarg_size 32
		.amdhsa_user_sgpr_count 2
		.amdhsa_user_sgpr_dispatch_ptr 0
		.amdhsa_user_sgpr_queue_ptr 0
		.amdhsa_user_sgpr_kernarg_segment_ptr 1
		.amdhsa_user_sgpr_dispatch_id 0
		.amdhsa_user_sgpr_kernarg_preload_length 0
		.amdhsa_user_sgpr_kernarg_preload_offset 0
		.amdhsa_user_sgpr_private_segment_size 0
		.amdhsa_wavefront_size32 1
		.amdhsa_uses_dynamic_stack 0
		.amdhsa_enable_private_segment 0
		.amdhsa_system_sgpr_workgroup_id_x 1
		.amdhsa_system_sgpr_workgroup_id_y 0
		.amdhsa_system_sgpr_workgroup_id_z 0
		.amdhsa_system_sgpr_workgroup_info 0
		.amdhsa_system_vgpr_workitem_id 0
		.amdhsa_next_free_vgpr 4
		.amdhsa_next_free_sgpr 12
		.amdhsa_named_barrier_count 0
		.amdhsa_reserve_vcc 1
		.amdhsa_float_round_mode_32 0
		.amdhsa_float_round_mode_16_64 0
		.amdhsa_float_denorm_mode_32 3
		.amdhsa_float_denorm_mode_16_64 3
		.amdhsa_fp16_overflow 0
		.amdhsa_memory_ordered 1
		.amdhsa_forward_progress 1
		.amdhsa_inst_pref_size 2
		.amdhsa_round_robin_scheduling 0
		.amdhsa_exception_fp_ieee_invalid_op 0
		.amdhsa_exception_fp_denorm_src 0
		.amdhsa_exception_fp_ieee_div_zero 0
		.amdhsa_exception_fp_ieee_overflow 0
		.amdhsa_exception_fp_ieee_underflow 0
		.amdhsa_exception_fp_ieee_inexact 0
		.amdhsa_exception_int_div_zero 0
	.end_amdhsa_kernel
	.section	.text._ZN6thrust23THRUST_200600_302600_NS11hip_rocprim14__parallel_for6kernelILj256ENS1_20__uninitialized_fill7functorINS0_10device_ptrIyEEyEEmLj1EEEvT0_T1_SA_,"axG",@progbits,_ZN6thrust23THRUST_200600_302600_NS11hip_rocprim14__parallel_for6kernelILj256ENS1_20__uninitialized_fill7functorINS0_10device_ptrIyEEyEEmLj1EEEvT0_T1_SA_,comdat
.Lfunc_end95:
	.size	_ZN6thrust23THRUST_200600_302600_NS11hip_rocprim14__parallel_for6kernelILj256ENS1_20__uninitialized_fill7functorINS0_10device_ptrIyEEyEEmLj1EEEvT0_T1_SA_, .Lfunc_end95-_ZN6thrust23THRUST_200600_302600_NS11hip_rocprim14__parallel_for6kernelILj256ENS1_20__uninitialized_fill7functorINS0_10device_ptrIyEEyEEmLj1EEEvT0_T1_SA_
                                        ; -- End function
	.set _ZN6thrust23THRUST_200600_302600_NS11hip_rocprim14__parallel_for6kernelILj256ENS1_20__uninitialized_fill7functorINS0_10device_ptrIyEEyEEmLj1EEEvT0_T1_SA_.num_vgpr, 4
	.set _ZN6thrust23THRUST_200600_302600_NS11hip_rocprim14__parallel_for6kernelILj256ENS1_20__uninitialized_fill7functorINS0_10device_ptrIyEEyEEmLj1EEEvT0_T1_SA_.num_agpr, 0
	.set _ZN6thrust23THRUST_200600_302600_NS11hip_rocprim14__parallel_for6kernelILj256ENS1_20__uninitialized_fill7functorINS0_10device_ptrIyEEyEEmLj1EEEvT0_T1_SA_.numbered_sgpr, 12
	.set _ZN6thrust23THRUST_200600_302600_NS11hip_rocprim14__parallel_for6kernelILj256ENS1_20__uninitialized_fill7functorINS0_10device_ptrIyEEyEEmLj1EEEvT0_T1_SA_.num_named_barrier, 0
	.set _ZN6thrust23THRUST_200600_302600_NS11hip_rocprim14__parallel_for6kernelILj256ENS1_20__uninitialized_fill7functorINS0_10device_ptrIyEEyEEmLj1EEEvT0_T1_SA_.private_seg_size, 0
	.set _ZN6thrust23THRUST_200600_302600_NS11hip_rocprim14__parallel_for6kernelILj256ENS1_20__uninitialized_fill7functorINS0_10device_ptrIyEEyEEmLj1EEEvT0_T1_SA_.uses_vcc, 1
	.set _ZN6thrust23THRUST_200600_302600_NS11hip_rocprim14__parallel_for6kernelILj256ENS1_20__uninitialized_fill7functorINS0_10device_ptrIyEEyEEmLj1EEEvT0_T1_SA_.uses_flat_scratch, 0
	.set _ZN6thrust23THRUST_200600_302600_NS11hip_rocprim14__parallel_for6kernelILj256ENS1_20__uninitialized_fill7functorINS0_10device_ptrIyEEyEEmLj1EEEvT0_T1_SA_.has_dyn_sized_stack, 0
	.set _ZN6thrust23THRUST_200600_302600_NS11hip_rocprim14__parallel_for6kernelILj256ENS1_20__uninitialized_fill7functorINS0_10device_ptrIyEEyEEmLj1EEEvT0_T1_SA_.has_recursion, 0
	.set _ZN6thrust23THRUST_200600_302600_NS11hip_rocprim14__parallel_for6kernelILj256ENS1_20__uninitialized_fill7functorINS0_10device_ptrIyEEyEEmLj1EEEvT0_T1_SA_.has_indirect_call, 0
	.section	.AMDGPU.csdata,"",@progbits
; Kernel info:
; codeLenInByte = 196
; TotalNumSgprs: 14
; NumVgprs: 4
; ScratchSize: 0
; MemoryBound: 0
; FloatMode: 240
; IeeeMode: 1
; LDSByteSize: 0 bytes/workgroup (compile time only)
; SGPRBlocks: 0
; VGPRBlocks: 0
; NumSGPRsForWavesPerEU: 14
; NumVGPRsForWavesPerEU: 4
; NamedBarCnt: 0
; Occupancy: 16
; WaveLimiterHint : 0
; COMPUTE_PGM_RSRC2:SCRATCH_EN: 0
; COMPUTE_PGM_RSRC2:USER_SGPR: 2
; COMPUTE_PGM_RSRC2:TRAP_HANDLER: 0
; COMPUTE_PGM_RSRC2:TGID_X_EN: 1
; COMPUTE_PGM_RSRC2:TGID_Y_EN: 0
; COMPUTE_PGM_RSRC2:TGID_Z_EN: 0
; COMPUTE_PGM_RSRC2:TIDIG_COMP_CNT: 0
	.section	.text._ZN7rocprim17ROCPRIM_400000_NS6detail17trampoline_kernelINS0_14default_configENS1_21merge_config_selectorINS0_5tupleIJyyEEENS0_10empty_typeEEEZNS1_10merge_implIS3_NS0_12zip_iteratorINS5_IJN6thrust23THRUST_200600_302600_NS6detail15normal_iteratorINSC_10device_ptrIKyEEEESI_EEEEESK_NSA_INS5_IJNSE_INSF_IyEEEESM_EEEEEPS7_SP_SP_NSC_11hip_rocprim7__merge17predicate_wrapperIyyNSC_4lessIyEEEEEE10hipError_tPvRmT0_T1_T2_T3_T4_T5_mmT6_P12ihipStream_tbEUlT_E_NS1_11comp_targetILNS1_3genE0ELNS1_11target_archE4294967295ELNS1_3gpuE0ELNS1_3repE0EEENS1_30default_config_static_selectorELNS0_4arch9wavefront6targetE0EEEvS10_,"axG",@progbits,_ZN7rocprim17ROCPRIM_400000_NS6detail17trampoline_kernelINS0_14default_configENS1_21merge_config_selectorINS0_5tupleIJyyEEENS0_10empty_typeEEEZNS1_10merge_implIS3_NS0_12zip_iteratorINS5_IJN6thrust23THRUST_200600_302600_NS6detail15normal_iteratorINSC_10device_ptrIKyEEEESI_EEEEESK_NSA_INS5_IJNSE_INSF_IyEEEESM_EEEEEPS7_SP_SP_NSC_11hip_rocprim7__merge17predicate_wrapperIyyNSC_4lessIyEEEEEE10hipError_tPvRmT0_T1_T2_T3_T4_T5_mmT6_P12ihipStream_tbEUlT_E_NS1_11comp_targetILNS1_3genE0ELNS1_11target_archE4294967295ELNS1_3gpuE0ELNS1_3repE0EEENS1_30default_config_static_selectorELNS0_4arch9wavefront6targetE0EEEvS10_,comdat
	.protected	_ZN7rocprim17ROCPRIM_400000_NS6detail17trampoline_kernelINS0_14default_configENS1_21merge_config_selectorINS0_5tupleIJyyEEENS0_10empty_typeEEEZNS1_10merge_implIS3_NS0_12zip_iteratorINS5_IJN6thrust23THRUST_200600_302600_NS6detail15normal_iteratorINSC_10device_ptrIKyEEEESI_EEEEESK_NSA_INS5_IJNSE_INSF_IyEEEESM_EEEEEPS7_SP_SP_NSC_11hip_rocprim7__merge17predicate_wrapperIyyNSC_4lessIyEEEEEE10hipError_tPvRmT0_T1_T2_T3_T4_T5_mmT6_P12ihipStream_tbEUlT_E_NS1_11comp_targetILNS1_3genE0ELNS1_11target_archE4294967295ELNS1_3gpuE0ELNS1_3repE0EEENS1_30default_config_static_selectorELNS0_4arch9wavefront6targetE0EEEvS10_ ; -- Begin function _ZN7rocprim17ROCPRIM_400000_NS6detail17trampoline_kernelINS0_14default_configENS1_21merge_config_selectorINS0_5tupleIJyyEEENS0_10empty_typeEEEZNS1_10merge_implIS3_NS0_12zip_iteratorINS5_IJN6thrust23THRUST_200600_302600_NS6detail15normal_iteratorINSC_10device_ptrIKyEEEESI_EEEEESK_NSA_INS5_IJNSE_INSF_IyEEEESM_EEEEEPS7_SP_SP_NSC_11hip_rocprim7__merge17predicate_wrapperIyyNSC_4lessIyEEEEEE10hipError_tPvRmT0_T1_T2_T3_T4_T5_mmT6_P12ihipStream_tbEUlT_E_NS1_11comp_targetILNS1_3genE0ELNS1_11target_archE4294967295ELNS1_3gpuE0ELNS1_3repE0EEENS1_30default_config_static_selectorELNS0_4arch9wavefront6targetE0EEEvS10_
	.globl	_ZN7rocprim17ROCPRIM_400000_NS6detail17trampoline_kernelINS0_14default_configENS1_21merge_config_selectorINS0_5tupleIJyyEEENS0_10empty_typeEEEZNS1_10merge_implIS3_NS0_12zip_iteratorINS5_IJN6thrust23THRUST_200600_302600_NS6detail15normal_iteratorINSC_10device_ptrIKyEEEESI_EEEEESK_NSA_INS5_IJNSE_INSF_IyEEEESM_EEEEEPS7_SP_SP_NSC_11hip_rocprim7__merge17predicate_wrapperIyyNSC_4lessIyEEEEEE10hipError_tPvRmT0_T1_T2_T3_T4_T5_mmT6_P12ihipStream_tbEUlT_E_NS1_11comp_targetILNS1_3genE0ELNS1_11target_archE4294967295ELNS1_3gpuE0ELNS1_3repE0EEENS1_30default_config_static_selectorELNS0_4arch9wavefront6targetE0EEEvS10_
	.p2align	8
	.type	_ZN7rocprim17ROCPRIM_400000_NS6detail17trampoline_kernelINS0_14default_configENS1_21merge_config_selectorINS0_5tupleIJyyEEENS0_10empty_typeEEEZNS1_10merge_implIS3_NS0_12zip_iteratorINS5_IJN6thrust23THRUST_200600_302600_NS6detail15normal_iteratorINSC_10device_ptrIKyEEEESI_EEEEESK_NSA_INS5_IJNSE_INSF_IyEEEESM_EEEEEPS7_SP_SP_NSC_11hip_rocprim7__merge17predicate_wrapperIyyNSC_4lessIyEEEEEE10hipError_tPvRmT0_T1_T2_T3_T4_T5_mmT6_P12ihipStream_tbEUlT_E_NS1_11comp_targetILNS1_3genE0ELNS1_11target_archE4294967295ELNS1_3gpuE0ELNS1_3repE0EEENS1_30default_config_static_selectorELNS0_4arch9wavefront6targetE0EEEvS10_,@function
_ZN7rocprim17ROCPRIM_400000_NS6detail17trampoline_kernelINS0_14default_configENS1_21merge_config_selectorINS0_5tupleIJyyEEENS0_10empty_typeEEEZNS1_10merge_implIS3_NS0_12zip_iteratorINS5_IJN6thrust23THRUST_200600_302600_NS6detail15normal_iteratorINSC_10device_ptrIKyEEEESI_EEEEESK_NSA_INS5_IJNSE_INSF_IyEEEESM_EEEEEPS7_SP_SP_NSC_11hip_rocprim7__merge17predicate_wrapperIyyNSC_4lessIyEEEEEE10hipError_tPvRmT0_T1_T2_T3_T4_T5_mmT6_P12ihipStream_tbEUlT_E_NS1_11comp_targetILNS1_3genE0ELNS1_11target_archE4294967295ELNS1_3gpuE0ELNS1_3repE0EEENS1_30default_config_static_selectorELNS0_4arch9wavefront6targetE0EEEvS10_: ; @_ZN7rocprim17ROCPRIM_400000_NS6detail17trampoline_kernelINS0_14default_configENS1_21merge_config_selectorINS0_5tupleIJyyEEENS0_10empty_typeEEEZNS1_10merge_implIS3_NS0_12zip_iteratorINS5_IJN6thrust23THRUST_200600_302600_NS6detail15normal_iteratorINSC_10device_ptrIKyEEEESI_EEEEESK_NSA_INS5_IJNSE_INSF_IyEEEESM_EEEEEPS7_SP_SP_NSC_11hip_rocprim7__merge17predicate_wrapperIyyNSC_4lessIyEEEEEE10hipError_tPvRmT0_T1_T2_T3_T4_T5_mmT6_P12ihipStream_tbEUlT_E_NS1_11comp_targetILNS1_3genE0ELNS1_11target_archE4294967295ELNS1_3gpuE0ELNS1_3repE0EEENS1_30default_config_static_selectorELNS0_4arch9wavefront6targetE0EEEvS10_
; %bb.0:
	s_clause 0x2
	s_load_b32 s4, s[0:1], 0x38
	s_load_b32 s2, s[0:1], 0x4c
	s_load_b128 s[8:11], s[0:1], 0x28
	s_getreg_b32 s7, hwreg(HW_REG_IB_STS2, 6, 4)
	s_wait_kmcnt 0x0
	s_cvt_f32_u32 s3, s4
	s_and_b32 s6, s2, 0xffff
	s_and_b32 s2, ttmp6, 15
	s_delay_alu instid0(SALU_CYCLE_1) | instskip(SKIP_1) | instid1(SALU_CYCLE_1)
	v_rcp_iflag_f32_e32 v1, s3
	s_bfe_u32 s3, ttmp6, 0x4000c
	s_add_co_i32 s3, s3, 1
	s_delay_alu instid0(SALU_CYCLE_1) | instskip(NEXT) | instid1(SALU_CYCLE_1)
	s_mul_i32 s3, ttmp9, s3
	s_add_co_i32 s2, s2, s3
	v_nop
	s_delay_alu instid0(TRANS32_DEP_1)
	v_readfirstlane_b32 s5, v1
	s_cmp_eq_u32 s7, 0
	s_cselect_b32 s7, ttmp9, s2
	s_sub_co_i32 s12, 0, s4
	s_mul_f32 s5, s5, 0x4f7ffffe
	s_add_nc_u64 s[2:3], s[10:11], s[8:9]
	v_mad_u32 v6, s7, s6, v0
	s_add_co_i32 s13, s4, s2
	s_cvt_u32_f32 s5, s5
	s_add_co_i32 s13, s13, -1
	s_delay_alu instid0(SALU_CYCLE_2) | instskip(NEXT) | instid1(SALU_CYCLE_1)
	s_mul_i32 s12, s12, s5
	s_mul_hi_u32 s12, s5, s12
	s_delay_alu instid0(SALU_CYCLE_1) | instskip(NEXT) | instid1(SALU_CYCLE_1)
	s_add_co_i32 s5, s5, s12
	s_mul_hi_u32 s5, s13, s5
	s_delay_alu instid0(SALU_CYCLE_1) | instskip(SKIP_2) | instid1(SALU_CYCLE_1)
	s_mul_i32 s12, s5, s4
	s_add_co_i32 s7, s5, 1
	s_sub_co_i32 s6, s13, s12
	s_sub_co_i32 s12, s6, s4
	s_cmp_ge_u32 s6, s4
	s_cselect_b32 s5, s7, s5
	s_cselect_b32 s6, s12, s6
	s_add_co_i32 s7, s5, 1
	s_cmp_ge_u32 s6, s4
	s_cselect_b32 s5, s7, s5
	s_delay_alu instid0(SALU_CYCLE_1)
	v_cmp_ge_u32_e32 vcc_lo, s5, v6
	s_and_saveexec_b32 s5, vcc_lo
	s_cbranch_execz .LBB96_6
; %bb.1:
	v_mul_lo_u32 v0, v6, s4
	v_mov_b32_e32 v1, 0
	s_load_b128 s[4:7], s[0:1], 0x0
	s_delay_alu instid0(VALU_DEP_1) | instskip(SKIP_1) | instid1(VALU_DEP_1)
	v_min_u64 v[4:5], v[0:1], s[2:3]
	s_mov_b32 s2, exec_lo
	v_max_u64 v[0:1], v[4:5], s[10:11]
	v_min_u64 v[2:3], v[4:5], s[8:9]
	s_delay_alu instid0(VALU_DEP_2) | instskip(NEXT) | instid1(VALU_DEP_1)
	v_sub_nc_u64_e64 v[0:1], v[0:1], s[10:11]
	v_cmpx_lt_u64_e64 v[0:1], v[2:3]
	s_cbranch_execz .LBB96_5
; %bb.2:
	s_wait_xcnt 0x0
	s_load_b64 s[0:1], s[0:1], 0x18
	s_wait_kmcnt 0x0
	v_lshl_add_u64 v[4:5], v[4:5], 3, s[0:1]
	s_mov_b32 s0, 0
.LBB96_3:                               ; =>This Inner Loop Header: Depth=1
	v_add_nc_u64_e32 v[8:9], v[2:3], v[0:1]
	s_delay_alu instid0(VALU_DEP_1) | instskip(NEXT) | instid1(VALU_DEP_1)
	v_lshrrev_b64 v[8:9], 1, v[8:9]
	v_lshlrev_b64_e32 v[10:11], 3, v[8:9]
	s_delay_alu instid0(VALU_DEP_1) | instskip(NEXT) | instid1(VALU_DEP_2)
	v_xor_b32_e32 v13, -1, v11
	v_xor_b32_e32 v12, -8, v10
	v_add_nc_u64_e32 v[10:11], s[6:7], v[10:11]
	s_delay_alu instid0(VALU_DEP_2)
	v_add_nc_u64_e32 v[12:13], v[4:5], v[12:13]
	global_load_b64 v[14:15], v[10:11], off
	global_load_b64 v[16:17], v[12:13], off
	s_wait_xcnt 0x1
	v_add_nc_u64_e32 v[10:11], 1, v[8:9]
	s_wait_loadcnt 0x0
	v_cmp_lt_u64_e32 vcc_lo, v[16:17], v[14:15]
	v_dual_cndmask_b32 v3, v3, v9 :: v_dual_cndmask_b32 v2, v2, v8
	s_delay_alu instid0(VALU_DEP_3) | instskip(NEXT) | instid1(VALU_DEP_1)
	v_dual_cndmask_b32 v1, v11, v1 :: v_dual_cndmask_b32 v0, v10, v0
	v_cmp_ge_u64_e32 vcc_lo, v[0:1], v[2:3]
	s_or_b32 s0, vcc_lo, s0
	s_delay_alu instid0(SALU_CYCLE_1)
	s_and_not1_b32 exec_lo, exec_lo, s0
	s_cbranch_execnz .LBB96_3
; %bb.4:
	s_or_b32 exec_lo, exec_lo, s0
.LBB96_5:
	s_delay_alu instid0(SALU_CYCLE_1)
	s_or_b32 exec_lo, exec_lo, s2
	s_wait_kmcnt 0x0
	global_store_b32 v6, v0, s[4:5] scale_offset
.LBB96_6:
	s_endpgm
	.section	.rodata,"a",@progbits
	.p2align	6, 0x0
	.amdhsa_kernel _ZN7rocprim17ROCPRIM_400000_NS6detail17trampoline_kernelINS0_14default_configENS1_21merge_config_selectorINS0_5tupleIJyyEEENS0_10empty_typeEEEZNS1_10merge_implIS3_NS0_12zip_iteratorINS5_IJN6thrust23THRUST_200600_302600_NS6detail15normal_iteratorINSC_10device_ptrIKyEEEESI_EEEEESK_NSA_INS5_IJNSE_INSF_IyEEEESM_EEEEEPS7_SP_SP_NSC_11hip_rocprim7__merge17predicate_wrapperIyyNSC_4lessIyEEEEEE10hipError_tPvRmT0_T1_T2_T3_T4_T5_mmT6_P12ihipStream_tbEUlT_E_NS1_11comp_targetILNS1_3genE0ELNS1_11target_archE4294967295ELNS1_3gpuE0ELNS1_3repE0EEENS1_30default_config_static_selectorELNS0_4arch9wavefront6targetE0EEEvS10_
		.amdhsa_group_segment_fixed_size 0
		.amdhsa_private_segment_fixed_size 0
		.amdhsa_kernarg_size 320
		.amdhsa_user_sgpr_count 2
		.amdhsa_user_sgpr_dispatch_ptr 0
		.amdhsa_user_sgpr_queue_ptr 0
		.amdhsa_user_sgpr_kernarg_segment_ptr 1
		.amdhsa_user_sgpr_dispatch_id 0
		.amdhsa_user_sgpr_kernarg_preload_length 0
		.amdhsa_user_sgpr_kernarg_preload_offset 0
		.amdhsa_user_sgpr_private_segment_size 0
		.amdhsa_wavefront_size32 1
		.amdhsa_uses_dynamic_stack 0
		.amdhsa_enable_private_segment 0
		.amdhsa_system_sgpr_workgroup_id_x 1
		.amdhsa_system_sgpr_workgroup_id_y 0
		.amdhsa_system_sgpr_workgroup_id_z 0
		.amdhsa_system_sgpr_workgroup_info 0
		.amdhsa_system_vgpr_workitem_id 0
		.amdhsa_next_free_vgpr 18
		.amdhsa_next_free_sgpr 14
		.amdhsa_named_barrier_count 0
		.amdhsa_reserve_vcc 1
		.amdhsa_float_round_mode_32 0
		.amdhsa_float_round_mode_16_64 0
		.amdhsa_float_denorm_mode_32 3
		.amdhsa_float_denorm_mode_16_64 3
		.amdhsa_fp16_overflow 0
		.amdhsa_memory_ordered 1
		.amdhsa_forward_progress 1
		.amdhsa_inst_pref_size 4
		.amdhsa_round_robin_scheduling 0
		.amdhsa_exception_fp_ieee_invalid_op 0
		.amdhsa_exception_fp_denorm_src 0
		.amdhsa_exception_fp_ieee_div_zero 0
		.amdhsa_exception_fp_ieee_overflow 0
		.amdhsa_exception_fp_ieee_underflow 0
		.amdhsa_exception_fp_ieee_inexact 0
		.amdhsa_exception_int_div_zero 0
	.end_amdhsa_kernel
	.section	.text._ZN7rocprim17ROCPRIM_400000_NS6detail17trampoline_kernelINS0_14default_configENS1_21merge_config_selectorINS0_5tupleIJyyEEENS0_10empty_typeEEEZNS1_10merge_implIS3_NS0_12zip_iteratorINS5_IJN6thrust23THRUST_200600_302600_NS6detail15normal_iteratorINSC_10device_ptrIKyEEEESI_EEEEESK_NSA_INS5_IJNSE_INSF_IyEEEESM_EEEEEPS7_SP_SP_NSC_11hip_rocprim7__merge17predicate_wrapperIyyNSC_4lessIyEEEEEE10hipError_tPvRmT0_T1_T2_T3_T4_T5_mmT6_P12ihipStream_tbEUlT_E_NS1_11comp_targetILNS1_3genE0ELNS1_11target_archE4294967295ELNS1_3gpuE0ELNS1_3repE0EEENS1_30default_config_static_selectorELNS0_4arch9wavefront6targetE0EEEvS10_,"axG",@progbits,_ZN7rocprim17ROCPRIM_400000_NS6detail17trampoline_kernelINS0_14default_configENS1_21merge_config_selectorINS0_5tupleIJyyEEENS0_10empty_typeEEEZNS1_10merge_implIS3_NS0_12zip_iteratorINS5_IJN6thrust23THRUST_200600_302600_NS6detail15normal_iteratorINSC_10device_ptrIKyEEEESI_EEEEESK_NSA_INS5_IJNSE_INSF_IyEEEESM_EEEEEPS7_SP_SP_NSC_11hip_rocprim7__merge17predicate_wrapperIyyNSC_4lessIyEEEEEE10hipError_tPvRmT0_T1_T2_T3_T4_T5_mmT6_P12ihipStream_tbEUlT_E_NS1_11comp_targetILNS1_3genE0ELNS1_11target_archE4294967295ELNS1_3gpuE0ELNS1_3repE0EEENS1_30default_config_static_selectorELNS0_4arch9wavefront6targetE0EEEvS10_,comdat
.Lfunc_end96:
	.size	_ZN7rocprim17ROCPRIM_400000_NS6detail17trampoline_kernelINS0_14default_configENS1_21merge_config_selectorINS0_5tupleIJyyEEENS0_10empty_typeEEEZNS1_10merge_implIS3_NS0_12zip_iteratorINS5_IJN6thrust23THRUST_200600_302600_NS6detail15normal_iteratorINSC_10device_ptrIKyEEEESI_EEEEESK_NSA_INS5_IJNSE_INSF_IyEEEESM_EEEEEPS7_SP_SP_NSC_11hip_rocprim7__merge17predicate_wrapperIyyNSC_4lessIyEEEEEE10hipError_tPvRmT0_T1_T2_T3_T4_T5_mmT6_P12ihipStream_tbEUlT_E_NS1_11comp_targetILNS1_3genE0ELNS1_11target_archE4294967295ELNS1_3gpuE0ELNS1_3repE0EEENS1_30default_config_static_selectorELNS0_4arch9wavefront6targetE0EEEvS10_, .Lfunc_end96-_ZN7rocprim17ROCPRIM_400000_NS6detail17trampoline_kernelINS0_14default_configENS1_21merge_config_selectorINS0_5tupleIJyyEEENS0_10empty_typeEEEZNS1_10merge_implIS3_NS0_12zip_iteratorINS5_IJN6thrust23THRUST_200600_302600_NS6detail15normal_iteratorINSC_10device_ptrIKyEEEESI_EEEEESK_NSA_INS5_IJNSE_INSF_IyEEEESM_EEEEEPS7_SP_SP_NSC_11hip_rocprim7__merge17predicate_wrapperIyyNSC_4lessIyEEEEEE10hipError_tPvRmT0_T1_T2_T3_T4_T5_mmT6_P12ihipStream_tbEUlT_E_NS1_11comp_targetILNS1_3genE0ELNS1_11target_archE4294967295ELNS1_3gpuE0ELNS1_3repE0EEENS1_30default_config_static_selectorELNS0_4arch9wavefront6targetE0EEEvS10_
                                        ; -- End function
	.set _ZN7rocprim17ROCPRIM_400000_NS6detail17trampoline_kernelINS0_14default_configENS1_21merge_config_selectorINS0_5tupleIJyyEEENS0_10empty_typeEEEZNS1_10merge_implIS3_NS0_12zip_iteratorINS5_IJN6thrust23THRUST_200600_302600_NS6detail15normal_iteratorINSC_10device_ptrIKyEEEESI_EEEEESK_NSA_INS5_IJNSE_INSF_IyEEEESM_EEEEEPS7_SP_SP_NSC_11hip_rocprim7__merge17predicate_wrapperIyyNSC_4lessIyEEEEEE10hipError_tPvRmT0_T1_T2_T3_T4_T5_mmT6_P12ihipStream_tbEUlT_E_NS1_11comp_targetILNS1_3genE0ELNS1_11target_archE4294967295ELNS1_3gpuE0ELNS1_3repE0EEENS1_30default_config_static_selectorELNS0_4arch9wavefront6targetE0EEEvS10_.num_vgpr, 18
	.set _ZN7rocprim17ROCPRIM_400000_NS6detail17trampoline_kernelINS0_14default_configENS1_21merge_config_selectorINS0_5tupleIJyyEEENS0_10empty_typeEEEZNS1_10merge_implIS3_NS0_12zip_iteratorINS5_IJN6thrust23THRUST_200600_302600_NS6detail15normal_iteratorINSC_10device_ptrIKyEEEESI_EEEEESK_NSA_INS5_IJNSE_INSF_IyEEEESM_EEEEEPS7_SP_SP_NSC_11hip_rocprim7__merge17predicate_wrapperIyyNSC_4lessIyEEEEEE10hipError_tPvRmT0_T1_T2_T3_T4_T5_mmT6_P12ihipStream_tbEUlT_E_NS1_11comp_targetILNS1_3genE0ELNS1_11target_archE4294967295ELNS1_3gpuE0ELNS1_3repE0EEENS1_30default_config_static_selectorELNS0_4arch9wavefront6targetE0EEEvS10_.num_agpr, 0
	.set _ZN7rocprim17ROCPRIM_400000_NS6detail17trampoline_kernelINS0_14default_configENS1_21merge_config_selectorINS0_5tupleIJyyEEENS0_10empty_typeEEEZNS1_10merge_implIS3_NS0_12zip_iteratorINS5_IJN6thrust23THRUST_200600_302600_NS6detail15normal_iteratorINSC_10device_ptrIKyEEEESI_EEEEESK_NSA_INS5_IJNSE_INSF_IyEEEESM_EEEEEPS7_SP_SP_NSC_11hip_rocprim7__merge17predicate_wrapperIyyNSC_4lessIyEEEEEE10hipError_tPvRmT0_T1_T2_T3_T4_T5_mmT6_P12ihipStream_tbEUlT_E_NS1_11comp_targetILNS1_3genE0ELNS1_11target_archE4294967295ELNS1_3gpuE0ELNS1_3repE0EEENS1_30default_config_static_selectorELNS0_4arch9wavefront6targetE0EEEvS10_.numbered_sgpr, 14
	.set _ZN7rocprim17ROCPRIM_400000_NS6detail17trampoline_kernelINS0_14default_configENS1_21merge_config_selectorINS0_5tupleIJyyEEENS0_10empty_typeEEEZNS1_10merge_implIS3_NS0_12zip_iteratorINS5_IJN6thrust23THRUST_200600_302600_NS6detail15normal_iteratorINSC_10device_ptrIKyEEEESI_EEEEESK_NSA_INS5_IJNSE_INSF_IyEEEESM_EEEEEPS7_SP_SP_NSC_11hip_rocprim7__merge17predicate_wrapperIyyNSC_4lessIyEEEEEE10hipError_tPvRmT0_T1_T2_T3_T4_T5_mmT6_P12ihipStream_tbEUlT_E_NS1_11comp_targetILNS1_3genE0ELNS1_11target_archE4294967295ELNS1_3gpuE0ELNS1_3repE0EEENS1_30default_config_static_selectorELNS0_4arch9wavefront6targetE0EEEvS10_.num_named_barrier, 0
	.set _ZN7rocprim17ROCPRIM_400000_NS6detail17trampoline_kernelINS0_14default_configENS1_21merge_config_selectorINS0_5tupleIJyyEEENS0_10empty_typeEEEZNS1_10merge_implIS3_NS0_12zip_iteratorINS5_IJN6thrust23THRUST_200600_302600_NS6detail15normal_iteratorINSC_10device_ptrIKyEEEESI_EEEEESK_NSA_INS5_IJNSE_INSF_IyEEEESM_EEEEEPS7_SP_SP_NSC_11hip_rocprim7__merge17predicate_wrapperIyyNSC_4lessIyEEEEEE10hipError_tPvRmT0_T1_T2_T3_T4_T5_mmT6_P12ihipStream_tbEUlT_E_NS1_11comp_targetILNS1_3genE0ELNS1_11target_archE4294967295ELNS1_3gpuE0ELNS1_3repE0EEENS1_30default_config_static_selectorELNS0_4arch9wavefront6targetE0EEEvS10_.private_seg_size, 0
	.set _ZN7rocprim17ROCPRIM_400000_NS6detail17trampoline_kernelINS0_14default_configENS1_21merge_config_selectorINS0_5tupleIJyyEEENS0_10empty_typeEEEZNS1_10merge_implIS3_NS0_12zip_iteratorINS5_IJN6thrust23THRUST_200600_302600_NS6detail15normal_iteratorINSC_10device_ptrIKyEEEESI_EEEEESK_NSA_INS5_IJNSE_INSF_IyEEEESM_EEEEEPS7_SP_SP_NSC_11hip_rocprim7__merge17predicate_wrapperIyyNSC_4lessIyEEEEEE10hipError_tPvRmT0_T1_T2_T3_T4_T5_mmT6_P12ihipStream_tbEUlT_E_NS1_11comp_targetILNS1_3genE0ELNS1_11target_archE4294967295ELNS1_3gpuE0ELNS1_3repE0EEENS1_30default_config_static_selectorELNS0_4arch9wavefront6targetE0EEEvS10_.uses_vcc, 1
	.set _ZN7rocprim17ROCPRIM_400000_NS6detail17trampoline_kernelINS0_14default_configENS1_21merge_config_selectorINS0_5tupleIJyyEEENS0_10empty_typeEEEZNS1_10merge_implIS3_NS0_12zip_iteratorINS5_IJN6thrust23THRUST_200600_302600_NS6detail15normal_iteratorINSC_10device_ptrIKyEEEESI_EEEEESK_NSA_INS5_IJNSE_INSF_IyEEEESM_EEEEEPS7_SP_SP_NSC_11hip_rocprim7__merge17predicate_wrapperIyyNSC_4lessIyEEEEEE10hipError_tPvRmT0_T1_T2_T3_T4_T5_mmT6_P12ihipStream_tbEUlT_E_NS1_11comp_targetILNS1_3genE0ELNS1_11target_archE4294967295ELNS1_3gpuE0ELNS1_3repE0EEENS1_30default_config_static_selectorELNS0_4arch9wavefront6targetE0EEEvS10_.uses_flat_scratch, 0
	.set _ZN7rocprim17ROCPRIM_400000_NS6detail17trampoline_kernelINS0_14default_configENS1_21merge_config_selectorINS0_5tupleIJyyEEENS0_10empty_typeEEEZNS1_10merge_implIS3_NS0_12zip_iteratorINS5_IJN6thrust23THRUST_200600_302600_NS6detail15normal_iteratorINSC_10device_ptrIKyEEEESI_EEEEESK_NSA_INS5_IJNSE_INSF_IyEEEESM_EEEEEPS7_SP_SP_NSC_11hip_rocprim7__merge17predicate_wrapperIyyNSC_4lessIyEEEEEE10hipError_tPvRmT0_T1_T2_T3_T4_T5_mmT6_P12ihipStream_tbEUlT_E_NS1_11comp_targetILNS1_3genE0ELNS1_11target_archE4294967295ELNS1_3gpuE0ELNS1_3repE0EEENS1_30default_config_static_selectorELNS0_4arch9wavefront6targetE0EEEvS10_.has_dyn_sized_stack, 0
	.set _ZN7rocprim17ROCPRIM_400000_NS6detail17trampoline_kernelINS0_14default_configENS1_21merge_config_selectorINS0_5tupleIJyyEEENS0_10empty_typeEEEZNS1_10merge_implIS3_NS0_12zip_iteratorINS5_IJN6thrust23THRUST_200600_302600_NS6detail15normal_iteratorINSC_10device_ptrIKyEEEESI_EEEEESK_NSA_INS5_IJNSE_INSF_IyEEEESM_EEEEEPS7_SP_SP_NSC_11hip_rocprim7__merge17predicate_wrapperIyyNSC_4lessIyEEEEEE10hipError_tPvRmT0_T1_T2_T3_T4_T5_mmT6_P12ihipStream_tbEUlT_E_NS1_11comp_targetILNS1_3genE0ELNS1_11target_archE4294967295ELNS1_3gpuE0ELNS1_3repE0EEENS1_30default_config_static_selectorELNS0_4arch9wavefront6targetE0EEEvS10_.has_recursion, 0
	.set _ZN7rocprim17ROCPRIM_400000_NS6detail17trampoline_kernelINS0_14default_configENS1_21merge_config_selectorINS0_5tupleIJyyEEENS0_10empty_typeEEEZNS1_10merge_implIS3_NS0_12zip_iteratorINS5_IJN6thrust23THRUST_200600_302600_NS6detail15normal_iteratorINSC_10device_ptrIKyEEEESI_EEEEESK_NSA_INS5_IJNSE_INSF_IyEEEESM_EEEEEPS7_SP_SP_NSC_11hip_rocprim7__merge17predicate_wrapperIyyNSC_4lessIyEEEEEE10hipError_tPvRmT0_T1_T2_T3_T4_T5_mmT6_P12ihipStream_tbEUlT_E_NS1_11comp_targetILNS1_3genE0ELNS1_11target_archE4294967295ELNS1_3gpuE0ELNS1_3repE0EEENS1_30default_config_static_selectorELNS0_4arch9wavefront6targetE0EEEvS10_.has_indirect_call, 0
	.section	.AMDGPU.csdata,"",@progbits
; Kernel info:
; codeLenInByte = 484
; TotalNumSgprs: 16
; NumVgprs: 18
; ScratchSize: 0
; MemoryBound: 0
; FloatMode: 240
; IeeeMode: 1
; LDSByteSize: 0 bytes/workgroup (compile time only)
; SGPRBlocks: 0
; VGPRBlocks: 1
; NumSGPRsForWavesPerEU: 16
; NumVGPRsForWavesPerEU: 18
; NamedBarCnt: 0
; Occupancy: 16
; WaveLimiterHint : 0
; COMPUTE_PGM_RSRC2:SCRATCH_EN: 0
; COMPUTE_PGM_RSRC2:USER_SGPR: 2
; COMPUTE_PGM_RSRC2:TRAP_HANDLER: 0
; COMPUTE_PGM_RSRC2:TGID_X_EN: 1
; COMPUTE_PGM_RSRC2:TGID_Y_EN: 0
; COMPUTE_PGM_RSRC2:TGID_Z_EN: 0
; COMPUTE_PGM_RSRC2:TIDIG_COMP_CNT: 0
	.section	.text._ZN7rocprim17ROCPRIM_400000_NS6detail17trampoline_kernelINS0_14default_configENS1_21merge_config_selectorINS0_5tupleIJyyEEENS0_10empty_typeEEEZNS1_10merge_implIS3_NS0_12zip_iteratorINS5_IJN6thrust23THRUST_200600_302600_NS6detail15normal_iteratorINSC_10device_ptrIKyEEEESI_EEEEESK_NSA_INS5_IJNSE_INSF_IyEEEESM_EEEEEPS7_SP_SP_NSC_11hip_rocprim7__merge17predicate_wrapperIyyNSC_4lessIyEEEEEE10hipError_tPvRmT0_T1_T2_T3_T4_T5_mmT6_P12ihipStream_tbEUlT_E_NS1_11comp_targetILNS1_3genE5ELNS1_11target_archE942ELNS1_3gpuE9ELNS1_3repE0EEENS1_30default_config_static_selectorELNS0_4arch9wavefront6targetE0EEEvS10_,"axG",@progbits,_ZN7rocprim17ROCPRIM_400000_NS6detail17trampoline_kernelINS0_14default_configENS1_21merge_config_selectorINS0_5tupleIJyyEEENS0_10empty_typeEEEZNS1_10merge_implIS3_NS0_12zip_iteratorINS5_IJN6thrust23THRUST_200600_302600_NS6detail15normal_iteratorINSC_10device_ptrIKyEEEESI_EEEEESK_NSA_INS5_IJNSE_INSF_IyEEEESM_EEEEEPS7_SP_SP_NSC_11hip_rocprim7__merge17predicate_wrapperIyyNSC_4lessIyEEEEEE10hipError_tPvRmT0_T1_T2_T3_T4_T5_mmT6_P12ihipStream_tbEUlT_E_NS1_11comp_targetILNS1_3genE5ELNS1_11target_archE942ELNS1_3gpuE9ELNS1_3repE0EEENS1_30default_config_static_selectorELNS0_4arch9wavefront6targetE0EEEvS10_,comdat
	.protected	_ZN7rocprim17ROCPRIM_400000_NS6detail17trampoline_kernelINS0_14default_configENS1_21merge_config_selectorINS0_5tupleIJyyEEENS0_10empty_typeEEEZNS1_10merge_implIS3_NS0_12zip_iteratorINS5_IJN6thrust23THRUST_200600_302600_NS6detail15normal_iteratorINSC_10device_ptrIKyEEEESI_EEEEESK_NSA_INS5_IJNSE_INSF_IyEEEESM_EEEEEPS7_SP_SP_NSC_11hip_rocprim7__merge17predicate_wrapperIyyNSC_4lessIyEEEEEE10hipError_tPvRmT0_T1_T2_T3_T4_T5_mmT6_P12ihipStream_tbEUlT_E_NS1_11comp_targetILNS1_3genE5ELNS1_11target_archE942ELNS1_3gpuE9ELNS1_3repE0EEENS1_30default_config_static_selectorELNS0_4arch9wavefront6targetE0EEEvS10_ ; -- Begin function _ZN7rocprim17ROCPRIM_400000_NS6detail17trampoline_kernelINS0_14default_configENS1_21merge_config_selectorINS0_5tupleIJyyEEENS0_10empty_typeEEEZNS1_10merge_implIS3_NS0_12zip_iteratorINS5_IJN6thrust23THRUST_200600_302600_NS6detail15normal_iteratorINSC_10device_ptrIKyEEEESI_EEEEESK_NSA_INS5_IJNSE_INSF_IyEEEESM_EEEEEPS7_SP_SP_NSC_11hip_rocprim7__merge17predicate_wrapperIyyNSC_4lessIyEEEEEE10hipError_tPvRmT0_T1_T2_T3_T4_T5_mmT6_P12ihipStream_tbEUlT_E_NS1_11comp_targetILNS1_3genE5ELNS1_11target_archE942ELNS1_3gpuE9ELNS1_3repE0EEENS1_30default_config_static_selectorELNS0_4arch9wavefront6targetE0EEEvS10_
	.globl	_ZN7rocprim17ROCPRIM_400000_NS6detail17trampoline_kernelINS0_14default_configENS1_21merge_config_selectorINS0_5tupleIJyyEEENS0_10empty_typeEEEZNS1_10merge_implIS3_NS0_12zip_iteratorINS5_IJN6thrust23THRUST_200600_302600_NS6detail15normal_iteratorINSC_10device_ptrIKyEEEESI_EEEEESK_NSA_INS5_IJNSE_INSF_IyEEEESM_EEEEEPS7_SP_SP_NSC_11hip_rocprim7__merge17predicate_wrapperIyyNSC_4lessIyEEEEEE10hipError_tPvRmT0_T1_T2_T3_T4_T5_mmT6_P12ihipStream_tbEUlT_E_NS1_11comp_targetILNS1_3genE5ELNS1_11target_archE942ELNS1_3gpuE9ELNS1_3repE0EEENS1_30default_config_static_selectorELNS0_4arch9wavefront6targetE0EEEvS10_
	.p2align	8
	.type	_ZN7rocprim17ROCPRIM_400000_NS6detail17trampoline_kernelINS0_14default_configENS1_21merge_config_selectorINS0_5tupleIJyyEEENS0_10empty_typeEEEZNS1_10merge_implIS3_NS0_12zip_iteratorINS5_IJN6thrust23THRUST_200600_302600_NS6detail15normal_iteratorINSC_10device_ptrIKyEEEESI_EEEEESK_NSA_INS5_IJNSE_INSF_IyEEEESM_EEEEEPS7_SP_SP_NSC_11hip_rocprim7__merge17predicate_wrapperIyyNSC_4lessIyEEEEEE10hipError_tPvRmT0_T1_T2_T3_T4_T5_mmT6_P12ihipStream_tbEUlT_E_NS1_11comp_targetILNS1_3genE5ELNS1_11target_archE942ELNS1_3gpuE9ELNS1_3repE0EEENS1_30default_config_static_selectorELNS0_4arch9wavefront6targetE0EEEvS10_,@function
_ZN7rocprim17ROCPRIM_400000_NS6detail17trampoline_kernelINS0_14default_configENS1_21merge_config_selectorINS0_5tupleIJyyEEENS0_10empty_typeEEEZNS1_10merge_implIS3_NS0_12zip_iteratorINS5_IJN6thrust23THRUST_200600_302600_NS6detail15normal_iteratorINSC_10device_ptrIKyEEEESI_EEEEESK_NSA_INS5_IJNSE_INSF_IyEEEESM_EEEEEPS7_SP_SP_NSC_11hip_rocprim7__merge17predicate_wrapperIyyNSC_4lessIyEEEEEE10hipError_tPvRmT0_T1_T2_T3_T4_T5_mmT6_P12ihipStream_tbEUlT_E_NS1_11comp_targetILNS1_3genE5ELNS1_11target_archE942ELNS1_3gpuE9ELNS1_3repE0EEENS1_30default_config_static_selectorELNS0_4arch9wavefront6targetE0EEEvS10_: ; @_ZN7rocprim17ROCPRIM_400000_NS6detail17trampoline_kernelINS0_14default_configENS1_21merge_config_selectorINS0_5tupleIJyyEEENS0_10empty_typeEEEZNS1_10merge_implIS3_NS0_12zip_iteratorINS5_IJN6thrust23THRUST_200600_302600_NS6detail15normal_iteratorINSC_10device_ptrIKyEEEESI_EEEEESK_NSA_INS5_IJNSE_INSF_IyEEEESM_EEEEEPS7_SP_SP_NSC_11hip_rocprim7__merge17predicate_wrapperIyyNSC_4lessIyEEEEEE10hipError_tPvRmT0_T1_T2_T3_T4_T5_mmT6_P12ihipStream_tbEUlT_E_NS1_11comp_targetILNS1_3genE5ELNS1_11target_archE942ELNS1_3gpuE9ELNS1_3repE0EEENS1_30default_config_static_selectorELNS0_4arch9wavefront6targetE0EEEvS10_
; %bb.0:
	.section	.rodata,"a",@progbits
	.p2align	6, 0x0
	.amdhsa_kernel _ZN7rocprim17ROCPRIM_400000_NS6detail17trampoline_kernelINS0_14default_configENS1_21merge_config_selectorINS0_5tupleIJyyEEENS0_10empty_typeEEEZNS1_10merge_implIS3_NS0_12zip_iteratorINS5_IJN6thrust23THRUST_200600_302600_NS6detail15normal_iteratorINSC_10device_ptrIKyEEEESI_EEEEESK_NSA_INS5_IJNSE_INSF_IyEEEESM_EEEEEPS7_SP_SP_NSC_11hip_rocprim7__merge17predicate_wrapperIyyNSC_4lessIyEEEEEE10hipError_tPvRmT0_T1_T2_T3_T4_T5_mmT6_P12ihipStream_tbEUlT_E_NS1_11comp_targetILNS1_3genE5ELNS1_11target_archE942ELNS1_3gpuE9ELNS1_3repE0EEENS1_30default_config_static_selectorELNS0_4arch9wavefront6targetE0EEEvS10_
		.amdhsa_group_segment_fixed_size 0
		.amdhsa_private_segment_fixed_size 0
		.amdhsa_kernarg_size 64
		.amdhsa_user_sgpr_count 2
		.amdhsa_user_sgpr_dispatch_ptr 0
		.amdhsa_user_sgpr_queue_ptr 0
		.amdhsa_user_sgpr_kernarg_segment_ptr 1
		.amdhsa_user_sgpr_dispatch_id 0
		.amdhsa_user_sgpr_kernarg_preload_length 0
		.amdhsa_user_sgpr_kernarg_preload_offset 0
		.amdhsa_user_sgpr_private_segment_size 0
		.amdhsa_wavefront_size32 1
		.amdhsa_uses_dynamic_stack 0
		.amdhsa_enable_private_segment 0
		.amdhsa_system_sgpr_workgroup_id_x 1
		.amdhsa_system_sgpr_workgroup_id_y 0
		.amdhsa_system_sgpr_workgroup_id_z 0
		.amdhsa_system_sgpr_workgroup_info 0
		.amdhsa_system_vgpr_workitem_id 0
		.amdhsa_next_free_vgpr 1
		.amdhsa_next_free_sgpr 1
		.amdhsa_named_barrier_count 0
		.amdhsa_reserve_vcc 0
		.amdhsa_float_round_mode_32 0
		.amdhsa_float_round_mode_16_64 0
		.amdhsa_float_denorm_mode_32 3
		.amdhsa_float_denorm_mode_16_64 3
		.amdhsa_fp16_overflow 0
		.amdhsa_memory_ordered 1
		.amdhsa_forward_progress 1
		.amdhsa_inst_pref_size 0
		.amdhsa_round_robin_scheduling 0
		.amdhsa_exception_fp_ieee_invalid_op 0
		.amdhsa_exception_fp_denorm_src 0
		.amdhsa_exception_fp_ieee_div_zero 0
		.amdhsa_exception_fp_ieee_overflow 0
		.amdhsa_exception_fp_ieee_underflow 0
		.amdhsa_exception_fp_ieee_inexact 0
		.amdhsa_exception_int_div_zero 0
	.end_amdhsa_kernel
	.section	.text._ZN7rocprim17ROCPRIM_400000_NS6detail17trampoline_kernelINS0_14default_configENS1_21merge_config_selectorINS0_5tupleIJyyEEENS0_10empty_typeEEEZNS1_10merge_implIS3_NS0_12zip_iteratorINS5_IJN6thrust23THRUST_200600_302600_NS6detail15normal_iteratorINSC_10device_ptrIKyEEEESI_EEEEESK_NSA_INS5_IJNSE_INSF_IyEEEESM_EEEEEPS7_SP_SP_NSC_11hip_rocprim7__merge17predicate_wrapperIyyNSC_4lessIyEEEEEE10hipError_tPvRmT0_T1_T2_T3_T4_T5_mmT6_P12ihipStream_tbEUlT_E_NS1_11comp_targetILNS1_3genE5ELNS1_11target_archE942ELNS1_3gpuE9ELNS1_3repE0EEENS1_30default_config_static_selectorELNS0_4arch9wavefront6targetE0EEEvS10_,"axG",@progbits,_ZN7rocprim17ROCPRIM_400000_NS6detail17trampoline_kernelINS0_14default_configENS1_21merge_config_selectorINS0_5tupleIJyyEEENS0_10empty_typeEEEZNS1_10merge_implIS3_NS0_12zip_iteratorINS5_IJN6thrust23THRUST_200600_302600_NS6detail15normal_iteratorINSC_10device_ptrIKyEEEESI_EEEEESK_NSA_INS5_IJNSE_INSF_IyEEEESM_EEEEEPS7_SP_SP_NSC_11hip_rocprim7__merge17predicate_wrapperIyyNSC_4lessIyEEEEEE10hipError_tPvRmT0_T1_T2_T3_T4_T5_mmT6_P12ihipStream_tbEUlT_E_NS1_11comp_targetILNS1_3genE5ELNS1_11target_archE942ELNS1_3gpuE9ELNS1_3repE0EEENS1_30default_config_static_selectorELNS0_4arch9wavefront6targetE0EEEvS10_,comdat
.Lfunc_end97:
	.size	_ZN7rocprim17ROCPRIM_400000_NS6detail17trampoline_kernelINS0_14default_configENS1_21merge_config_selectorINS0_5tupleIJyyEEENS0_10empty_typeEEEZNS1_10merge_implIS3_NS0_12zip_iteratorINS5_IJN6thrust23THRUST_200600_302600_NS6detail15normal_iteratorINSC_10device_ptrIKyEEEESI_EEEEESK_NSA_INS5_IJNSE_INSF_IyEEEESM_EEEEEPS7_SP_SP_NSC_11hip_rocprim7__merge17predicate_wrapperIyyNSC_4lessIyEEEEEE10hipError_tPvRmT0_T1_T2_T3_T4_T5_mmT6_P12ihipStream_tbEUlT_E_NS1_11comp_targetILNS1_3genE5ELNS1_11target_archE942ELNS1_3gpuE9ELNS1_3repE0EEENS1_30default_config_static_selectorELNS0_4arch9wavefront6targetE0EEEvS10_, .Lfunc_end97-_ZN7rocprim17ROCPRIM_400000_NS6detail17trampoline_kernelINS0_14default_configENS1_21merge_config_selectorINS0_5tupleIJyyEEENS0_10empty_typeEEEZNS1_10merge_implIS3_NS0_12zip_iteratorINS5_IJN6thrust23THRUST_200600_302600_NS6detail15normal_iteratorINSC_10device_ptrIKyEEEESI_EEEEESK_NSA_INS5_IJNSE_INSF_IyEEEESM_EEEEEPS7_SP_SP_NSC_11hip_rocprim7__merge17predicate_wrapperIyyNSC_4lessIyEEEEEE10hipError_tPvRmT0_T1_T2_T3_T4_T5_mmT6_P12ihipStream_tbEUlT_E_NS1_11comp_targetILNS1_3genE5ELNS1_11target_archE942ELNS1_3gpuE9ELNS1_3repE0EEENS1_30default_config_static_selectorELNS0_4arch9wavefront6targetE0EEEvS10_
                                        ; -- End function
	.set _ZN7rocprim17ROCPRIM_400000_NS6detail17trampoline_kernelINS0_14default_configENS1_21merge_config_selectorINS0_5tupleIJyyEEENS0_10empty_typeEEEZNS1_10merge_implIS3_NS0_12zip_iteratorINS5_IJN6thrust23THRUST_200600_302600_NS6detail15normal_iteratorINSC_10device_ptrIKyEEEESI_EEEEESK_NSA_INS5_IJNSE_INSF_IyEEEESM_EEEEEPS7_SP_SP_NSC_11hip_rocprim7__merge17predicate_wrapperIyyNSC_4lessIyEEEEEE10hipError_tPvRmT0_T1_T2_T3_T4_T5_mmT6_P12ihipStream_tbEUlT_E_NS1_11comp_targetILNS1_3genE5ELNS1_11target_archE942ELNS1_3gpuE9ELNS1_3repE0EEENS1_30default_config_static_selectorELNS0_4arch9wavefront6targetE0EEEvS10_.num_vgpr, 0
	.set _ZN7rocprim17ROCPRIM_400000_NS6detail17trampoline_kernelINS0_14default_configENS1_21merge_config_selectorINS0_5tupleIJyyEEENS0_10empty_typeEEEZNS1_10merge_implIS3_NS0_12zip_iteratorINS5_IJN6thrust23THRUST_200600_302600_NS6detail15normal_iteratorINSC_10device_ptrIKyEEEESI_EEEEESK_NSA_INS5_IJNSE_INSF_IyEEEESM_EEEEEPS7_SP_SP_NSC_11hip_rocprim7__merge17predicate_wrapperIyyNSC_4lessIyEEEEEE10hipError_tPvRmT0_T1_T2_T3_T4_T5_mmT6_P12ihipStream_tbEUlT_E_NS1_11comp_targetILNS1_3genE5ELNS1_11target_archE942ELNS1_3gpuE9ELNS1_3repE0EEENS1_30default_config_static_selectorELNS0_4arch9wavefront6targetE0EEEvS10_.num_agpr, 0
	.set _ZN7rocprim17ROCPRIM_400000_NS6detail17trampoline_kernelINS0_14default_configENS1_21merge_config_selectorINS0_5tupleIJyyEEENS0_10empty_typeEEEZNS1_10merge_implIS3_NS0_12zip_iteratorINS5_IJN6thrust23THRUST_200600_302600_NS6detail15normal_iteratorINSC_10device_ptrIKyEEEESI_EEEEESK_NSA_INS5_IJNSE_INSF_IyEEEESM_EEEEEPS7_SP_SP_NSC_11hip_rocprim7__merge17predicate_wrapperIyyNSC_4lessIyEEEEEE10hipError_tPvRmT0_T1_T2_T3_T4_T5_mmT6_P12ihipStream_tbEUlT_E_NS1_11comp_targetILNS1_3genE5ELNS1_11target_archE942ELNS1_3gpuE9ELNS1_3repE0EEENS1_30default_config_static_selectorELNS0_4arch9wavefront6targetE0EEEvS10_.numbered_sgpr, 0
	.set _ZN7rocprim17ROCPRIM_400000_NS6detail17trampoline_kernelINS0_14default_configENS1_21merge_config_selectorINS0_5tupleIJyyEEENS0_10empty_typeEEEZNS1_10merge_implIS3_NS0_12zip_iteratorINS5_IJN6thrust23THRUST_200600_302600_NS6detail15normal_iteratorINSC_10device_ptrIKyEEEESI_EEEEESK_NSA_INS5_IJNSE_INSF_IyEEEESM_EEEEEPS7_SP_SP_NSC_11hip_rocprim7__merge17predicate_wrapperIyyNSC_4lessIyEEEEEE10hipError_tPvRmT0_T1_T2_T3_T4_T5_mmT6_P12ihipStream_tbEUlT_E_NS1_11comp_targetILNS1_3genE5ELNS1_11target_archE942ELNS1_3gpuE9ELNS1_3repE0EEENS1_30default_config_static_selectorELNS0_4arch9wavefront6targetE0EEEvS10_.num_named_barrier, 0
	.set _ZN7rocprim17ROCPRIM_400000_NS6detail17trampoline_kernelINS0_14default_configENS1_21merge_config_selectorINS0_5tupleIJyyEEENS0_10empty_typeEEEZNS1_10merge_implIS3_NS0_12zip_iteratorINS5_IJN6thrust23THRUST_200600_302600_NS6detail15normal_iteratorINSC_10device_ptrIKyEEEESI_EEEEESK_NSA_INS5_IJNSE_INSF_IyEEEESM_EEEEEPS7_SP_SP_NSC_11hip_rocprim7__merge17predicate_wrapperIyyNSC_4lessIyEEEEEE10hipError_tPvRmT0_T1_T2_T3_T4_T5_mmT6_P12ihipStream_tbEUlT_E_NS1_11comp_targetILNS1_3genE5ELNS1_11target_archE942ELNS1_3gpuE9ELNS1_3repE0EEENS1_30default_config_static_selectorELNS0_4arch9wavefront6targetE0EEEvS10_.private_seg_size, 0
	.set _ZN7rocprim17ROCPRIM_400000_NS6detail17trampoline_kernelINS0_14default_configENS1_21merge_config_selectorINS0_5tupleIJyyEEENS0_10empty_typeEEEZNS1_10merge_implIS3_NS0_12zip_iteratorINS5_IJN6thrust23THRUST_200600_302600_NS6detail15normal_iteratorINSC_10device_ptrIKyEEEESI_EEEEESK_NSA_INS5_IJNSE_INSF_IyEEEESM_EEEEEPS7_SP_SP_NSC_11hip_rocprim7__merge17predicate_wrapperIyyNSC_4lessIyEEEEEE10hipError_tPvRmT0_T1_T2_T3_T4_T5_mmT6_P12ihipStream_tbEUlT_E_NS1_11comp_targetILNS1_3genE5ELNS1_11target_archE942ELNS1_3gpuE9ELNS1_3repE0EEENS1_30default_config_static_selectorELNS0_4arch9wavefront6targetE0EEEvS10_.uses_vcc, 0
	.set _ZN7rocprim17ROCPRIM_400000_NS6detail17trampoline_kernelINS0_14default_configENS1_21merge_config_selectorINS0_5tupleIJyyEEENS0_10empty_typeEEEZNS1_10merge_implIS3_NS0_12zip_iteratorINS5_IJN6thrust23THRUST_200600_302600_NS6detail15normal_iteratorINSC_10device_ptrIKyEEEESI_EEEEESK_NSA_INS5_IJNSE_INSF_IyEEEESM_EEEEEPS7_SP_SP_NSC_11hip_rocprim7__merge17predicate_wrapperIyyNSC_4lessIyEEEEEE10hipError_tPvRmT0_T1_T2_T3_T4_T5_mmT6_P12ihipStream_tbEUlT_E_NS1_11comp_targetILNS1_3genE5ELNS1_11target_archE942ELNS1_3gpuE9ELNS1_3repE0EEENS1_30default_config_static_selectorELNS0_4arch9wavefront6targetE0EEEvS10_.uses_flat_scratch, 0
	.set _ZN7rocprim17ROCPRIM_400000_NS6detail17trampoline_kernelINS0_14default_configENS1_21merge_config_selectorINS0_5tupleIJyyEEENS0_10empty_typeEEEZNS1_10merge_implIS3_NS0_12zip_iteratorINS5_IJN6thrust23THRUST_200600_302600_NS6detail15normal_iteratorINSC_10device_ptrIKyEEEESI_EEEEESK_NSA_INS5_IJNSE_INSF_IyEEEESM_EEEEEPS7_SP_SP_NSC_11hip_rocprim7__merge17predicate_wrapperIyyNSC_4lessIyEEEEEE10hipError_tPvRmT0_T1_T2_T3_T4_T5_mmT6_P12ihipStream_tbEUlT_E_NS1_11comp_targetILNS1_3genE5ELNS1_11target_archE942ELNS1_3gpuE9ELNS1_3repE0EEENS1_30default_config_static_selectorELNS0_4arch9wavefront6targetE0EEEvS10_.has_dyn_sized_stack, 0
	.set _ZN7rocprim17ROCPRIM_400000_NS6detail17trampoline_kernelINS0_14default_configENS1_21merge_config_selectorINS0_5tupleIJyyEEENS0_10empty_typeEEEZNS1_10merge_implIS3_NS0_12zip_iteratorINS5_IJN6thrust23THRUST_200600_302600_NS6detail15normal_iteratorINSC_10device_ptrIKyEEEESI_EEEEESK_NSA_INS5_IJNSE_INSF_IyEEEESM_EEEEEPS7_SP_SP_NSC_11hip_rocprim7__merge17predicate_wrapperIyyNSC_4lessIyEEEEEE10hipError_tPvRmT0_T1_T2_T3_T4_T5_mmT6_P12ihipStream_tbEUlT_E_NS1_11comp_targetILNS1_3genE5ELNS1_11target_archE942ELNS1_3gpuE9ELNS1_3repE0EEENS1_30default_config_static_selectorELNS0_4arch9wavefront6targetE0EEEvS10_.has_recursion, 0
	.set _ZN7rocprim17ROCPRIM_400000_NS6detail17trampoline_kernelINS0_14default_configENS1_21merge_config_selectorINS0_5tupleIJyyEEENS0_10empty_typeEEEZNS1_10merge_implIS3_NS0_12zip_iteratorINS5_IJN6thrust23THRUST_200600_302600_NS6detail15normal_iteratorINSC_10device_ptrIKyEEEESI_EEEEESK_NSA_INS5_IJNSE_INSF_IyEEEESM_EEEEEPS7_SP_SP_NSC_11hip_rocprim7__merge17predicate_wrapperIyyNSC_4lessIyEEEEEE10hipError_tPvRmT0_T1_T2_T3_T4_T5_mmT6_P12ihipStream_tbEUlT_E_NS1_11comp_targetILNS1_3genE5ELNS1_11target_archE942ELNS1_3gpuE9ELNS1_3repE0EEENS1_30default_config_static_selectorELNS0_4arch9wavefront6targetE0EEEvS10_.has_indirect_call, 0
	.section	.AMDGPU.csdata,"",@progbits
; Kernel info:
; codeLenInByte = 0
; TotalNumSgprs: 0
; NumVgprs: 0
; ScratchSize: 0
; MemoryBound: 0
; FloatMode: 240
; IeeeMode: 1
; LDSByteSize: 0 bytes/workgroup (compile time only)
; SGPRBlocks: 0
; VGPRBlocks: 0
; NumSGPRsForWavesPerEU: 1
; NumVGPRsForWavesPerEU: 1
; NamedBarCnt: 0
; Occupancy: 16
; WaveLimiterHint : 0
; COMPUTE_PGM_RSRC2:SCRATCH_EN: 0
; COMPUTE_PGM_RSRC2:USER_SGPR: 2
; COMPUTE_PGM_RSRC2:TRAP_HANDLER: 0
; COMPUTE_PGM_RSRC2:TGID_X_EN: 1
; COMPUTE_PGM_RSRC2:TGID_Y_EN: 0
; COMPUTE_PGM_RSRC2:TGID_Z_EN: 0
; COMPUTE_PGM_RSRC2:TIDIG_COMP_CNT: 0
	.section	.text._ZN7rocprim17ROCPRIM_400000_NS6detail17trampoline_kernelINS0_14default_configENS1_21merge_config_selectorINS0_5tupleIJyyEEENS0_10empty_typeEEEZNS1_10merge_implIS3_NS0_12zip_iteratorINS5_IJN6thrust23THRUST_200600_302600_NS6detail15normal_iteratorINSC_10device_ptrIKyEEEESI_EEEEESK_NSA_INS5_IJNSE_INSF_IyEEEESM_EEEEEPS7_SP_SP_NSC_11hip_rocprim7__merge17predicate_wrapperIyyNSC_4lessIyEEEEEE10hipError_tPvRmT0_T1_T2_T3_T4_T5_mmT6_P12ihipStream_tbEUlT_E_NS1_11comp_targetILNS1_3genE4ELNS1_11target_archE910ELNS1_3gpuE8ELNS1_3repE0EEENS1_30default_config_static_selectorELNS0_4arch9wavefront6targetE0EEEvS10_,"axG",@progbits,_ZN7rocprim17ROCPRIM_400000_NS6detail17trampoline_kernelINS0_14default_configENS1_21merge_config_selectorINS0_5tupleIJyyEEENS0_10empty_typeEEEZNS1_10merge_implIS3_NS0_12zip_iteratorINS5_IJN6thrust23THRUST_200600_302600_NS6detail15normal_iteratorINSC_10device_ptrIKyEEEESI_EEEEESK_NSA_INS5_IJNSE_INSF_IyEEEESM_EEEEEPS7_SP_SP_NSC_11hip_rocprim7__merge17predicate_wrapperIyyNSC_4lessIyEEEEEE10hipError_tPvRmT0_T1_T2_T3_T4_T5_mmT6_P12ihipStream_tbEUlT_E_NS1_11comp_targetILNS1_3genE4ELNS1_11target_archE910ELNS1_3gpuE8ELNS1_3repE0EEENS1_30default_config_static_selectorELNS0_4arch9wavefront6targetE0EEEvS10_,comdat
	.protected	_ZN7rocprim17ROCPRIM_400000_NS6detail17trampoline_kernelINS0_14default_configENS1_21merge_config_selectorINS0_5tupleIJyyEEENS0_10empty_typeEEEZNS1_10merge_implIS3_NS0_12zip_iteratorINS5_IJN6thrust23THRUST_200600_302600_NS6detail15normal_iteratorINSC_10device_ptrIKyEEEESI_EEEEESK_NSA_INS5_IJNSE_INSF_IyEEEESM_EEEEEPS7_SP_SP_NSC_11hip_rocprim7__merge17predicate_wrapperIyyNSC_4lessIyEEEEEE10hipError_tPvRmT0_T1_T2_T3_T4_T5_mmT6_P12ihipStream_tbEUlT_E_NS1_11comp_targetILNS1_3genE4ELNS1_11target_archE910ELNS1_3gpuE8ELNS1_3repE0EEENS1_30default_config_static_selectorELNS0_4arch9wavefront6targetE0EEEvS10_ ; -- Begin function _ZN7rocprim17ROCPRIM_400000_NS6detail17trampoline_kernelINS0_14default_configENS1_21merge_config_selectorINS0_5tupleIJyyEEENS0_10empty_typeEEEZNS1_10merge_implIS3_NS0_12zip_iteratorINS5_IJN6thrust23THRUST_200600_302600_NS6detail15normal_iteratorINSC_10device_ptrIKyEEEESI_EEEEESK_NSA_INS5_IJNSE_INSF_IyEEEESM_EEEEEPS7_SP_SP_NSC_11hip_rocprim7__merge17predicate_wrapperIyyNSC_4lessIyEEEEEE10hipError_tPvRmT0_T1_T2_T3_T4_T5_mmT6_P12ihipStream_tbEUlT_E_NS1_11comp_targetILNS1_3genE4ELNS1_11target_archE910ELNS1_3gpuE8ELNS1_3repE0EEENS1_30default_config_static_selectorELNS0_4arch9wavefront6targetE0EEEvS10_
	.globl	_ZN7rocprim17ROCPRIM_400000_NS6detail17trampoline_kernelINS0_14default_configENS1_21merge_config_selectorINS0_5tupleIJyyEEENS0_10empty_typeEEEZNS1_10merge_implIS3_NS0_12zip_iteratorINS5_IJN6thrust23THRUST_200600_302600_NS6detail15normal_iteratorINSC_10device_ptrIKyEEEESI_EEEEESK_NSA_INS5_IJNSE_INSF_IyEEEESM_EEEEEPS7_SP_SP_NSC_11hip_rocprim7__merge17predicate_wrapperIyyNSC_4lessIyEEEEEE10hipError_tPvRmT0_T1_T2_T3_T4_T5_mmT6_P12ihipStream_tbEUlT_E_NS1_11comp_targetILNS1_3genE4ELNS1_11target_archE910ELNS1_3gpuE8ELNS1_3repE0EEENS1_30default_config_static_selectorELNS0_4arch9wavefront6targetE0EEEvS10_
	.p2align	8
	.type	_ZN7rocprim17ROCPRIM_400000_NS6detail17trampoline_kernelINS0_14default_configENS1_21merge_config_selectorINS0_5tupleIJyyEEENS0_10empty_typeEEEZNS1_10merge_implIS3_NS0_12zip_iteratorINS5_IJN6thrust23THRUST_200600_302600_NS6detail15normal_iteratorINSC_10device_ptrIKyEEEESI_EEEEESK_NSA_INS5_IJNSE_INSF_IyEEEESM_EEEEEPS7_SP_SP_NSC_11hip_rocprim7__merge17predicate_wrapperIyyNSC_4lessIyEEEEEE10hipError_tPvRmT0_T1_T2_T3_T4_T5_mmT6_P12ihipStream_tbEUlT_E_NS1_11comp_targetILNS1_3genE4ELNS1_11target_archE910ELNS1_3gpuE8ELNS1_3repE0EEENS1_30default_config_static_selectorELNS0_4arch9wavefront6targetE0EEEvS10_,@function
_ZN7rocprim17ROCPRIM_400000_NS6detail17trampoline_kernelINS0_14default_configENS1_21merge_config_selectorINS0_5tupleIJyyEEENS0_10empty_typeEEEZNS1_10merge_implIS3_NS0_12zip_iteratorINS5_IJN6thrust23THRUST_200600_302600_NS6detail15normal_iteratorINSC_10device_ptrIKyEEEESI_EEEEESK_NSA_INS5_IJNSE_INSF_IyEEEESM_EEEEEPS7_SP_SP_NSC_11hip_rocprim7__merge17predicate_wrapperIyyNSC_4lessIyEEEEEE10hipError_tPvRmT0_T1_T2_T3_T4_T5_mmT6_P12ihipStream_tbEUlT_E_NS1_11comp_targetILNS1_3genE4ELNS1_11target_archE910ELNS1_3gpuE8ELNS1_3repE0EEENS1_30default_config_static_selectorELNS0_4arch9wavefront6targetE0EEEvS10_: ; @_ZN7rocprim17ROCPRIM_400000_NS6detail17trampoline_kernelINS0_14default_configENS1_21merge_config_selectorINS0_5tupleIJyyEEENS0_10empty_typeEEEZNS1_10merge_implIS3_NS0_12zip_iteratorINS5_IJN6thrust23THRUST_200600_302600_NS6detail15normal_iteratorINSC_10device_ptrIKyEEEESI_EEEEESK_NSA_INS5_IJNSE_INSF_IyEEEESM_EEEEEPS7_SP_SP_NSC_11hip_rocprim7__merge17predicate_wrapperIyyNSC_4lessIyEEEEEE10hipError_tPvRmT0_T1_T2_T3_T4_T5_mmT6_P12ihipStream_tbEUlT_E_NS1_11comp_targetILNS1_3genE4ELNS1_11target_archE910ELNS1_3gpuE8ELNS1_3repE0EEENS1_30default_config_static_selectorELNS0_4arch9wavefront6targetE0EEEvS10_
; %bb.0:
	.section	.rodata,"a",@progbits
	.p2align	6, 0x0
	.amdhsa_kernel _ZN7rocprim17ROCPRIM_400000_NS6detail17trampoline_kernelINS0_14default_configENS1_21merge_config_selectorINS0_5tupleIJyyEEENS0_10empty_typeEEEZNS1_10merge_implIS3_NS0_12zip_iteratorINS5_IJN6thrust23THRUST_200600_302600_NS6detail15normal_iteratorINSC_10device_ptrIKyEEEESI_EEEEESK_NSA_INS5_IJNSE_INSF_IyEEEESM_EEEEEPS7_SP_SP_NSC_11hip_rocprim7__merge17predicate_wrapperIyyNSC_4lessIyEEEEEE10hipError_tPvRmT0_T1_T2_T3_T4_T5_mmT6_P12ihipStream_tbEUlT_E_NS1_11comp_targetILNS1_3genE4ELNS1_11target_archE910ELNS1_3gpuE8ELNS1_3repE0EEENS1_30default_config_static_selectorELNS0_4arch9wavefront6targetE0EEEvS10_
		.amdhsa_group_segment_fixed_size 0
		.amdhsa_private_segment_fixed_size 0
		.amdhsa_kernarg_size 64
		.amdhsa_user_sgpr_count 2
		.amdhsa_user_sgpr_dispatch_ptr 0
		.amdhsa_user_sgpr_queue_ptr 0
		.amdhsa_user_sgpr_kernarg_segment_ptr 1
		.amdhsa_user_sgpr_dispatch_id 0
		.amdhsa_user_sgpr_kernarg_preload_length 0
		.amdhsa_user_sgpr_kernarg_preload_offset 0
		.amdhsa_user_sgpr_private_segment_size 0
		.amdhsa_wavefront_size32 1
		.amdhsa_uses_dynamic_stack 0
		.amdhsa_enable_private_segment 0
		.amdhsa_system_sgpr_workgroup_id_x 1
		.amdhsa_system_sgpr_workgroup_id_y 0
		.amdhsa_system_sgpr_workgroup_id_z 0
		.amdhsa_system_sgpr_workgroup_info 0
		.amdhsa_system_vgpr_workitem_id 0
		.amdhsa_next_free_vgpr 1
		.amdhsa_next_free_sgpr 1
		.amdhsa_named_barrier_count 0
		.amdhsa_reserve_vcc 0
		.amdhsa_float_round_mode_32 0
		.amdhsa_float_round_mode_16_64 0
		.amdhsa_float_denorm_mode_32 3
		.amdhsa_float_denorm_mode_16_64 3
		.amdhsa_fp16_overflow 0
		.amdhsa_memory_ordered 1
		.amdhsa_forward_progress 1
		.amdhsa_inst_pref_size 0
		.amdhsa_round_robin_scheduling 0
		.amdhsa_exception_fp_ieee_invalid_op 0
		.amdhsa_exception_fp_denorm_src 0
		.amdhsa_exception_fp_ieee_div_zero 0
		.amdhsa_exception_fp_ieee_overflow 0
		.amdhsa_exception_fp_ieee_underflow 0
		.amdhsa_exception_fp_ieee_inexact 0
		.amdhsa_exception_int_div_zero 0
	.end_amdhsa_kernel
	.section	.text._ZN7rocprim17ROCPRIM_400000_NS6detail17trampoline_kernelINS0_14default_configENS1_21merge_config_selectorINS0_5tupleIJyyEEENS0_10empty_typeEEEZNS1_10merge_implIS3_NS0_12zip_iteratorINS5_IJN6thrust23THRUST_200600_302600_NS6detail15normal_iteratorINSC_10device_ptrIKyEEEESI_EEEEESK_NSA_INS5_IJNSE_INSF_IyEEEESM_EEEEEPS7_SP_SP_NSC_11hip_rocprim7__merge17predicate_wrapperIyyNSC_4lessIyEEEEEE10hipError_tPvRmT0_T1_T2_T3_T4_T5_mmT6_P12ihipStream_tbEUlT_E_NS1_11comp_targetILNS1_3genE4ELNS1_11target_archE910ELNS1_3gpuE8ELNS1_3repE0EEENS1_30default_config_static_selectorELNS0_4arch9wavefront6targetE0EEEvS10_,"axG",@progbits,_ZN7rocprim17ROCPRIM_400000_NS6detail17trampoline_kernelINS0_14default_configENS1_21merge_config_selectorINS0_5tupleIJyyEEENS0_10empty_typeEEEZNS1_10merge_implIS3_NS0_12zip_iteratorINS5_IJN6thrust23THRUST_200600_302600_NS6detail15normal_iteratorINSC_10device_ptrIKyEEEESI_EEEEESK_NSA_INS5_IJNSE_INSF_IyEEEESM_EEEEEPS7_SP_SP_NSC_11hip_rocprim7__merge17predicate_wrapperIyyNSC_4lessIyEEEEEE10hipError_tPvRmT0_T1_T2_T3_T4_T5_mmT6_P12ihipStream_tbEUlT_E_NS1_11comp_targetILNS1_3genE4ELNS1_11target_archE910ELNS1_3gpuE8ELNS1_3repE0EEENS1_30default_config_static_selectorELNS0_4arch9wavefront6targetE0EEEvS10_,comdat
.Lfunc_end98:
	.size	_ZN7rocprim17ROCPRIM_400000_NS6detail17trampoline_kernelINS0_14default_configENS1_21merge_config_selectorINS0_5tupleIJyyEEENS0_10empty_typeEEEZNS1_10merge_implIS3_NS0_12zip_iteratorINS5_IJN6thrust23THRUST_200600_302600_NS6detail15normal_iteratorINSC_10device_ptrIKyEEEESI_EEEEESK_NSA_INS5_IJNSE_INSF_IyEEEESM_EEEEEPS7_SP_SP_NSC_11hip_rocprim7__merge17predicate_wrapperIyyNSC_4lessIyEEEEEE10hipError_tPvRmT0_T1_T2_T3_T4_T5_mmT6_P12ihipStream_tbEUlT_E_NS1_11comp_targetILNS1_3genE4ELNS1_11target_archE910ELNS1_3gpuE8ELNS1_3repE0EEENS1_30default_config_static_selectorELNS0_4arch9wavefront6targetE0EEEvS10_, .Lfunc_end98-_ZN7rocprim17ROCPRIM_400000_NS6detail17trampoline_kernelINS0_14default_configENS1_21merge_config_selectorINS0_5tupleIJyyEEENS0_10empty_typeEEEZNS1_10merge_implIS3_NS0_12zip_iteratorINS5_IJN6thrust23THRUST_200600_302600_NS6detail15normal_iteratorINSC_10device_ptrIKyEEEESI_EEEEESK_NSA_INS5_IJNSE_INSF_IyEEEESM_EEEEEPS7_SP_SP_NSC_11hip_rocprim7__merge17predicate_wrapperIyyNSC_4lessIyEEEEEE10hipError_tPvRmT0_T1_T2_T3_T4_T5_mmT6_P12ihipStream_tbEUlT_E_NS1_11comp_targetILNS1_3genE4ELNS1_11target_archE910ELNS1_3gpuE8ELNS1_3repE0EEENS1_30default_config_static_selectorELNS0_4arch9wavefront6targetE0EEEvS10_
                                        ; -- End function
	.set _ZN7rocprim17ROCPRIM_400000_NS6detail17trampoline_kernelINS0_14default_configENS1_21merge_config_selectorINS0_5tupleIJyyEEENS0_10empty_typeEEEZNS1_10merge_implIS3_NS0_12zip_iteratorINS5_IJN6thrust23THRUST_200600_302600_NS6detail15normal_iteratorINSC_10device_ptrIKyEEEESI_EEEEESK_NSA_INS5_IJNSE_INSF_IyEEEESM_EEEEEPS7_SP_SP_NSC_11hip_rocprim7__merge17predicate_wrapperIyyNSC_4lessIyEEEEEE10hipError_tPvRmT0_T1_T2_T3_T4_T5_mmT6_P12ihipStream_tbEUlT_E_NS1_11comp_targetILNS1_3genE4ELNS1_11target_archE910ELNS1_3gpuE8ELNS1_3repE0EEENS1_30default_config_static_selectorELNS0_4arch9wavefront6targetE0EEEvS10_.num_vgpr, 0
	.set _ZN7rocprim17ROCPRIM_400000_NS6detail17trampoline_kernelINS0_14default_configENS1_21merge_config_selectorINS0_5tupleIJyyEEENS0_10empty_typeEEEZNS1_10merge_implIS3_NS0_12zip_iteratorINS5_IJN6thrust23THRUST_200600_302600_NS6detail15normal_iteratorINSC_10device_ptrIKyEEEESI_EEEEESK_NSA_INS5_IJNSE_INSF_IyEEEESM_EEEEEPS7_SP_SP_NSC_11hip_rocprim7__merge17predicate_wrapperIyyNSC_4lessIyEEEEEE10hipError_tPvRmT0_T1_T2_T3_T4_T5_mmT6_P12ihipStream_tbEUlT_E_NS1_11comp_targetILNS1_3genE4ELNS1_11target_archE910ELNS1_3gpuE8ELNS1_3repE0EEENS1_30default_config_static_selectorELNS0_4arch9wavefront6targetE0EEEvS10_.num_agpr, 0
	.set _ZN7rocprim17ROCPRIM_400000_NS6detail17trampoline_kernelINS0_14default_configENS1_21merge_config_selectorINS0_5tupleIJyyEEENS0_10empty_typeEEEZNS1_10merge_implIS3_NS0_12zip_iteratorINS5_IJN6thrust23THRUST_200600_302600_NS6detail15normal_iteratorINSC_10device_ptrIKyEEEESI_EEEEESK_NSA_INS5_IJNSE_INSF_IyEEEESM_EEEEEPS7_SP_SP_NSC_11hip_rocprim7__merge17predicate_wrapperIyyNSC_4lessIyEEEEEE10hipError_tPvRmT0_T1_T2_T3_T4_T5_mmT6_P12ihipStream_tbEUlT_E_NS1_11comp_targetILNS1_3genE4ELNS1_11target_archE910ELNS1_3gpuE8ELNS1_3repE0EEENS1_30default_config_static_selectorELNS0_4arch9wavefront6targetE0EEEvS10_.numbered_sgpr, 0
	.set _ZN7rocprim17ROCPRIM_400000_NS6detail17trampoline_kernelINS0_14default_configENS1_21merge_config_selectorINS0_5tupleIJyyEEENS0_10empty_typeEEEZNS1_10merge_implIS3_NS0_12zip_iteratorINS5_IJN6thrust23THRUST_200600_302600_NS6detail15normal_iteratorINSC_10device_ptrIKyEEEESI_EEEEESK_NSA_INS5_IJNSE_INSF_IyEEEESM_EEEEEPS7_SP_SP_NSC_11hip_rocprim7__merge17predicate_wrapperIyyNSC_4lessIyEEEEEE10hipError_tPvRmT0_T1_T2_T3_T4_T5_mmT6_P12ihipStream_tbEUlT_E_NS1_11comp_targetILNS1_3genE4ELNS1_11target_archE910ELNS1_3gpuE8ELNS1_3repE0EEENS1_30default_config_static_selectorELNS0_4arch9wavefront6targetE0EEEvS10_.num_named_barrier, 0
	.set _ZN7rocprim17ROCPRIM_400000_NS6detail17trampoline_kernelINS0_14default_configENS1_21merge_config_selectorINS0_5tupleIJyyEEENS0_10empty_typeEEEZNS1_10merge_implIS3_NS0_12zip_iteratorINS5_IJN6thrust23THRUST_200600_302600_NS6detail15normal_iteratorINSC_10device_ptrIKyEEEESI_EEEEESK_NSA_INS5_IJNSE_INSF_IyEEEESM_EEEEEPS7_SP_SP_NSC_11hip_rocprim7__merge17predicate_wrapperIyyNSC_4lessIyEEEEEE10hipError_tPvRmT0_T1_T2_T3_T4_T5_mmT6_P12ihipStream_tbEUlT_E_NS1_11comp_targetILNS1_3genE4ELNS1_11target_archE910ELNS1_3gpuE8ELNS1_3repE0EEENS1_30default_config_static_selectorELNS0_4arch9wavefront6targetE0EEEvS10_.private_seg_size, 0
	.set _ZN7rocprim17ROCPRIM_400000_NS6detail17trampoline_kernelINS0_14default_configENS1_21merge_config_selectorINS0_5tupleIJyyEEENS0_10empty_typeEEEZNS1_10merge_implIS3_NS0_12zip_iteratorINS5_IJN6thrust23THRUST_200600_302600_NS6detail15normal_iteratorINSC_10device_ptrIKyEEEESI_EEEEESK_NSA_INS5_IJNSE_INSF_IyEEEESM_EEEEEPS7_SP_SP_NSC_11hip_rocprim7__merge17predicate_wrapperIyyNSC_4lessIyEEEEEE10hipError_tPvRmT0_T1_T2_T3_T4_T5_mmT6_P12ihipStream_tbEUlT_E_NS1_11comp_targetILNS1_3genE4ELNS1_11target_archE910ELNS1_3gpuE8ELNS1_3repE0EEENS1_30default_config_static_selectorELNS0_4arch9wavefront6targetE0EEEvS10_.uses_vcc, 0
	.set _ZN7rocprim17ROCPRIM_400000_NS6detail17trampoline_kernelINS0_14default_configENS1_21merge_config_selectorINS0_5tupleIJyyEEENS0_10empty_typeEEEZNS1_10merge_implIS3_NS0_12zip_iteratorINS5_IJN6thrust23THRUST_200600_302600_NS6detail15normal_iteratorINSC_10device_ptrIKyEEEESI_EEEEESK_NSA_INS5_IJNSE_INSF_IyEEEESM_EEEEEPS7_SP_SP_NSC_11hip_rocprim7__merge17predicate_wrapperIyyNSC_4lessIyEEEEEE10hipError_tPvRmT0_T1_T2_T3_T4_T5_mmT6_P12ihipStream_tbEUlT_E_NS1_11comp_targetILNS1_3genE4ELNS1_11target_archE910ELNS1_3gpuE8ELNS1_3repE0EEENS1_30default_config_static_selectorELNS0_4arch9wavefront6targetE0EEEvS10_.uses_flat_scratch, 0
	.set _ZN7rocprim17ROCPRIM_400000_NS6detail17trampoline_kernelINS0_14default_configENS1_21merge_config_selectorINS0_5tupleIJyyEEENS0_10empty_typeEEEZNS1_10merge_implIS3_NS0_12zip_iteratorINS5_IJN6thrust23THRUST_200600_302600_NS6detail15normal_iteratorINSC_10device_ptrIKyEEEESI_EEEEESK_NSA_INS5_IJNSE_INSF_IyEEEESM_EEEEEPS7_SP_SP_NSC_11hip_rocprim7__merge17predicate_wrapperIyyNSC_4lessIyEEEEEE10hipError_tPvRmT0_T1_T2_T3_T4_T5_mmT6_P12ihipStream_tbEUlT_E_NS1_11comp_targetILNS1_3genE4ELNS1_11target_archE910ELNS1_3gpuE8ELNS1_3repE0EEENS1_30default_config_static_selectorELNS0_4arch9wavefront6targetE0EEEvS10_.has_dyn_sized_stack, 0
	.set _ZN7rocprim17ROCPRIM_400000_NS6detail17trampoline_kernelINS0_14default_configENS1_21merge_config_selectorINS0_5tupleIJyyEEENS0_10empty_typeEEEZNS1_10merge_implIS3_NS0_12zip_iteratorINS5_IJN6thrust23THRUST_200600_302600_NS6detail15normal_iteratorINSC_10device_ptrIKyEEEESI_EEEEESK_NSA_INS5_IJNSE_INSF_IyEEEESM_EEEEEPS7_SP_SP_NSC_11hip_rocprim7__merge17predicate_wrapperIyyNSC_4lessIyEEEEEE10hipError_tPvRmT0_T1_T2_T3_T4_T5_mmT6_P12ihipStream_tbEUlT_E_NS1_11comp_targetILNS1_3genE4ELNS1_11target_archE910ELNS1_3gpuE8ELNS1_3repE0EEENS1_30default_config_static_selectorELNS0_4arch9wavefront6targetE0EEEvS10_.has_recursion, 0
	.set _ZN7rocprim17ROCPRIM_400000_NS6detail17trampoline_kernelINS0_14default_configENS1_21merge_config_selectorINS0_5tupleIJyyEEENS0_10empty_typeEEEZNS1_10merge_implIS3_NS0_12zip_iteratorINS5_IJN6thrust23THRUST_200600_302600_NS6detail15normal_iteratorINSC_10device_ptrIKyEEEESI_EEEEESK_NSA_INS5_IJNSE_INSF_IyEEEESM_EEEEEPS7_SP_SP_NSC_11hip_rocprim7__merge17predicate_wrapperIyyNSC_4lessIyEEEEEE10hipError_tPvRmT0_T1_T2_T3_T4_T5_mmT6_P12ihipStream_tbEUlT_E_NS1_11comp_targetILNS1_3genE4ELNS1_11target_archE910ELNS1_3gpuE8ELNS1_3repE0EEENS1_30default_config_static_selectorELNS0_4arch9wavefront6targetE0EEEvS10_.has_indirect_call, 0
	.section	.AMDGPU.csdata,"",@progbits
; Kernel info:
; codeLenInByte = 0
; TotalNumSgprs: 0
; NumVgprs: 0
; ScratchSize: 0
; MemoryBound: 0
; FloatMode: 240
; IeeeMode: 1
; LDSByteSize: 0 bytes/workgroup (compile time only)
; SGPRBlocks: 0
; VGPRBlocks: 0
; NumSGPRsForWavesPerEU: 1
; NumVGPRsForWavesPerEU: 1
; NamedBarCnt: 0
; Occupancy: 16
; WaveLimiterHint : 0
; COMPUTE_PGM_RSRC2:SCRATCH_EN: 0
; COMPUTE_PGM_RSRC2:USER_SGPR: 2
; COMPUTE_PGM_RSRC2:TRAP_HANDLER: 0
; COMPUTE_PGM_RSRC2:TGID_X_EN: 1
; COMPUTE_PGM_RSRC2:TGID_Y_EN: 0
; COMPUTE_PGM_RSRC2:TGID_Z_EN: 0
; COMPUTE_PGM_RSRC2:TIDIG_COMP_CNT: 0
	.section	.text._ZN7rocprim17ROCPRIM_400000_NS6detail17trampoline_kernelINS0_14default_configENS1_21merge_config_selectorINS0_5tupleIJyyEEENS0_10empty_typeEEEZNS1_10merge_implIS3_NS0_12zip_iteratorINS5_IJN6thrust23THRUST_200600_302600_NS6detail15normal_iteratorINSC_10device_ptrIKyEEEESI_EEEEESK_NSA_INS5_IJNSE_INSF_IyEEEESM_EEEEEPS7_SP_SP_NSC_11hip_rocprim7__merge17predicate_wrapperIyyNSC_4lessIyEEEEEE10hipError_tPvRmT0_T1_T2_T3_T4_T5_mmT6_P12ihipStream_tbEUlT_E_NS1_11comp_targetILNS1_3genE3ELNS1_11target_archE908ELNS1_3gpuE7ELNS1_3repE0EEENS1_30default_config_static_selectorELNS0_4arch9wavefront6targetE0EEEvS10_,"axG",@progbits,_ZN7rocprim17ROCPRIM_400000_NS6detail17trampoline_kernelINS0_14default_configENS1_21merge_config_selectorINS0_5tupleIJyyEEENS0_10empty_typeEEEZNS1_10merge_implIS3_NS0_12zip_iteratorINS5_IJN6thrust23THRUST_200600_302600_NS6detail15normal_iteratorINSC_10device_ptrIKyEEEESI_EEEEESK_NSA_INS5_IJNSE_INSF_IyEEEESM_EEEEEPS7_SP_SP_NSC_11hip_rocprim7__merge17predicate_wrapperIyyNSC_4lessIyEEEEEE10hipError_tPvRmT0_T1_T2_T3_T4_T5_mmT6_P12ihipStream_tbEUlT_E_NS1_11comp_targetILNS1_3genE3ELNS1_11target_archE908ELNS1_3gpuE7ELNS1_3repE0EEENS1_30default_config_static_selectorELNS0_4arch9wavefront6targetE0EEEvS10_,comdat
	.protected	_ZN7rocprim17ROCPRIM_400000_NS6detail17trampoline_kernelINS0_14default_configENS1_21merge_config_selectorINS0_5tupleIJyyEEENS0_10empty_typeEEEZNS1_10merge_implIS3_NS0_12zip_iteratorINS5_IJN6thrust23THRUST_200600_302600_NS6detail15normal_iteratorINSC_10device_ptrIKyEEEESI_EEEEESK_NSA_INS5_IJNSE_INSF_IyEEEESM_EEEEEPS7_SP_SP_NSC_11hip_rocprim7__merge17predicate_wrapperIyyNSC_4lessIyEEEEEE10hipError_tPvRmT0_T1_T2_T3_T4_T5_mmT6_P12ihipStream_tbEUlT_E_NS1_11comp_targetILNS1_3genE3ELNS1_11target_archE908ELNS1_3gpuE7ELNS1_3repE0EEENS1_30default_config_static_selectorELNS0_4arch9wavefront6targetE0EEEvS10_ ; -- Begin function _ZN7rocprim17ROCPRIM_400000_NS6detail17trampoline_kernelINS0_14default_configENS1_21merge_config_selectorINS0_5tupleIJyyEEENS0_10empty_typeEEEZNS1_10merge_implIS3_NS0_12zip_iteratorINS5_IJN6thrust23THRUST_200600_302600_NS6detail15normal_iteratorINSC_10device_ptrIKyEEEESI_EEEEESK_NSA_INS5_IJNSE_INSF_IyEEEESM_EEEEEPS7_SP_SP_NSC_11hip_rocprim7__merge17predicate_wrapperIyyNSC_4lessIyEEEEEE10hipError_tPvRmT0_T1_T2_T3_T4_T5_mmT6_P12ihipStream_tbEUlT_E_NS1_11comp_targetILNS1_3genE3ELNS1_11target_archE908ELNS1_3gpuE7ELNS1_3repE0EEENS1_30default_config_static_selectorELNS0_4arch9wavefront6targetE0EEEvS10_
	.globl	_ZN7rocprim17ROCPRIM_400000_NS6detail17trampoline_kernelINS0_14default_configENS1_21merge_config_selectorINS0_5tupleIJyyEEENS0_10empty_typeEEEZNS1_10merge_implIS3_NS0_12zip_iteratorINS5_IJN6thrust23THRUST_200600_302600_NS6detail15normal_iteratorINSC_10device_ptrIKyEEEESI_EEEEESK_NSA_INS5_IJNSE_INSF_IyEEEESM_EEEEEPS7_SP_SP_NSC_11hip_rocprim7__merge17predicate_wrapperIyyNSC_4lessIyEEEEEE10hipError_tPvRmT0_T1_T2_T3_T4_T5_mmT6_P12ihipStream_tbEUlT_E_NS1_11comp_targetILNS1_3genE3ELNS1_11target_archE908ELNS1_3gpuE7ELNS1_3repE0EEENS1_30default_config_static_selectorELNS0_4arch9wavefront6targetE0EEEvS10_
	.p2align	8
	.type	_ZN7rocprim17ROCPRIM_400000_NS6detail17trampoline_kernelINS0_14default_configENS1_21merge_config_selectorINS0_5tupleIJyyEEENS0_10empty_typeEEEZNS1_10merge_implIS3_NS0_12zip_iteratorINS5_IJN6thrust23THRUST_200600_302600_NS6detail15normal_iteratorINSC_10device_ptrIKyEEEESI_EEEEESK_NSA_INS5_IJNSE_INSF_IyEEEESM_EEEEEPS7_SP_SP_NSC_11hip_rocprim7__merge17predicate_wrapperIyyNSC_4lessIyEEEEEE10hipError_tPvRmT0_T1_T2_T3_T4_T5_mmT6_P12ihipStream_tbEUlT_E_NS1_11comp_targetILNS1_3genE3ELNS1_11target_archE908ELNS1_3gpuE7ELNS1_3repE0EEENS1_30default_config_static_selectorELNS0_4arch9wavefront6targetE0EEEvS10_,@function
_ZN7rocprim17ROCPRIM_400000_NS6detail17trampoline_kernelINS0_14default_configENS1_21merge_config_selectorINS0_5tupleIJyyEEENS0_10empty_typeEEEZNS1_10merge_implIS3_NS0_12zip_iteratorINS5_IJN6thrust23THRUST_200600_302600_NS6detail15normal_iteratorINSC_10device_ptrIKyEEEESI_EEEEESK_NSA_INS5_IJNSE_INSF_IyEEEESM_EEEEEPS7_SP_SP_NSC_11hip_rocprim7__merge17predicate_wrapperIyyNSC_4lessIyEEEEEE10hipError_tPvRmT0_T1_T2_T3_T4_T5_mmT6_P12ihipStream_tbEUlT_E_NS1_11comp_targetILNS1_3genE3ELNS1_11target_archE908ELNS1_3gpuE7ELNS1_3repE0EEENS1_30default_config_static_selectorELNS0_4arch9wavefront6targetE0EEEvS10_: ; @_ZN7rocprim17ROCPRIM_400000_NS6detail17trampoline_kernelINS0_14default_configENS1_21merge_config_selectorINS0_5tupleIJyyEEENS0_10empty_typeEEEZNS1_10merge_implIS3_NS0_12zip_iteratorINS5_IJN6thrust23THRUST_200600_302600_NS6detail15normal_iteratorINSC_10device_ptrIKyEEEESI_EEEEESK_NSA_INS5_IJNSE_INSF_IyEEEESM_EEEEEPS7_SP_SP_NSC_11hip_rocprim7__merge17predicate_wrapperIyyNSC_4lessIyEEEEEE10hipError_tPvRmT0_T1_T2_T3_T4_T5_mmT6_P12ihipStream_tbEUlT_E_NS1_11comp_targetILNS1_3genE3ELNS1_11target_archE908ELNS1_3gpuE7ELNS1_3repE0EEENS1_30default_config_static_selectorELNS0_4arch9wavefront6targetE0EEEvS10_
; %bb.0:
	.section	.rodata,"a",@progbits
	.p2align	6, 0x0
	.amdhsa_kernel _ZN7rocprim17ROCPRIM_400000_NS6detail17trampoline_kernelINS0_14default_configENS1_21merge_config_selectorINS0_5tupleIJyyEEENS0_10empty_typeEEEZNS1_10merge_implIS3_NS0_12zip_iteratorINS5_IJN6thrust23THRUST_200600_302600_NS6detail15normal_iteratorINSC_10device_ptrIKyEEEESI_EEEEESK_NSA_INS5_IJNSE_INSF_IyEEEESM_EEEEEPS7_SP_SP_NSC_11hip_rocprim7__merge17predicate_wrapperIyyNSC_4lessIyEEEEEE10hipError_tPvRmT0_T1_T2_T3_T4_T5_mmT6_P12ihipStream_tbEUlT_E_NS1_11comp_targetILNS1_3genE3ELNS1_11target_archE908ELNS1_3gpuE7ELNS1_3repE0EEENS1_30default_config_static_selectorELNS0_4arch9wavefront6targetE0EEEvS10_
		.amdhsa_group_segment_fixed_size 0
		.amdhsa_private_segment_fixed_size 0
		.amdhsa_kernarg_size 64
		.amdhsa_user_sgpr_count 2
		.amdhsa_user_sgpr_dispatch_ptr 0
		.amdhsa_user_sgpr_queue_ptr 0
		.amdhsa_user_sgpr_kernarg_segment_ptr 1
		.amdhsa_user_sgpr_dispatch_id 0
		.amdhsa_user_sgpr_kernarg_preload_length 0
		.amdhsa_user_sgpr_kernarg_preload_offset 0
		.amdhsa_user_sgpr_private_segment_size 0
		.amdhsa_wavefront_size32 1
		.amdhsa_uses_dynamic_stack 0
		.amdhsa_enable_private_segment 0
		.amdhsa_system_sgpr_workgroup_id_x 1
		.amdhsa_system_sgpr_workgroup_id_y 0
		.amdhsa_system_sgpr_workgroup_id_z 0
		.amdhsa_system_sgpr_workgroup_info 0
		.amdhsa_system_vgpr_workitem_id 0
		.amdhsa_next_free_vgpr 1
		.amdhsa_next_free_sgpr 1
		.amdhsa_named_barrier_count 0
		.amdhsa_reserve_vcc 0
		.amdhsa_float_round_mode_32 0
		.amdhsa_float_round_mode_16_64 0
		.amdhsa_float_denorm_mode_32 3
		.amdhsa_float_denorm_mode_16_64 3
		.amdhsa_fp16_overflow 0
		.amdhsa_memory_ordered 1
		.amdhsa_forward_progress 1
		.amdhsa_inst_pref_size 0
		.amdhsa_round_robin_scheduling 0
		.amdhsa_exception_fp_ieee_invalid_op 0
		.amdhsa_exception_fp_denorm_src 0
		.amdhsa_exception_fp_ieee_div_zero 0
		.amdhsa_exception_fp_ieee_overflow 0
		.amdhsa_exception_fp_ieee_underflow 0
		.amdhsa_exception_fp_ieee_inexact 0
		.amdhsa_exception_int_div_zero 0
	.end_amdhsa_kernel
	.section	.text._ZN7rocprim17ROCPRIM_400000_NS6detail17trampoline_kernelINS0_14default_configENS1_21merge_config_selectorINS0_5tupleIJyyEEENS0_10empty_typeEEEZNS1_10merge_implIS3_NS0_12zip_iteratorINS5_IJN6thrust23THRUST_200600_302600_NS6detail15normal_iteratorINSC_10device_ptrIKyEEEESI_EEEEESK_NSA_INS5_IJNSE_INSF_IyEEEESM_EEEEEPS7_SP_SP_NSC_11hip_rocprim7__merge17predicate_wrapperIyyNSC_4lessIyEEEEEE10hipError_tPvRmT0_T1_T2_T3_T4_T5_mmT6_P12ihipStream_tbEUlT_E_NS1_11comp_targetILNS1_3genE3ELNS1_11target_archE908ELNS1_3gpuE7ELNS1_3repE0EEENS1_30default_config_static_selectorELNS0_4arch9wavefront6targetE0EEEvS10_,"axG",@progbits,_ZN7rocprim17ROCPRIM_400000_NS6detail17trampoline_kernelINS0_14default_configENS1_21merge_config_selectorINS0_5tupleIJyyEEENS0_10empty_typeEEEZNS1_10merge_implIS3_NS0_12zip_iteratorINS5_IJN6thrust23THRUST_200600_302600_NS6detail15normal_iteratorINSC_10device_ptrIKyEEEESI_EEEEESK_NSA_INS5_IJNSE_INSF_IyEEEESM_EEEEEPS7_SP_SP_NSC_11hip_rocprim7__merge17predicate_wrapperIyyNSC_4lessIyEEEEEE10hipError_tPvRmT0_T1_T2_T3_T4_T5_mmT6_P12ihipStream_tbEUlT_E_NS1_11comp_targetILNS1_3genE3ELNS1_11target_archE908ELNS1_3gpuE7ELNS1_3repE0EEENS1_30default_config_static_selectorELNS0_4arch9wavefront6targetE0EEEvS10_,comdat
.Lfunc_end99:
	.size	_ZN7rocprim17ROCPRIM_400000_NS6detail17trampoline_kernelINS0_14default_configENS1_21merge_config_selectorINS0_5tupleIJyyEEENS0_10empty_typeEEEZNS1_10merge_implIS3_NS0_12zip_iteratorINS5_IJN6thrust23THRUST_200600_302600_NS6detail15normal_iteratorINSC_10device_ptrIKyEEEESI_EEEEESK_NSA_INS5_IJNSE_INSF_IyEEEESM_EEEEEPS7_SP_SP_NSC_11hip_rocprim7__merge17predicate_wrapperIyyNSC_4lessIyEEEEEE10hipError_tPvRmT0_T1_T2_T3_T4_T5_mmT6_P12ihipStream_tbEUlT_E_NS1_11comp_targetILNS1_3genE3ELNS1_11target_archE908ELNS1_3gpuE7ELNS1_3repE0EEENS1_30default_config_static_selectorELNS0_4arch9wavefront6targetE0EEEvS10_, .Lfunc_end99-_ZN7rocprim17ROCPRIM_400000_NS6detail17trampoline_kernelINS0_14default_configENS1_21merge_config_selectorINS0_5tupleIJyyEEENS0_10empty_typeEEEZNS1_10merge_implIS3_NS0_12zip_iteratorINS5_IJN6thrust23THRUST_200600_302600_NS6detail15normal_iteratorINSC_10device_ptrIKyEEEESI_EEEEESK_NSA_INS5_IJNSE_INSF_IyEEEESM_EEEEEPS7_SP_SP_NSC_11hip_rocprim7__merge17predicate_wrapperIyyNSC_4lessIyEEEEEE10hipError_tPvRmT0_T1_T2_T3_T4_T5_mmT6_P12ihipStream_tbEUlT_E_NS1_11comp_targetILNS1_3genE3ELNS1_11target_archE908ELNS1_3gpuE7ELNS1_3repE0EEENS1_30default_config_static_selectorELNS0_4arch9wavefront6targetE0EEEvS10_
                                        ; -- End function
	.set _ZN7rocprim17ROCPRIM_400000_NS6detail17trampoline_kernelINS0_14default_configENS1_21merge_config_selectorINS0_5tupleIJyyEEENS0_10empty_typeEEEZNS1_10merge_implIS3_NS0_12zip_iteratorINS5_IJN6thrust23THRUST_200600_302600_NS6detail15normal_iteratorINSC_10device_ptrIKyEEEESI_EEEEESK_NSA_INS5_IJNSE_INSF_IyEEEESM_EEEEEPS7_SP_SP_NSC_11hip_rocprim7__merge17predicate_wrapperIyyNSC_4lessIyEEEEEE10hipError_tPvRmT0_T1_T2_T3_T4_T5_mmT6_P12ihipStream_tbEUlT_E_NS1_11comp_targetILNS1_3genE3ELNS1_11target_archE908ELNS1_3gpuE7ELNS1_3repE0EEENS1_30default_config_static_selectorELNS0_4arch9wavefront6targetE0EEEvS10_.num_vgpr, 0
	.set _ZN7rocprim17ROCPRIM_400000_NS6detail17trampoline_kernelINS0_14default_configENS1_21merge_config_selectorINS0_5tupleIJyyEEENS0_10empty_typeEEEZNS1_10merge_implIS3_NS0_12zip_iteratorINS5_IJN6thrust23THRUST_200600_302600_NS6detail15normal_iteratorINSC_10device_ptrIKyEEEESI_EEEEESK_NSA_INS5_IJNSE_INSF_IyEEEESM_EEEEEPS7_SP_SP_NSC_11hip_rocprim7__merge17predicate_wrapperIyyNSC_4lessIyEEEEEE10hipError_tPvRmT0_T1_T2_T3_T4_T5_mmT6_P12ihipStream_tbEUlT_E_NS1_11comp_targetILNS1_3genE3ELNS1_11target_archE908ELNS1_3gpuE7ELNS1_3repE0EEENS1_30default_config_static_selectorELNS0_4arch9wavefront6targetE0EEEvS10_.num_agpr, 0
	.set _ZN7rocprim17ROCPRIM_400000_NS6detail17trampoline_kernelINS0_14default_configENS1_21merge_config_selectorINS0_5tupleIJyyEEENS0_10empty_typeEEEZNS1_10merge_implIS3_NS0_12zip_iteratorINS5_IJN6thrust23THRUST_200600_302600_NS6detail15normal_iteratorINSC_10device_ptrIKyEEEESI_EEEEESK_NSA_INS5_IJNSE_INSF_IyEEEESM_EEEEEPS7_SP_SP_NSC_11hip_rocprim7__merge17predicate_wrapperIyyNSC_4lessIyEEEEEE10hipError_tPvRmT0_T1_T2_T3_T4_T5_mmT6_P12ihipStream_tbEUlT_E_NS1_11comp_targetILNS1_3genE3ELNS1_11target_archE908ELNS1_3gpuE7ELNS1_3repE0EEENS1_30default_config_static_selectorELNS0_4arch9wavefront6targetE0EEEvS10_.numbered_sgpr, 0
	.set _ZN7rocprim17ROCPRIM_400000_NS6detail17trampoline_kernelINS0_14default_configENS1_21merge_config_selectorINS0_5tupleIJyyEEENS0_10empty_typeEEEZNS1_10merge_implIS3_NS0_12zip_iteratorINS5_IJN6thrust23THRUST_200600_302600_NS6detail15normal_iteratorINSC_10device_ptrIKyEEEESI_EEEEESK_NSA_INS5_IJNSE_INSF_IyEEEESM_EEEEEPS7_SP_SP_NSC_11hip_rocprim7__merge17predicate_wrapperIyyNSC_4lessIyEEEEEE10hipError_tPvRmT0_T1_T2_T3_T4_T5_mmT6_P12ihipStream_tbEUlT_E_NS1_11comp_targetILNS1_3genE3ELNS1_11target_archE908ELNS1_3gpuE7ELNS1_3repE0EEENS1_30default_config_static_selectorELNS0_4arch9wavefront6targetE0EEEvS10_.num_named_barrier, 0
	.set _ZN7rocprim17ROCPRIM_400000_NS6detail17trampoline_kernelINS0_14default_configENS1_21merge_config_selectorINS0_5tupleIJyyEEENS0_10empty_typeEEEZNS1_10merge_implIS3_NS0_12zip_iteratorINS5_IJN6thrust23THRUST_200600_302600_NS6detail15normal_iteratorINSC_10device_ptrIKyEEEESI_EEEEESK_NSA_INS5_IJNSE_INSF_IyEEEESM_EEEEEPS7_SP_SP_NSC_11hip_rocprim7__merge17predicate_wrapperIyyNSC_4lessIyEEEEEE10hipError_tPvRmT0_T1_T2_T3_T4_T5_mmT6_P12ihipStream_tbEUlT_E_NS1_11comp_targetILNS1_3genE3ELNS1_11target_archE908ELNS1_3gpuE7ELNS1_3repE0EEENS1_30default_config_static_selectorELNS0_4arch9wavefront6targetE0EEEvS10_.private_seg_size, 0
	.set _ZN7rocprim17ROCPRIM_400000_NS6detail17trampoline_kernelINS0_14default_configENS1_21merge_config_selectorINS0_5tupleIJyyEEENS0_10empty_typeEEEZNS1_10merge_implIS3_NS0_12zip_iteratorINS5_IJN6thrust23THRUST_200600_302600_NS6detail15normal_iteratorINSC_10device_ptrIKyEEEESI_EEEEESK_NSA_INS5_IJNSE_INSF_IyEEEESM_EEEEEPS7_SP_SP_NSC_11hip_rocprim7__merge17predicate_wrapperIyyNSC_4lessIyEEEEEE10hipError_tPvRmT0_T1_T2_T3_T4_T5_mmT6_P12ihipStream_tbEUlT_E_NS1_11comp_targetILNS1_3genE3ELNS1_11target_archE908ELNS1_3gpuE7ELNS1_3repE0EEENS1_30default_config_static_selectorELNS0_4arch9wavefront6targetE0EEEvS10_.uses_vcc, 0
	.set _ZN7rocprim17ROCPRIM_400000_NS6detail17trampoline_kernelINS0_14default_configENS1_21merge_config_selectorINS0_5tupleIJyyEEENS0_10empty_typeEEEZNS1_10merge_implIS3_NS0_12zip_iteratorINS5_IJN6thrust23THRUST_200600_302600_NS6detail15normal_iteratorINSC_10device_ptrIKyEEEESI_EEEEESK_NSA_INS5_IJNSE_INSF_IyEEEESM_EEEEEPS7_SP_SP_NSC_11hip_rocprim7__merge17predicate_wrapperIyyNSC_4lessIyEEEEEE10hipError_tPvRmT0_T1_T2_T3_T4_T5_mmT6_P12ihipStream_tbEUlT_E_NS1_11comp_targetILNS1_3genE3ELNS1_11target_archE908ELNS1_3gpuE7ELNS1_3repE0EEENS1_30default_config_static_selectorELNS0_4arch9wavefront6targetE0EEEvS10_.uses_flat_scratch, 0
	.set _ZN7rocprim17ROCPRIM_400000_NS6detail17trampoline_kernelINS0_14default_configENS1_21merge_config_selectorINS0_5tupleIJyyEEENS0_10empty_typeEEEZNS1_10merge_implIS3_NS0_12zip_iteratorINS5_IJN6thrust23THRUST_200600_302600_NS6detail15normal_iteratorINSC_10device_ptrIKyEEEESI_EEEEESK_NSA_INS5_IJNSE_INSF_IyEEEESM_EEEEEPS7_SP_SP_NSC_11hip_rocprim7__merge17predicate_wrapperIyyNSC_4lessIyEEEEEE10hipError_tPvRmT0_T1_T2_T3_T4_T5_mmT6_P12ihipStream_tbEUlT_E_NS1_11comp_targetILNS1_3genE3ELNS1_11target_archE908ELNS1_3gpuE7ELNS1_3repE0EEENS1_30default_config_static_selectorELNS0_4arch9wavefront6targetE0EEEvS10_.has_dyn_sized_stack, 0
	.set _ZN7rocprim17ROCPRIM_400000_NS6detail17trampoline_kernelINS0_14default_configENS1_21merge_config_selectorINS0_5tupleIJyyEEENS0_10empty_typeEEEZNS1_10merge_implIS3_NS0_12zip_iteratorINS5_IJN6thrust23THRUST_200600_302600_NS6detail15normal_iteratorINSC_10device_ptrIKyEEEESI_EEEEESK_NSA_INS5_IJNSE_INSF_IyEEEESM_EEEEEPS7_SP_SP_NSC_11hip_rocprim7__merge17predicate_wrapperIyyNSC_4lessIyEEEEEE10hipError_tPvRmT0_T1_T2_T3_T4_T5_mmT6_P12ihipStream_tbEUlT_E_NS1_11comp_targetILNS1_3genE3ELNS1_11target_archE908ELNS1_3gpuE7ELNS1_3repE0EEENS1_30default_config_static_selectorELNS0_4arch9wavefront6targetE0EEEvS10_.has_recursion, 0
	.set _ZN7rocprim17ROCPRIM_400000_NS6detail17trampoline_kernelINS0_14default_configENS1_21merge_config_selectorINS0_5tupleIJyyEEENS0_10empty_typeEEEZNS1_10merge_implIS3_NS0_12zip_iteratorINS5_IJN6thrust23THRUST_200600_302600_NS6detail15normal_iteratorINSC_10device_ptrIKyEEEESI_EEEEESK_NSA_INS5_IJNSE_INSF_IyEEEESM_EEEEEPS7_SP_SP_NSC_11hip_rocprim7__merge17predicate_wrapperIyyNSC_4lessIyEEEEEE10hipError_tPvRmT0_T1_T2_T3_T4_T5_mmT6_P12ihipStream_tbEUlT_E_NS1_11comp_targetILNS1_3genE3ELNS1_11target_archE908ELNS1_3gpuE7ELNS1_3repE0EEENS1_30default_config_static_selectorELNS0_4arch9wavefront6targetE0EEEvS10_.has_indirect_call, 0
	.section	.AMDGPU.csdata,"",@progbits
; Kernel info:
; codeLenInByte = 0
; TotalNumSgprs: 0
; NumVgprs: 0
; ScratchSize: 0
; MemoryBound: 0
; FloatMode: 240
; IeeeMode: 1
; LDSByteSize: 0 bytes/workgroup (compile time only)
; SGPRBlocks: 0
; VGPRBlocks: 0
; NumSGPRsForWavesPerEU: 1
; NumVGPRsForWavesPerEU: 1
; NamedBarCnt: 0
; Occupancy: 16
; WaveLimiterHint : 0
; COMPUTE_PGM_RSRC2:SCRATCH_EN: 0
; COMPUTE_PGM_RSRC2:USER_SGPR: 2
; COMPUTE_PGM_RSRC2:TRAP_HANDLER: 0
; COMPUTE_PGM_RSRC2:TGID_X_EN: 1
; COMPUTE_PGM_RSRC2:TGID_Y_EN: 0
; COMPUTE_PGM_RSRC2:TGID_Z_EN: 0
; COMPUTE_PGM_RSRC2:TIDIG_COMP_CNT: 0
	.section	.text._ZN7rocprim17ROCPRIM_400000_NS6detail17trampoline_kernelINS0_14default_configENS1_21merge_config_selectorINS0_5tupleIJyyEEENS0_10empty_typeEEEZNS1_10merge_implIS3_NS0_12zip_iteratorINS5_IJN6thrust23THRUST_200600_302600_NS6detail15normal_iteratorINSC_10device_ptrIKyEEEESI_EEEEESK_NSA_INS5_IJNSE_INSF_IyEEEESM_EEEEEPS7_SP_SP_NSC_11hip_rocprim7__merge17predicate_wrapperIyyNSC_4lessIyEEEEEE10hipError_tPvRmT0_T1_T2_T3_T4_T5_mmT6_P12ihipStream_tbEUlT_E_NS1_11comp_targetILNS1_3genE2ELNS1_11target_archE906ELNS1_3gpuE6ELNS1_3repE0EEENS1_30default_config_static_selectorELNS0_4arch9wavefront6targetE0EEEvS10_,"axG",@progbits,_ZN7rocprim17ROCPRIM_400000_NS6detail17trampoline_kernelINS0_14default_configENS1_21merge_config_selectorINS0_5tupleIJyyEEENS0_10empty_typeEEEZNS1_10merge_implIS3_NS0_12zip_iteratorINS5_IJN6thrust23THRUST_200600_302600_NS6detail15normal_iteratorINSC_10device_ptrIKyEEEESI_EEEEESK_NSA_INS5_IJNSE_INSF_IyEEEESM_EEEEEPS7_SP_SP_NSC_11hip_rocprim7__merge17predicate_wrapperIyyNSC_4lessIyEEEEEE10hipError_tPvRmT0_T1_T2_T3_T4_T5_mmT6_P12ihipStream_tbEUlT_E_NS1_11comp_targetILNS1_3genE2ELNS1_11target_archE906ELNS1_3gpuE6ELNS1_3repE0EEENS1_30default_config_static_selectorELNS0_4arch9wavefront6targetE0EEEvS10_,comdat
	.protected	_ZN7rocprim17ROCPRIM_400000_NS6detail17trampoline_kernelINS0_14default_configENS1_21merge_config_selectorINS0_5tupleIJyyEEENS0_10empty_typeEEEZNS1_10merge_implIS3_NS0_12zip_iteratorINS5_IJN6thrust23THRUST_200600_302600_NS6detail15normal_iteratorINSC_10device_ptrIKyEEEESI_EEEEESK_NSA_INS5_IJNSE_INSF_IyEEEESM_EEEEEPS7_SP_SP_NSC_11hip_rocprim7__merge17predicate_wrapperIyyNSC_4lessIyEEEEEE10hipError_tPvRmT0_T1_T2_T3_T4_T5_mmT6_P12ihipStream_tbEUlT_E_NS1_11comp_targetILNS1_3genE2ELNS1_11target_archE906ELNS1_3gpuE6ELNS1_3repE0EEENS1_30default_config_static_selectorELNS0_4arch9wavefront6targetE0EEEvS10_ ; -- Begin function _ZN7rocprim17ROCPRIM_400000_NS6detail17trampoline_kernelINS0_14default_configENS1_21merge_config_selectorINS0_5tupleIJyyEEENS0_10empty_typeEEEZNS1_10merge_implIS3_NS0_12zip_iteratorINS5_IJN6thrust23THRUST_200600_302600_NS6detail15normal_iteratorINSC_10device_ptrIKyEEEESI_EEEEESK_NSA_INS5_IJNSE_INSF_IyEEEESM_EEEEEPS7_SP_SP_NSC_11hip_rocprim7__merge17predicate_wrapperIyyNSC_4lessIyEEEEEE10hipError_tPvRmT0_T1_T2_T3_T4_T5_mmT6_P12ihipStream_tbEUlT_E_NS1_11comp_targetILNS1_3genE2ELNS1_11target_archE906ELNS1_3gpuE6ELNS1_3repE0EEENS1_30default_config_static_selectorELNS0_4arch9wavefront6targetE0EEEvS10_
	.globl	_ZN7rocprim17ROCPRIM_400000_NS6detail17trampoline_kernelINS0_14default_configENS1_21merge_config_selectorINS0_5tupleIJyyEEENS0_10empty_typeEEEZNS1_10merge_implIS3_NS0_12zip_iteratorINS5_IJN6thrust23THRUST_200600_302600_NS6detail15normal_iteratorINSC_10device_ptrIKyEEEESI_EEEEESK_NSA_INS5_IJNSE_INSF_IyEEEESM_EEEEEPS7_SP_SP_NSC_11hip_rocprim7__merge17predicate_wrapperIyyNSC_4lessIyEEEEEE10hipError_tPvRmT0_T1_T2_T3_T4_T5_mmT6_P12ihipStream_tbEUlT_E_NS1_11comp_targetILNS1_3genE2ELNS1_11target_archE906ELNS1_3gpuE6ELNS1_3repE0EEENS1_30default_config_static_selectorELNS0_4arch9wavefront6targetE0EEEvS10_
	.p2align	8
	.type	_ZN7rocprim17ROCPRIM_400000_NS6detail17trampoline_kernelINS0_14default_configENS1_21merge_config_selectorINS0_5tupleIJyyEEENS0_10empty_typeEEEZNS1_10merge_implIS3_NS0_12zip_iteratorINS5_IJN6thrust23THRUST_200600_302600_NS6detail15normal_iteratorINSC_10device_ptrIKyEEEESI_EEEEESK_NSA_INS5_IJNSE_INSF_IyEEEESM_EEEEEPS7_SP_SP_NSC_11hip_rocprim7__merge17predicate_wrapperIyyNSC_4lessIyEEEEEE10hipError_tPvRmT0_T1_T2_T3_T4_T5_mmT6_P12ihipStream_tbEUlT_E_NS1_11comp_targetILNS1_3genE2ELNS1_11target_archE906ELNS1_3gpuE6ELNS1_3repE0EEENS1_30default_config_static_selectorELNS0_4arch9wavefront6targetE0EEEvS10_,@function
_ZN7rocprim17ROCPRIM_400000_NS6detail17trampoline_kernelINS0_14default_configENS1_21merge_config_selectorINS0_5tupleIJyyEEENS0_10empty_typeEEEZNS1_10merge_implIS3_NS0_12zip_iteratorINS5_IJN6thrust23THRUST_200600_302600_NS6detail15normal_iteratorINSC_10device_ptrIKyEEEESI_EEEEESK_NSA_INS5_IJNSE_INSF_IyEEEESM_EEEEEPS7_SP_SP_NSC_11hip_rocprim7__merge17predicate_wrapperIyyNSC_4lessIyEEEEEE10hipError_tPvRmT0_T1_T2_T3_T4_T5_mmT6_P12ihipStream_tbEUlT_E_NS1_11comp_targetILNS1_3genE2ELNS1_11target_archE906ELNS1_3gpuE6ELNS1_3repE0EEENS1_30default_config_static_selectorELNS0_4arch9wavefront6targetE0EEEvS10_: ; @_ZN7rocprim17ROCPRIM_400000_NS6detail17trampoline_kernelINS0_14default_configENS1_21merge_config_selectorINS0_5tupleIJyyEEENS0_10empty_typeEEEZNS1_10merge_implIS3_NS0_12zip_iteratorINS5_IJN6thrust23THRUST_200600_302600_NS6detail15normal_iteratorINSC_10device_ptrIKyEEEESI_EEEEESK_NSA_INS5_IJNSE_INSF_IyEEEESM_EEEEEPS7_SP_SP_NSC_11hip_rocprim7__merge17predicate_wrapperIyyNSC_4lessIyEEEEEE10hipError_tPvRmT0_T1_T2_T3_T4_T5_mmT6_P12ihipStream_tbEUlT_E_NS1_11comp_targetILNS1_3genE2ELNS1_11target_archE906ELNS1_3gpuE6ELNS1_3repE0EEENS1_30default_config_static_selectorELNS0_4arch9wavefront6targetE0EEEvS10_
; %bb.0:
	.section	.rodata,"a",@progbits
	.p2align	6, 0x0
	.amdhsa_kernel _ZN7rocprim17ROCPRIM_400000_NS6detail17trampoline_kernelINS0_14default_configENS1_21merge_config_selectorINS0_5tupleIJyyEEENS0_10empty_typeEEEZNS1_10merge_implIS3_NS0_12zip_iteratorINS5_IJN6thrust23THRUST_200600_302600_NS6detail15normal_iteratorINSC_10device_ptrIKyEEEESI_EEEEESK_NSA_INS5_IJNSE_INSF_IyEEEESM_EEEEEPS7_SP_SP_NSC_11hip_rocprim7__merge17predicate_wrapperIyyNSC_4lessIyEEEEEE10hipError_tPvRmT0_T1_T2_T3_T4_T5_mmT6_P12ihipStream_tbEUlT_E_NS1_11comp_targetILNS1_3genE2ELNS1_11target_archE906ELNS1_3gpuE6ELNS1_3repE0EEENS1_30default_config_static_selectorELNS0_4arch9wavefront6targetE0EEEvS10_
		.amdhsa_group_segment_fixed_size 0
		.amdhsa_private_segment_fixed_size 0
		.amdhsa_kernarg_size 64
		.amdhsa_user_sgpr_count 2
		.amdhsa_user_sgpr_dispatch_ptr 0
		.amdhsa_user_sgpr_queue_ptr 0
		.amdhsa_user_sgpr_kernarg_segment_ptr 1
		.amdhsa_user_sgpr_dispatch_id 0
		.amdhsa_user_sgpr_kernarg_preload_length 0
		.amdhsa_user_sgpr_kernarg_preload_offset 0
		.amdhsa_user_sgpr_private_segment_size 0
		.amdhsa_wavefront_size32 1
		.amdhsa_uses_dynamic_stack 0
		.amdhsa_enable_private_segment 0
		.amdhsa_system_sgpr_workgroup_id_x 1
		.amdhsa_system_sgpr_workgroup_id_y 0
		.amdhsa_system_sgpr_workgroup_id_z 0
		.amdhsa_system_sgpr_workgroup_info 0
		.amdhsa_system_vgpr_workitem_id 0
		.amdhsa_next_free_vgpr 1
		.amdhsa_next_free_sgpr 1
		.amdhsa_named_barrier_count 0
		.amdhsa_reserve_vcc 0
		.amdhsa_float_round_mode_32 0
		.amdhsa_float_round_mode_16_64 0
		.amdhsa_float_denorm_mode_32 3
		.amdhsa_float_denorm_mode_16_64 3
		.amdhsa_fp16_overflow 0
		.amdhsa_memory_ordered 1
		.amdhsa_forward_progress 1
		.amdhsa_inst_pref_size 0
		.amdhsa_round_robin_scheduling 0
		.amdhsa_exception_fp_ieee_invalid_op 0
		.amdhsa_exception_fp_denorm_src 0
		.amdhsa_exception_fp_ieee_div_zero 0
		.amdhsa_exception_fp_ieee_overflow 0
		.amdhsa_exception_fp_ieee_underflow 0
		.amdhsa_exception_fp_ieee_inexact 0
		.amdhsa_exception_int_div_zero 0
	.end_amdhsa_kernel
	.section	.text._ZN7rocprim17ROCPRIM_400000_NS6detail17trampoline_kernelINS0_14default_configENS1_21merge_config_selectorINS0_5tupleIJyyEEENS0_10empty_typeEEEZNS1_10merge_implIS3_NS0_12zip_iteratorINS5_IJN6thrust23THRUST_200600_302600_NS6detail15normal_iteratorINSC_10device_ptrIKyEEEESI_EEEEESK_NSA_INS5_IJNSE_INSF_IyEEEESM_EEEEEPS7_SP_SP_NSC_11hip_rocprim7__merge17predicate_wrapperIyyNSC_4lessIyEEEEEE10hipError_tPvRmT0_T1_T2_T3_T4_T5_mmT6_P12ihipStream_tbEUlT_E_NS1_11comp_targetILNS1_3genE2ELNS1_11target_archE906ELNS1_3gpuE6ELNS1_3repE0EEENS1_30default_config_static_selectorELNS0_4arch9wavefront6targetE0EEEvS10_,"axG",@progbits,_ZN7rocprim17ROCPRIM_400000_NS6detail17trampoline_kernelINS0_14default_configENS1_21merge_config_selectorINS0_5tupleIJyyEEENS0_10empty_typeEEEZNS1_10merge_implIS3_NS0_12zip_iteratorINS5_IJN6thrust23THRUST_200600_302600_NS6detail15normal_iteratorINSC_10device_ptrIKyEEEESI_EEEEESK_NSA_INS5_IJNSE_INSF_IyEEEESM_EEEEEPS7_SP_SP_NSC_11hip_rocprim7__merge17predicate_wrapperIyyNSC_4lessIyEEEEEE10hipError_tPvRmT0_T1_T2_T3_T4_T5_mmT6_P12ihipStream_tbEUlT_E_NS1_11comp_targetILNS1_3genE2ELNS1_11target_archE906ELNS1_3gpuE6ELNS1_3repE0EEENS1_30default_config_static_selectorELNS0_4arch9wavefront6targetE0EEEvS10_,comdat
.Lfunc_end100:
	.size	_ZN7rocprim17ROCPRIM_400000_NS6detail17trampoline_kernelINS0_14default_configENS1_21merge_config_selectorINS0_5tupleIJyyEEENS0_10empty_typeEEEZNS1_10merge_implIS3_NS0_12zip_iteratorINS5_IJN6thrust23THRUST_200600_302600_NS6detail15normal_iteratorINSC_10device_ptrIKyEEEESI_EEEEESK_NSA_INS5_IJNSE_INSF_IyEEEESM_EEEEEPS7_SP_SP_NSC_11hip_rocprim7__merge17predicate_wrapperIyyNSC_4lessIyEEEEEE10hipError_tPvRmT0_T1_T2_T3_T4_T5_mmT6_P12ihipStream_tbEUlT_E_NS1_11comp_targetILNS1_3genE2ELNS1_11target_archE906ELNS1_3gpuE6ELNS1_3repE0EEENS1_30default_config_static_selectorELNS0_4arch9wavefront6targetE0EEEvS10_, .Lfunc_end100-_ZN7rocprim17ROCPRIM_400000_NS6detail17trampoline_kernelINS0_14default_configENS1_21merge_config_selectorINS0_5tupleIJyyEEENS0_10empty_typeEEEZNS1_10merge_implIS3_NS0_12zip_iteratorINS5_IJN6thrust23THRUST_200600_302600_NS6detail15normal_iteratorINSC_10device_ptrIKyEEEESI_EEEEESK_NSA_INS5_IJNSE_INSF_IyEEEESM_EEEEEPS7_SP_SP_NSC_11hip_rocprim7__merge17predicate_wrapperIyyNSC_4lessIyEEEEEE10hipError_tPvRmT0_T1_T2_T3_T4_T5_mmT6_P12ihipStream_tbEUlT_E_NS1_11comp_targetILNS1_3genE2ELNS1_11target_archE906ELNS1_3gpuE6ELNS1_3repE0EEENS1_30default_config_static_selectorELNS0_4arch9wavefront6targetE0EEEvS10_
                                        ; -- End function
	.set _ZN7rocprim17ROCPRIM_400000_NS6detail17trampoline_kernelINS0_14default_configENS1_21merge_config_selectorINS0_5tupleIJyyEEENS0_10empty_typeEEEZNS1_10merge_implIS3_NS0_12zip_iteratorINS5_IJN6thrust23THRUST_200600_302600_NS6detail15normal_iteratorINSC_10device_ptrIKyEEEESI_EEEEESK_NSA_INS5_IJNSE_INSF_IyEEEESM_EEEEEPS7_SP_SP_NSC_11hip_rocprim7__merge17predicate_wrapperIyyNSC_4lessIyEEEEEE10hipError_tPvRmT0_T1_T2_T3_T4_T5_mmT6_P12ihipStream_tbEUlT_E_NS1_11comp_targetILNS1_3genE2ELNS1_11target_archE906ELNS1_3gpuE6ELNS1_3repE0EEENS1_30default_config_static_selectorELNS0_4arch9wavefront6targetE0EEEvS10_.num_vgpr, 0
	.set _ZN7rocprim17ROCPRIM_400000_NS6detail17trampoline_kernelINS0_14default_configENS1_21merge_config_selectorINS0_5tupleIJyyEEENS0_10empty_typeEEEZNS1_10merge_implIS3_NS0_12zip_iteratorINS5_IJN6thrust23THRUST_200600_302600_NS6detail15normal_iteratorINSC_10device_ptrIKyEEEESI_EEEEESK_NSA_INS5_IJNSE_INSF_IyEEEESM_EEEEEPS7_SP_SP_NSC_11hip_rocprim7__merge17predicate_wrapperIyyNSC_4lessIyEEEEEE10hipError_tPvRmT0_T1_T2_T3_T4_T5_mmT6_P12ihipStream_tbEUlT_E_NS1_11comp_targetILNS1_3genE2ELNS1_11target_archE906ELNS1_3gpuE6ELNS1_3repE0EEENS1_30default_config_static_selectorELNS0_4arch9wavefront6targetE0EEEvS10_.num_agpr, 0
	.set _ZN7rocprim17ROCPRIM_400000_NS6detail17trampoline_kernelINS0_14default_configENS1_21merge_config_selectorINS0_5tupleIJyyEEENS0_10empty_typeEEEZNS1_10merge_implIS3_NS0_12zip_iteratorINS5_IJN6thrust23THRUST_200600_302600_NS6detail15normal_iteratorINSC_10device_ptrIKyEEEESI_EEEEESK_NSA_INS5_IJNSE_INSF_IyEEEESM_EEEEEPS7_SP_SP_NSC_11hip_rocprim7__merge17predicate_wrapperIyyNSC_4lessIyEEEEEE10hipError_tPvRmT0_T1_T2_T3_T4_T5_mmT6_P12ihipStream_tbEUlT_E_NS1_11comp_targetILNS1_3genE2ELNS1_11target_archE906ELNS1_3gpuE6ELNS1_3repE0EEENS1_30default_config_static_selectorELNS0_4arch9wavefront6targetE0EEEvS10_.numbered_sgpr, 0
	.set _ZN7rocprim17ROCPRIM_400000_NS6detail17trampoline_kernelINS0_14default_configENS1_21merge_config_selectorINS0_5tupleIJyyEEENS0_10empty_typeEEEZNS1_10merge_implIS3_NS0_12zip_iteratorINS5_IJN6thrust23THRUST_200600_302600_NS6detail15normal_iteratorINSC_10device_ptrIKyEEEESI_EEEEESK_NSA_INS5_IJNSE_INSF_IyEEEESM_EEEEEPS7_SP_SP_NSC_11hip_rocprim7__merge17predicate_wrapperIyyNSC_4lessIyEEEEEE10hipError_tPvRmT0_T1_T2_T3_T4_T5_mmT6_P12ihipStream_tbEUlT_E_NS1_11comp_targetILNS1_3genE2ELNS1_11target_archE906ELNS1_3gpuE6ELNS1_3repE0EEENS1_30default_config_static_selectorELNS0_4arch9wavefront6targetE0EEEvS10_.num_named_barrier, 0
	.set _ZN7rocprim17ROCPRIM_400000_NS6detail17trampoline_kernelINS0_14default_configENS1_21merge_config_selectorINS0_5tupleIJyyEEENS0_10empty_typeEEEZNS1_10merge_implIS3_NS0_12zip_iteratorINS5_IJN6thrust23THRUST_200600_302600_NS6detail15normal_iteratorINSC_10device_ptrIKyEEEESI_EEEEESK_NSA_INS5_IJNSE_INSF_IyEEEESM_EEEEEPS7_SP_SP_NSC_11hip_rocprim7__merge17predicate_wrapperIyyNSC_4lessIyEEEEEE10hipError_tPvRmT0_T1_T2_T3_T4_T5_mmT6_P12ihipStream_tbEUlT_E_NS1_11comp_targetILNS1_3genE2ELNS1_11target_archE906ELNS1_3gpuE6ELNS1_3repE0EEENS1_30default_config_static_selectorELNS0_4arch9wavefront6targetE0EEEvS10_.private_seg_size, 0
	.set _ZN7rocprim17ROCPRIM_400000_NS6detail17trampoline_kernelINS0_14default_configENS1_21merge_config_selectorINS0_5tupleIJyyEEENS0_10empty_typeEEEZNS1_10merge_implIS3_NS0_12zip_iteratorINS5_IJN6thrust23THRUST_200600_302600_NS6detail15normal_iteratorINSC_10device_ptrIKyEEEESI_EEEEESK_NSA_INS5_IJNSE_INSF_IyEEEESM_EEEEEPS7_SP_SP_NSC_11hip_rocprim7__merge17predicate_wrapperIyyNSC_4lessIyEEEEEE10hipError_tPvRmT0_T1_T2_T3_T4_T5_mmT6_P12ihipStream_tbEUlT_E_NS1_11comp_targetILNS1_3genE2ELNS1_11target_archE906ELNS1_3gpuE6ELNS1_3repE0EEENS1_30default_config_static_selectorELNS0_4arch9wavefront6targetE0EEEvS10_.uses_vcc, 0
	.set _ZN7rocprim17ROCPRIM_400000_NS6detail17trampoline_kernelINS0_14default_configENS1_21merge_config_selectorINS0_5tupleIJyyEEENS0_10empty_typeEEEZNS1_10merge_implIS3_NS0_12zip_iteratorINS5_IJN6thrust23THRUST_200600_302600_NS6detail15normal_iteratorINSC_10device_ptrIKyEEEESI_EEEEESK_NSA_INS5_IJNSE_INSF_IyEEEESM_EEEEEPS7_SP_SP_NSC_11hip_rocprim7__merge17predicate_wrapperIyyNSC_4lessIyEEEEEE10hipError_tPvRmT0_T1_T2_T3_T4_T5_mmT6_P12ihipStream_tbEUlT_E_NS1_11comp_targetILNS1_3genE2ELNS1_11target_archE906ELNS1_3gpuE6ELNS1_3repE0EEENS1_30default_config_static_selectorELNS0_4arch9wavefront6targetE0EEEvS10_.uses_flat_scratch, 0
	.set _ZN7rocprim17ROCPRIM_400000_NS6detail17trampoline_kernelINS0_14default_configENS1_21merge_config_selectorINS0_5tupleIJyyEEENS0_10empty_typeEEEZNS1_10merge_implIS3_NS0_12zip_iteratorINS5_IJN6thrust23THRUST_200600_302600_NS6detail15normal_iteratorINSC_10device_ptrIKyEEEESI_EEEEESK_NSA_INS5_IJNSE_INSF_IyEEEESM_EEEEEPS7_SP_SP_NSC_11hip_rocprim7__merge17predicate_wrapperIyyNSC_4lessIyEEEEEE10hipError_tPvRmT0_T1_T2_T3_T4_T5_mmT6_P12ihipStream_tbEUlT_E_NS1_11comp_targetILNS1_3genE2ELNS1_11target_archE906ELNS1_3gpuE6ELNS1_3repE0EEENS1_30default_config_static_selectorELNS0_4arch9wavefront6targetE0EEEvS10_.has_dyn_sized_stack, 0
	.set _ZN7rocprim17ROCPRIM_400000_NS6detail17trampoline_kernelINS0_14default_configENS1_21merge_config_selectorINS0_5tupleIJyyEEENS0_10empty_typeEEEZNS1_10merge_implIS3_NS0_12zip_iteratorINS5_IJN6thrust23THRUST_200600_302600_NS6detail15normal_iteratorINSC_10device_ptrIKyEEEESI_EEEEESK_NSA_INS5_IJNSE_INSF_IyEEEESM_EEEEEPS7_SP_SP_NSC_11hip_rocprim7__merge17predicate_wrapperIyyNSC_4lessIyEEEEEE10hipError_tPvRmT0_T1_T2_T3_T4_T5_mmT6_P12ihipStream_tbEUlT_E_NS1_11comp_targetILNS1_3genE2ELNS1_11target_archE906ELNS1_3gpuE6ELNS1_3repE0EEENS1_30default_config_static_selectorELNS0_4arch9wavefront6targetE0EEEvS10_.has_recursion, 0
	.set _ZN7rocprim17ROCPRIM_400000_NS6detail17trampoline_kernelINS0_14default_configENS1_21merge_config_selectorINS0_5tupleIJyyEEENS0_10empty_typeEEEZNS1_10merge_implIS3_NS0_12zip_iteratorINS5_IJN6thrust23THRUST_200600_302600_NS6detail15normal_iteratorINSC_10device_ptrIKyEEEESI_EEEEESK_NSA_INS5_IJNSE_INSF_IyEEEESM_EEEEEPS7_SP_SP_NSC_11hip_rocprim7__merge17predicate_wrapperIyyNSC_4lessIyEEEEEE10hipError_tPvRmT0_T1_T2_T3_T4_T5_mmT6_P12ihipStream_tbEUlT_E_NS1_11comp_targetILNS1_3genE2ELNS1_11target_archE906ELNS1_3gpuE6ELNS1_3repE0EEENS1_30default_config_static_selectorELNS0_4arch9wavefront6targetE0EEEvS10_.has_indirect_call, 0
	.section	.AMDGPU.csdata,"",@progbits
; Kernel info:
; codeLenInByte = 0
; TotalNumSgprs: 0
; NumVgprs: 0
; ScratchSize: 0
; MemoryBound: 0
; FloatMode: 240
; IeeeMode: 1
; LDSByteSize: 0 bytes/workgroup (compile time only)
; SGPRBlocks: 0
; VGPRBlocks: 0
; NumSGPRsForWavesPerEU: 1
; NumVGPRsForWavesPerEU: 1
; NamedBarCnt: 0
; Occupancy: 16
; WaveLimiterHint : 0
; COMPUTE_PGM_RSRC2:SCRATCH_EN: 0
; COMPUTE_PGM_RSRC2:USER_SGPR: 2
; COMPUTE_PGM_RSRC2:TRAP_HANDLER: 0
; COMPUTE_PGM_RSRC2:TGID_X_EN: 1
; COMPUTE_PGM_RSRC2:TGID_Y_EN: 0
; COMPUTE_PGM_RSRC2:TGID_Z_EN: 0
; COMPUTE_PGM_RSRC2:TIDIG_COMP_CNT: 0
	.section	.text._ZN7rocprim17ROCPRIM_400000_NS6detail17trampoline_kernelINS0_14default_configENS1_21merge_config_selectorINS0_5tupleIJyyEEENS0_10empty_typeEEEZNS1_10merge_implIS3_NS0_12zip_iteratorINS5_IJN6thrust23THRUST_200600_302600_NS6detail15normal_iteratorINSC_10device_ptrIKyEEEESI_EEEEESK_NSA_INS5_IJNSE_INSF_IyEEEESM_EEEEEPS7_SP_SP_NSC_11hip_rocprim7__merge17predicate_wrapperIyyNSC_4lessIyEEEEEE10hipError_tPvRmT0_T1_T2_T3_T4_T5_mmT6_P12ihipStream_tbEUlT_E_NS1_11comp_targetILNS1_3genE10ELNS1_11target_archE1201ELNS1_3gpuE5ELNS1_3repE0EEENS1_30default_config_static_selectorELNS0_4arch9wavefront6targetE0EEEvS10_,"axG",@progbits,_ZN7rocprim17ROCPRIM_400000_NS6detail17trampoline_kernelINS0_14default_configENS1_21merge_config_selectorINS0_5tupleIJyyEEENS0_10empty_typeEEEZNS1_10merge_implIS3_NS0_12zip_iteratorINS5_IJN6thrust23THRUST_200600_302600_NS6detail15normal_iteratorINSC_10device_ptrIKyEEEESI_EEEEESK_NSA_INS5_IJNSE_INSF_IyEEEESM_EEEEEPS7_SP_SP_NSC_11hip_rocprim7__merge17predicate_wrapperIyyNSC_4lessIyEEEEEE10hipError_tPvRmT0_T1_T2_T3_T4_T5_mmT6_P12ihipStream_tbEUlT_E_NS1_11comp_targetILNS1_3genE10ELNS1_11target_archE1201ELNS1_3gpuE5ELNS1_3repE0EEENS1_30default_config_static_selectorELNS0_4arch9wavefront6targetE0EEEvS10_,comdat
	.protected	_ZN7rocprim17ROCPRIM_400000_NS6detail17trampoline_kernelINS0_14default_configENS1_21merge_config_selectorINS0_5tupleIJyyEEENS0_10empty_typeEEEZNS1_10merge_implIS3_NS0_12zip_iteratorINS5_IJN6thrust23THRUST_200600_302600_NS6detail15normal_iteratorINSC_10device_ptrIKyEEEESI_EEEEESK_NSA_INS5_IJNSE_INSF_IyEEEESM_EEEEEPS7_SP_SP_NSC_11hip_rocprim7__merge17predicate_wrapperIyyNSC_4lessIyEEEEEE10hipError_tPvRmT0_T1_T2_T3_T4_T5_mmT6_P12ihipStream_tbEUlT_E_NS1_11comp_targetILNS1_3genE10ELNS1_11target_archE1201ELNS1_3gpuE5ELNS1_3repE0EEENS1_30default_config_static_selectorELNS0_4arch9wavefront6targetE0EEEvS10_ ; -- Begin function _ZN7rocprim17ROCPRIM_400000_NS6detail17trampoline_kernelINS0_14default_configENS1_21merge_config_selectorINS0_5tupleIJyyEEENS0_10empty_typeEEEZNS1_10merge_implIS3_NS0_12zip_iteratorINS5_IJN6thrust23THRUST_200600_302600_NS6detail15normal_iteratorINSC_10device_ptrIKyEEEESI_EEEEESK_NSA_INS5_IJNSE_INSF_IyEEEESM_EEEEEPS7_SP_SP_NSC_11hip_rocprim7__merge17predicate_wrapperIyyNSC_4lessIyEEEEEE10hipError_tPvRmT0_T1_T2_T3_T4_T5_mmT6_P12ihipStream_tbEUlT_E_NS1_11comp_targetILNS1_3genE10ELNS1_11target_archE1201ELNS1_3gpuE5ELNS1_3repE0EEENS1_30default_config_static_selectorELNS0_4arch9wavefront6targetE0EEEvS10_
	.globl	_ZN7rocprim17ROCPRIM_400000_NS6detail17trampoline_kernelINS0_14default_configENS1_21merge_config_selectorINS0_5tupleIJyyEEENS0_10empty_typeEEEZNS1_10merge_implIS3_NS0_12zip_iteratorINS5_IJN6thrust23THRUST_200600_302600_NS6detail15normal_iteratorINSC_10device_ptrIKyEEEESI_EEEEESK_NSA_INS5_IJNSE_INSF_IyEEEESM_EEEEEPS7_SP_SP_NSC_11hip_rocprim7__merge17predicate_wrapperIyyNSC_4lessIyEEEEEE10hipError_tPvRmT0_T1_T2_T3_T4_T5_mmT6_P12ihipStream_tbEUlT_E_NS1_11comp_targetILNS1_3genE10ELNS1_11target_archE1201ELNS1_3gpuE5ELNS1_3repE0EEENS1_30default_config_static_selectorELNS0_4arch9wavefront6targetE0EEEvS10_
	.p2align	8
	.type	_ZN7rocprim17ROCPRIM_400000_NS6detail17trampoline_kernelINS0_14default_configENS1_21merge_config_selectorINS0_5tupleIJyyEEENS0_10empty_typeEEEZNS1_10merge_implIS3_NS0_12zip_iteratorINS5_IJN6thrust23THRUST_200600_302600_NS6detail15normal_iteratorINSC_10device_ptrIKyEEEESI_EEEEESK_NSA_INS5_IJNSE_INSF_IyEEEESM_EEEEEPS7_SP_SP_NSC_11hip_rocprim7__merge17predicate_wrapperIyyNSC_4lessIyEEEEEE10hipError_tPvRmT0_T1_T2_T3_T4_T5_mmT6_P12ihipStream_tbEUlT_E_NS1_11comp_targetILNS1_3genE10ELNS1_11target_archE1201ELNS1_3gpuE5ELNS1_3repE0EEENS1_30default_config_static_selectorELNS0_4arch9wavefront6targetE0EEEvS10_,@function
_ZN7rocprim17ROCPRIM_400000_NS6detail17trampoline_kernelINS0_14default_configENS1_21merge_config_selectorINS0_5tupleIJyyEEENS0_10empty_typeEEEZNS1_10merge_implIS3_NS0_12zip_iteratorINS5_IJN6thrust23THRUST_200600_302600_NS6detail15normal_iteratorINSC_10device_ptrIKyEEEESI_EEEEESK_NSA_INS5_IJNSE_INSF_IyEEEESM_EEEEEPS7_SP_SP_NSC_11hip_rocprim7__merge17predicate_wrapperIyyNSC_4lessIyEEEEEE10hipError_tPvRmT0_T1_T2_T3_T4_T5_mmT6_P12ihipStream_tbEUlT_E_NS1_11comp_targetILNS1_3genE10ELNS1_11target_archE1201ELNS1_3gpuE5ELNS1_3repE0EEENS1_30default_config_static_selectorELNS0_4arch9wavefront6targetE0EEEvS10_: ; @_ZN7rocprim17ROCPRIM_400000_NS6detail17trampoline_kernelINS0_14default_configENS1_21merge_config_selectorINS0_5tupleIJyyEEENS0_10empty_typeEEEZNS1_10merge_implIS3_NS0_12zip_iteratorINS5_IJN6thrust23THRUST_200600_302600_NS6detail15normal_iteratorINSC_10device_ptrIKyEEEESI_EEEEESK_NSA_INS5_IJNSE_INSF_IyEEEESM_EEEEEPS7_SP_SP_NSC_11hip_rocprim7__merge17predicate_wrapperIyyNSC_4lessIyEEEEEE10hipError_tPvRmT0_T1_T2_T3_T4_T5_mmT6_P12ihipStream_tbEUlT_E_NS1_11comp_targetILNS1_3genE10ELNS1_11target_archE1201ELNS1_3gpuE5ELNS1_3repE0EEENS1_30default_config_static_selectorELNS0_4arch9wavefront6targetE0EEEvS10_
; %bb.0:
	.section	.rodata,"a",@progbits
	.p2align	6, 0x0
	.amdhsa_kernel _ZN7rocprim17ROCPRIM_400000_NS6detail17trampoline_kernelINS0_14default_configENS1_21merge_config_selectorINS0_5tupleIJyyEEENS0_10empty_typeEEEZNS1_10merge_implIS3_NS0_12zip_iteratorINS5_IJN6thrust23THRUST_200600_302600_NS6detail15normal_iteratorINSC_10device_ptrIKyEEEESI_EEEEESK_NSA_INS5_IJNSE_INSF_IyEEEESM_EEEEEPS7_SP_SP_NSC_11hip_rocprim7__merge17predicate_wrapperIyyNSC_4lessIyEEEEEE10hipError_tPvRmT0_T1_T2_T3_T4_T5_mmT6_P12ihipStream_tbEUlT_E_NS1_11comp_targetILNS1_3genE10ELNS1_11target_archE1201ELNS1_3gpuE5ELNS1_3repE0EEENS1_30default_config_static_selectorELNS0_4arch9wavefront6targetE0EEEvS10_
		.amdhsa_group_segment_fixed_size 0
		.amdhsa_private_segment_fixed_size 0
		.amdhsa_kernarg_size 64
		.amdhsa_user_sgpr_count 2
		.amdhsa_user_sgpr_dispatch_ptr 0
		.amdhsa_user_sgpr_queue_ptr 0
		.amdhsa_user_sgpr_kernarg_segment_ptr 1
		.amdhsa_user_sgpr_dispatch_id 0
		.amdhsa_user_sgpr_kernarg_preload_length 0
		.amdhsa_user_sgpr_kernarg_preload_offset 0
		.amdhsa_user_sgpr_private_segment_size 0
		.amdhsa_wavefront_size32 1
		.amdhsa_uses_dynamic_stack 0
		.amdhsa_enable_private_segment 0
		.amdhsa_system_sgpr_workgroup_id_x 1
		.amdhsa_system_sgpr_workgroup_id_y 0
		.amdhsa_system_sgpr_workgroup_id_z 0
		.amdhsa_system_sgpr_workgroup_info 0
		.amdhsa_system_vgpr_workitem_id 0
		.amdhsa_next_free_vgpr 1
		.amdhsa_next_free_sgpr 1
		.amdhsa_named_barrier_count 0
		.amdhsa_reserve_vcc 0
		.amdhsa_float_round_mode_32 0
		.amdhsa_float_round_mode_16_64 0
		.amdhsa_float_denorm_mode_32 3
		.amdhsa_float_denorm_mode_16_64 3
		.amdhsa_fp16_overflow 0
		.amdhsa_memory_ordered 1
		.amdhsa_forward_progress 1
		.amdhsa_inst_pref_size 0
		.amdhsa_round_robin_scheduling 0
		.amdhsa_exception_fp_ieee_invalid_op 0
		.amdhsa_exception_fp_denorm_src 0
		.amdhsa_exception_fp_ieee_div_zero 0
		.amdhsa_exception_fp_ieee_overflow 0
		.amdhsa_exception_fp_ieee_underflow 0
		.amdhsa_exception_fp_ieee_inexact 0
		.amdhsa_exception_int_div_zero 0
	.end_amdhsa_kernel
	.section	.text._ZN7rocprim17ROCPRIM_400000_NS6detail17trampoline_kernelINS0_14default_configENS1_21merge_config_selectorINS0_5tupleIJyyEEENS0_10empty_typeEEEZNS1_10merge_implIS3_NS0_12zip_iteratorINS5_IJN6thrust23THRUST_200600_302600_NS6detail15normal_iteratorINSC_10device_ptrIKyEEEESI_EEEEESK_NSA_INS5_IJNSE_INSF_IyEEEESM_EEEEEPS7_SP_SP_NSC_11hip_rocprim7__merge17predicate_wrapperIyyNSC_4lessIyEEEEEE10hipError_tPvRmT0_T1_T2_T3_T4_T5_mmT6_P12ihipStream_tbEUlT_E_NS1_11comp_targetILNS1_3genE10ELNS1_11target_archE1201ELNS1_3gpuE5ELNS1_3repE0EEENS1_30default_config_static_selectorELNS0_4arch9wavefront6targetE0EEEvS10_,"axG",@progbits,_ZN7rocprim17ROCPRIM_400000_NS6detail17trampoline_kernelINS0_14default_configENS1_21merge_config_selectorINS0_5tupleIJyyEEENS0_10empty_typeEEEZNS1_10merge_implIS3_NS0_12zip_iteratorINS5_IJN6thrust23THRUST_200600_302600_NS6detail15normal_iteratorINSC_10device_ptrIKyEEEESI_EEEEESK_NSA_INS5_IJNSE_INSF_IyEEEESM_EEEEEPS7_SP_SP_NSC_11hip_rocprim7__merge17predicate_wrapperIyyNSC_4lessIyEEEEEE10hipError_tPvRmT0_T1_T2_T3_T4_T5_mmT6_P12ihipStream_tbEUlT_E_NS1_11comp_targetILNS1_3genE10ELNS1_11target_archE1201ELNS1_3gpuE5ELNS1_3repE0EEENS1_30default_config_static_selectorELNS0_4arch9wavefront6targetE0EEEvS10_,comdat
.Lfunc_end101:
	.size	_ZN7rocprim17ROCPRIM_400000_NS6detail17trampoline_kernelINS0_14default_configENS1_21merge_config_selectorINS0_5tupleIJyyEEENS0_10empty_typeEEEZNS1_10merge_implIS3_NS0_12zip_iteratorINS5_IJN6thrust23THRUST_200600_302600_NS6detail15normal_iteratorINSC_10device_ptrIKyEEEESI_EEEEESK_NSA_INS5_IJNSE_INSF_IyEEEESM_EEEEEPS7_SP_SP_NSC_11hip_rocprim7__merge17predicate_wrapperIyyNSC_4lessIyEEEEEE10hipError_tPvRmT0_T1_T2_T3_T4_T5_mmT6_P12ihipStream_tbEUlT_E_NS1_11comp_targetILNS1_3genE10ELNS1_11target_archE1201ELNS1_3gpuE5ELNS1_3repE0EEENS1_30default_config_static_selectorELNS0_4arch9wavefront6targetE0EEEvS10_, .Lfunc_end101-_ZN7rocprim17ROCPRIM_400000_NS6detail17trampoline_kernelINS0_14default_configENS1_21merge_config_selectorINS0_5tupleIJyyEEENS0_10empty_typeEEEZNS1_10merge_implIS3_NS0_12zip_iteratorINS5_IJN6thrust23THRUST_200600_302600_NS6detail15normal_iteratorINSC_10device_ptrIKyEEEESI_EEEEESK_NSA_INS5_IJNSE_INSF_IyEEEESM_EEEEEPS7_SP_SP_NSC_11hip_rocprim7__merge17predicate_wrapperIyyNSC_4lessIyEEEEEE10hipError_tPvRmT0_T1_T2_T3_T4_T5_mmT6_P12ihipStream_tbEUlT_E_NS1_11comp_targetILNS1_3genE10ELNS1_11target_archE1201ELNS1_3gpuE5ELNS1_3repE0EEENS1_30default_config_static_selectorELNS0_4arch9wavefront6targetE0EEEvS10_
                                        ; -- End function
	.set _ZN7rocprim17ROCPRIM_400000_NS6detail17trampoline_kernelINS0_14default_configENS1_21merge_config_selectorINS0_5tupleIJyyEEENS0_10empty_typeEEEZNS1_10merge_implIS3_NS0_12zip_iteratorINS5_IJN6thrust23THRUST_200600_302600_NS6detail15normal_iteratorINSC_10device_ptrIKyEEEESI_EEEEESK_NSA_INS5_IJNSE_INSF_IyEEEESM_EEEEEPS7_SP_SP_NSC_11hip_rocprim7__merge17predicate_wrapperIyyNSC_4lessIyEEEEEE10hipError_tPvRmT0_T1_T2_T3_T4_T5_mmT6_P12ihipStream_tbEUlT_E_NS1_11comp_targetILNS1_3genE10ELNS1_11target_archE1201ELNS1_3gpuE5ELNS1_3repE0EEENS1_30default_config_static_selectorELNS0_4arch9wavefront6targetE0EEEvS10_.num_vgpr, 0
	.set _ZN7rocprim17ROCPRIM_400000_NS6detail17trampoline_kernelINS0_14default_configENS1_21merge_config_selectorINS0_5tupleIJyyEEENS0_10empty_typeEEEZNS1_10merge_implIS3_NS0_12zip_iteratorINS5_IJN6thrust23THRUST_200600_302600_NS6detail15normal_iteratorINSC_10device_ptrIKyEEEESI_EEEEESK_NSA_INS5_IJNSE_INSF_IyEEEESM_EEEEEPS7_SP_SP_NSC_11hip_rocprim7__merge17predicate_wrapperIyyNSC_4lessIyEEEEEE10hipError_tPvRmT0_T1_T2_T3_T4_T5_mmT6_P12ihipStream_tbEUlT_E_NS1_11comp_targetILNS1_3genE10ELNS1_11target_archE1201ELNS1_3gpuE5ELNS1_3repE0EEENS1_30default_config_static_selectorELNS0_4arch9wavefront6targetE0EEEvS10_.num_agpr, 0
	.set _ZN7rocprim17ROCPRIM_400000_NS6detail17trampoline_kernelINS0_14default_configENS1_21merge_config_selectorINS0_5tupleIJyyEEENS0_10empty_typeEEEZNS1_10merge_implIS3_NS0_12zip_iteratorINS5_IJN6thrust23THRUST_200600_302600_NS6detail15normal_iteratorINSC_10device_ptrIKyEEEESI_EEEEESK_NSA_INS5_IJNSE_INSF_IyEEEESM_EEEEEPS7_SP_SP_NSC_11hip_rocprim7__merge17predicate_wrapperIyyNSC_4lessIyEEEEEE10hipError_tPvRmT0_T1_T2_T3_T4_T5_mmT6_P12ihipStream_tbEUlT_E_NS1_11comp_targetILNS1_3genE10ELNS1_11target_archE1201ELNS1_3gpuE5ELNS1_3repE0EEENS1_30default_config_static_selectorELNS0_4arch9wavefront6targetE0EEEvS10_.numbered_sgpr, 0
	.set _ZN7rocprim17ROCPRIM_400000_NS6detail17trampoline_kernelINS0_14default_configENS1_21merge_config_selectorINS0_5tupleIJyyEEENS0_10empty_typeEEEZNS1_10merge_implIS3_NS0_12zip_iteratorINS5_IJN6thrust23THRUST_200600_302600_NS6detail15normal_iteratorINSC_10device_ptrIKyEEEESI_EEEEESK_NSA_INS5_IJNSE_INSF_IyEEEESM_EEEEEPS7_SP_SP_NSC_11hip_rocprim7__merge17predicate_wrapperIyyNSC_4lessIyEEEEEE10hipError_tPvRmT0_T1_T2_T3_T4_T5_mmT6_P12ihipStream_tbEUlT_E_NS1_11comp_targetILNS1_3genE10ELNS1_11target_archE1201ELNS1_3gpuE5ELNS1_3repE0EEENS1_30default_config_static_selectorELNS0_4arch9wavefront6targetE0EEEvS10_.num_named_barrier, 0
	.set _ZN7rocprim17ROCPRIM_400000_NS6detail17trampoline_kernelINS0_14default_configENS1_21merge_config_selectorINS0_5tupleIJyyEEENS0_10empty_typeEEEZNS1_10merge_implIS3_NS0_12zip_iteratorINS5_IJN6thrust23THRUST_200600_302600_NS6detail15normal_iteratorINSC_10device_ptrIKyEEEESI_EEEEESK_NSA_INS5_IJNSE_INSF_IyEEEESM_EEEEEPS7_SP_SP_NSC_11hip_rocprim7__merge17predicate_wrapperIyyNSC_4lessIyEEEEEE10hipError_tPvRmT0_T1_T2_T3_T4_T5_mmT6_P12ihipStream_tbEUlT_E_NS1_11comp_targetILNS1_3genE10ELNS1_11target_archE1201ELNS1_3gpuE5ELNS1_3repE0EEENS1_30default_config_static_selectorELNS0_4arch9wavefront6targetE0EEEvS10_.private_seg_size, 0
	.set _ZN7rocprim17ROCPRIM_400000_NS6detail17trampoline_kernelINS0_14default_configENS1_21merge_config_selectorINS0_5tupleIJyyEEENS0_10empty_typeEEEZNS1_10merge_implIS3_NS0_12zip_iteratorINS5_IJN6thrust23THRUST_200600_302600_NS6detail15normal_iteratorINSC_10device_ptrIKyEEEESI_EEEEESK_NSA_INS5_IJNSE_INSF_IyEEEESM_EEEEEPS7_SP_SP_NSC_11hip_rocprim7__merge17predicate_wrapperIyyNSC_4lessIyEEEEEE10hipError_tPvRmT0_T1_T2_T3_T4_T5_mmT6_P12ihipStream_tbEUlT_E_NS1_11comp_targetILNS1_3genE10ELNS1_11target_archE1201ELNS1_3gpuE5ELNS1_3repE0EEENS1_30default_config_static_selectorELNS0_4arch9wavefront6targetE0EEEvS10_.uses_vcc, 0
	.set _ZN7rocprim17ROCPRIM_400000_NS6detail17trampoline_kernelINS0_14default_configENS1_21merge_config_selectorINS0_5tupleIJyyEEENS0_10empty_typeEEEZNS1_10merge_implIS3_NS0_12zip_iteratorINS5_IJN6thrust23THRUST_200600_302600_NS6detail15normal_iteratorINSC_10device_ptrIKyEEEESI_EEEEESK_NSA_INS5_IJNSE_INSF_IyEEEESM_EEEEEPS7_SP_SP_NSC_11hip_rocprim7__merge17predicate_wrapperIyyNSC_4lessIyEEEEEE10hipError_tPvRmT0_T1_T2_T3_T4_T5_mmT6_P12ihipStream_tbEUlT_E_NS1_11comp_targetILNS1_3genE10ELNS1_11target_archE1201ELNS1_3gpuE5ELNS1_3repE0EEENS1_30default_config_static_selectorELNS0_4arch9wavefront6targetE0EEEvS10_.uses_flat_scratch, 0
	.set _ZN7rocprim17ROCPRIM_400000_NS6detail17trampoline_kernelINS0_14default_configENS1_21merge_config_selectorINS0_5tupleIJyyEEENS0_10empty_typeEEEZNS1_10merge_implIS3_NS0_12zip_iteratorINS5_IJN6thrust23THRUST_200600_302600_NS6detail15normal_iteratorINSC_10device_ptrIKyEEEESI_EEEEESK_NSA_INS5_IJNSE_INSF_IyEEEESM_EEEEEPS7_SP_SP_NSC_11hip_rocprim7__merge17predicate_wrapperIyyNSC_4lessIyEEEEEE10hipError_tPvRmT0_T1_T2_T3_T4_T5_mmT6_P12ihipStream_tbEUlT_E_NS1_11comp_targetILNS1_3genE10ELNS1_11target_archE1201ELNS1_3gpuE5ELNS1_3repE0EEENS1_30default_config_static_selectorELNS0_4arch9wavefront6targetE0EEEvS10_.has_dyn_sized_stack, 0
	.set _ZN7rocprim17ROCPRIM_400000_NS6detail17trampoline_kernelINS0_14default_configENS1_21merge_config_selectorINS0_5tupleIJyyEEENS0_10empty_typeEEEZNS1_10merge_implIS3_NS0_12zip_iteratorINS5_IJN6thrust23THRUST_200600_302600_NS6detail15normal_iteratorINSC_10device_ptrIKyEEEESI_EEEEESK_NSA_INS5_IJNSE_INSF_IyEEEESM_EEEEEPS7_SP_SP_NSC_11hip_rocprim7__merge17predicate_wrapperIyyNSC_4lessIyEEEEEE10hipError_tPvRmT0_T1_T2_T3_T4_T5_mmT6_P12ihipStream_tbEUlT_E_NS1_11comp_targetILNS1_3genE10ELNS1_11target_archE1201ELNS1_3gpuE5ELNS1_3repE0EEENS1_30default_config_static_selectorELNS0_4arch9wavefront6targetE0EEEvS10_.has_recursion, 0
	.set _ZN7rocprim17ROCPRIM_400000_NS6detail17trampoline_kernelINS0_14default_configENS1_21merge_config_selectorINS0_5tupleIJyyEEENS0_10empty_typeEEEZNS1_10merge_implIS3_NS0_12zip_iteratorINS5_IJN6thrust23THRUST_200600_302600_NS6detail15normal_iteratorINSC_10device_ptrIKyEEEESI_EEEEESK_NSA_INS5_IJNSE_INSF_IyEEEESM_EEEEEPS7_SP_SP_NSC_11hip_rocprim7__merge17predicate_wrapperIyyNSC_4lessIyEEEEEE10hipError_tPvRmT0_T1_T2_T3_T4_T5_mmT6_P12ihipStream_tbEUlT_E_NS1_11comp_targetILNS1_3genE10ELNS1_11target_archE1201ELNS1_3gpuE5ELNS1_3repE0EEENS1_30default_config_static_selectorELNS0_4arch9wavefront6targetE0EEEvS10_.has_indirect_call, 0
	.section	.AMDGPU.csdata,"",@progbits
; Kernel info:
; codeLenInByte = 0
; TotalNumSgprs: 0
; NumVgprs: 0
; ScratchSize: 0
; MemoryBound: 0
; FloatMode: 240
; IeeeMode: 1
; LDSByteSize: 0 bytes/workgroup (compile time only)
; SGPRBlocks: 0
; VGPRBlocks: 0
; NumSGPRsForWavesPerEU: 1
; NumVGPRsForWavesPerEU: 1
; NamedBarCnt: 0
; Occupancy: 16
; WaveLimiterHint : 0
; COMPUTE_PGM_RSRC2:SCRATCH_EN: 0
; COMPUTE_PGM_RSRC2:USER_SGPR: 2
; COMPUTE_PGM_RSRC2:TRAP_HANDLER: 0
; COMPUTE_PGM_RSRC2:TGID_X_EN: 1
; COMPUTE_PGM_RSRC2:TGID_Y_EN: 0
; COMPUTE_PGM_RSRC2:TGID_Z_EN: 0
; COMPUTE_PGM_RSRC2:TIDIG_COMP_CNT: 0
	.section	.text._ZN7rocprim17ROCPRIM_400000_NS6detail17trampoline_kernelINS0_14default_configENS1_21merge_config_selectorINS0_5tupleIJyyEEENS0_10empty_typeEEEZNS1_10merge_implIS3_NS0_12zip_iteratorINS5_IJN6thrust23THRUST_200600_302600_NS6detail15normal_iteratorINSC_10device_ptrIKyEEEESI_EEEEESK_NSA_INS5_IJNSE_INSF_IyEEEESM_EEEEEPS7_SP_SP_NSC_11hip_rocprim7__merge17predicate_wrapperIyyNSC_4lessIyEEEEEE10hipError_tPvRmT0_T1_T2_T3_T4_T5_mmT6_P12ihipStream_tbEUlT_E_NS1_11comp_targetILNS1_3genE10ELNS1_11target_archE1200ELNS1_3gpuE4ELNS1_3repE0EEENS1_30default_config_static_selectorELNS0_4arch9wavefront6targetE0EEEvS10_,"axG",@progbits,_ZN7rocprim17ROCPRIM_400000_NS6detail17trampoline_kernelINS0_14default_configENS1_21merge_config_selectorINS0_5tupleIJyyEEENS0_10empty_typeEEEZNS1_10merge_implIS3_NS0_12zip_iteratorINS5_IJN6thrust23THRUST_200600_302600_NS6detail15normal_iteratorINSC_10device_ptrIKyEEEESI_EEEEESK_NSA_INS5_IJNSE_INSF_IyEEEESM_EEEEEPS7_SP_SP_NSC_11hip_rocprim7__merge17predicate_wrapperIyyNSC_4lessIyEEEEEE10hipError_tPvRmT0_T1_T2_T3_T4_T5_mmT6_P12ihipStream_tbEUlT_E_NS1_11comp_targetILNS1_3genE10ELNS1_11target_archE1200ELNS1_3gpuE4ELNS1_3repE0EEENS1_30default_config_static_selectorELNS0_4arch9wavefront6targetE0EEEvS10_,comdat
	.protected	_ZN7rocprim17ROCPRIM_400000_NS6detail17trampoline_kernelINS0_14default_configENS1_21merge_config_selectorINS0_5tupleIJyyEEENS0_10empty_typeEEEZNS1_10merge_implIS3_NS0_12zip_iteratorINS5_IJN6thrust23THRUST_200600_302600_NS6detail15normal_iteratorINSC_10device_ptrIKyEEEESI_EEEEESK_NSA_INS5_IJNSE_INSF_IyEEEESM_EEEEEPS7_SP_SP_NSC_11hip_rocprim7__merge17predicate_wrapperIyyNSC_4lessIyEEEEEE10hipError_tPvRmT0_T1_T2_T3_T4_T5_mmT6_P12ihipStream_tbEUlT_E_NS1_11comp_targetILNS1_3genE10ELNS1_11target_archE1200ELNS1_3gpuE4ELNS1_3repE0EEENS1_30default_config_static_selectorELNS0_4arch9wavefront6targetE0EEEvS10_ ; -- Begin function _ZN7rocprim17ROCPRIM_400000_NS6detail17trampoline_kernelINS0_14default_configENS1_21merge_config_selectorINS0_5tupleIJyyEEENS0_10empty_typeEEEZNS1_10merge_implIS3_NS0_12zip_iteratorINS5_IJN6thrust23THRUST_200600_302600_NS6detail15normal_iteratorINSC_10device_ptrIKyEEEESI_EEEEESK_NSA_INS5_IJNSE_INSF_IyEEEESM_EEEEEPS7_SP_SP_NSC_11hip_rocprim7__merge17predicate_wrapperIyyNSC_4lessIyEEEEEE10hipError_tPvRmT0_T1_T2_T3_T4_T5_mmT6_P12ihipStream_tbEUlT_E_NS1_11comp_targetILNS1_3genE10ELNS1_11target_archE1200ELNS1_3gpuE4ELNS1_3repE0EEENS1_30default_config_static_selectorELNS0_4arch9wavefront6targetE0EEEvS10_
	.globl	_ZN7rocprim17ROCPRIM_400000_NS6detail17trampoline_kernelINS0_14default_configENS1_21merge_config_selectorINS0_5tupleIJyyEEENS0_10empty_typeEEEZNS1_10merge_implIS3_NS0_12zip_iteratorINS5_IJN6thrust23THRUST_200600_302600_NS6detail15normal_iteratorINSC_10device_ptrIKyEEEESI_EEEEESK_NSA_INS5_IJNSE_INSF_IyEEEESM_EEEEEPS7_SP_SP_NSC_11hip_rocprim7__merge17predicate_wrapperIyyNSC_4lessIyEEEEEE10hipError_tPvRmT0_T1_T2_T3_T4_T5_mmT6_P12ihipStream_tbEUlT_E_NS1_11comp_targetILNS1_3genE10ELNS1_11target_archE1200ELNS1_3gpuE4ELNS1_3repE0EEENS1_30default_config_static_selectorELNS0_4arch9wavefront6targetE0EEEvS10_
	.p2align	8
	.type	_ZN7rocprim17ROCPRIM_400000_NS6detail17trampoline_kernelINS0_14default_configENS1_21merge_config_selectorINS0_5tupleIJyyEEENS0_10empty_typeEEEZNS1_10merge_implIS3_NS0_12zip_iteratorINS5_IJN6thrust23THRUST_200600_302600_NS6detail15normal_iteratorINSC_10device_ptrIKyEEEESI_EEEEESK_NSA_INS5_IJNSE_INSF_IyEEEESM_EEEEEPS7_SP_SP_NSC_11hip_rocprim7__merge17predicate_wrapperIyyNSC_4lessIyEEEEEE10hipError_tPvRmT0_T1_T2_T3_T4_T5_mmT6_P12ihipStream_tbEUlT_E_NS1_11comp_targetILNS1_3genE10ELNS1_11target_archE1200ELNS1_3gpuE4ELNS1_3repE0EEENS1_30default_config_static_selectorELNS0_4arch9wavefront6targetE0EEEvS10_,@function
_ZN7rocprim17ROCPRIM_400000_NS6detail17trampoline_kernelINS0_14default_configENS1_21merge_config_selectorINS0_5tupleIJyyEEENS0_10empty_typeEEEZNS1_10merge_implIS3_NS0_12zip_iteratorINS5_IJN6thrust23THRUST_200600_302600_NS6detail15normal_iteratorINSC_10device_ptrIKyEEEESI_EEEEESK_NSA_INS5_IJNSE_INSF_IyEEEESM_EEEEEPS7_SP_SP_NSC_11hip_rocprim7__merge17predicate_wrapperIyyNSC_4lessIyEEEEEE10hipError_tPvRmT0_T1_T2_T3_T4_T5_mmT6_P12ihipStream_tbEUlT_E_NS1_11comp_targetILNS1_3genE10ELNS1_11target_archE1200ELNS1_3gpuE4ELNS1_3repE0EEENS1_30default_config_static_selectorELNS0_4arch9wavefront6targetE0EEEvS10_: ; @_ZN7rocprim17ROCPRIM_400000_NS6detail17trampoline_kernelINS0_14default_configENS1_21merge_config_selectorINS0_5tupleIJyyEEENS0_10empty_typeEEEZNS1_10merge_implIS3_NS0_12zip_iteratorINS5_IJN6thrust23THRUST_200600_302600_NS6detail15normal_iteratorINSC_10device_ptrIKyEEEESI_EEEEESK_NSA_INS5_IJNSE_INSF_IyEEEESM_EEEEEPS7_SP_SP_NSC_11hip_rocprim7__merge17predicate_wrapperIyyNSC_4lessIyEEEEEE10hipError_tPvRmT0_T1_T2_T3_T4_T5_mmT6_P12ihipStream_tbEUlT_E_NS1_11comp_targetILNS1_3genE10ELNS1_11target_archE1200ELNS1_3gpuE4ELNS1_3repE0EEENS1_30default_config_static_selectorELNS0_4arch9wavefront6targetE0EEEvS10_
; %bb.0:
	.section	.rodata,"a",@progbits
	.p2align	6, 0x0
	.amdhsa_kernel _ZN7rocprim17ROCPRIM_400000_NS6detail17trampoline_kernelINS0_14default_configENS1_21merge_config_selectorINS0_5tupleIJyyEEENS0_10empty_typeEEEZNS1_10merge_implIS3_NS0_12zip_iteratorINS5_IJN6thrust23THRUST_200600_302600_NS6detail15normal_iteratorINSC_10device_ptrIKyEEEESI_EEEEESK_NSA_INS5_IJNSE_INSF_IyEEEESM_EEEEEPS7_SP_SP_NSC_11hip_rocprim7__merge17predicate_wrapperIyyNSC_4lessIyEEEEEE10hipError_tPvRmT0_T1_T2_T3_T4_T5_mmT6_P12ihipStream_tbEUlT_E_NS1_11comp_targetILNS1_3genE10ELNS1_11target_archE1200ELNS1_3gpuE4ELNS1_3repE0EEENS1_30default_config_static_selectorELNS0_4arch9wavefront6targetE0EEEvS10_
		.amdhsa_group_segment_fixed_size 0
		.amdhsa_private_segment_fixed_size 0
		.amdhsa_kernarg_size 64
		.amdhsa_user_sgpr_count 2
		.amdhsa_user_sgpr_dispatch_ptr 0
		.amdhsa_user_sgpr_queue_ptr 0
		.amdhsa_user_sgpr_kernarg_segment_ptr 1
		.amdhsa_user_sgpr_dispatch_id 0
		.amdhsa_user_sgpr_kernarg_preload_length 0
		.amdhsa_user_sgpr_kernarg_preload_offset 0
		.amdhsa_user_sgpr_private_segment_size 0
		.amdhsa_wavefront_size32 1
		.amdhsa_uses_dynamic_stack 0
		.amdhsa_enable_private_segment 0
		.amdhsa_system_sgpr_workgroup_id_x 1
		.amdhsa_system_sgpr_workgroup_id_y 0
		.amdhsa_system_sgpr_workgroup_id_z 0
		.amdhsa_system_sgpr_workgroup_info 0
		.amdhsa_system_vgpr_workitem_id 0
		.amdhsa_next_free_vgpr 1
		.amdhsa_next_free_sgpr 1
		.amdhsa_named_barrier_count 0
		.amdhsa_reserve_vcc 0
		.amdhsa_float_round_mode_32 0
		.amdhsa_float_round_mode_16_64 0
		.amdhsa_float_denorm_mode_32 3
		.amdhsa_float_denorm_mode_16_64 3
		.amdhsa_fp16_overflow 0
		.amdhsa_memory_ordered 1
		.amdhsa_forward_progress 1
		.amdhsa_inst_pref_size 0
		.amdhsa_round_robin_scheduling 0
		.amdhsa_exception_fp_ieee_invalid_op 0
		.amdhsa_exception_fp_denorm_src 0
		.amdhsa_exception_fp_ieee_div_zero 0
		.amdhsa_exception_fp_ieee_overflow 0
		.amdhsa_exception_fp_ieee_underflow 0
		.amdhsa_exception_fp_ieee_inexact 0
		.amdhsa_exception_int_div_zero 0
	.end_amdhsa_kernel
	.section	.text._ZN7rocprim17ROCPRIM_400000_NS6detail17trampoline_kernelINS0_14default_configENS1_21merge_config_selectorINS0_5tupleIJyyEEENS0_10empty_typeEEEZNS1_10merge_implIS3_NS0_12zip_iteratorINS5_IJN6thrust23THRUST_200600_302600_NS6detail15normal_iteratorINSC_10device_ptrIKyEEEESI_EEEEESK_NSA_INS5_IJNSE_INSF_IyEEEESM_EEEEEPS7_SP_SP_NSC_11hip_rocprim7__merge17predicate_wrapperIyyNSC_4lessIyEEEEEE10hipError_tPvRmT0_T1_T2_T3_T4_T5_mmT6_P12ihipStream_tbEUlT_E_NS1_11comp_targetILNS1_3genE10ELNS1_11target_archE1200ELNS1_3gpuE4ELNS1_3repE0EEENS1_30default_config_static_selectorELNS0_4arch9wavefront6targetE0EEEvS10_,"axG",@progbits,_ZN7rocprim17ROCPRIM_400000_NS6detail17trampoline_kernelINS0_14default_configENS1_21merge_config_selectorINS0_5tupleIJyyEEENS0_10empty_typeEEEZNS1_10merge_implIS3_NS0_12zip_iteratorINS5_IJN6thrust23THRUST_200600_302600_NS6detail15normal_iteratorINSC_10device_ptrIKyEEEESI_EEEEESK_NSA_INS5_IJNSE_INSF_IyEEEESM_EEEEEPS7_SP_SP_NSC_11hip_rocprim7__merge17predicate_wrapperIyyNSC_4lessIyEEEEEE10hipError_tPvRmT0_T1_T2_T3_T4_T5_mmT6_P12ihipStream_tbEUlT_E_NS1_11comp_targetILNS1_3genE10ELNS1_11target_archE1200ELNS1_3gpuE4ELNS1_3repE0EEENS1_30default_config_static_selectorELNS0_4arch9wavefront6targetE0EEEvS10_,comdat
.Lfunc_end102:
	.size	_ZN7rocprim17ROCPRIM_400000_NS6detail17trampoline_kernelINS0_14default_configENS1_21merge_config_selectorINS0_5tupleIJyyEEENS0_10empty_typeEEEZNS1_10merge_implIS3_NS0_12zip_iteratorINS5_IJN6thrust23THRUST_200600_302600_NS6detail15normal_iteratorINSC_10device_ptrIKyEEEESI_EEEEESK_NSA_INS5_IJNSE_INSF_IyEEEESM_EEEEEPS7_SP_SP_NSC_11hip_rocprim7__merge17predicate_wrapperIyyNSC_4lessIyEEEEEE10hipError_tPvRmT0_T1_T2_T3_T4_T5_mmT6_P12ihipStream_tbEUlT_E_NS1_11comp_targetILNS1_3genE10ELNS1_11target_archE1200ELNS1_3gpuE4ELNS1_3repE0EEENS1_30default_config_static_selectorELNS0_4arch9wavefront6targetE0EEEvS10_, .Lfunc_end102-_ZN7rocprim17ROCPRIM_400000_NS6detail17trampoline_kernelINS0_14default_configENS1_21merge_config_selectorINS0_5tupleIJyyEEENS0_10empty_typeEEEZNS1_10merge_implIS3_NS0_12zip_iteratorINS5_IJN6thrust23THRUST_200600_302600_NS6detail15normal_iteratorINSC_10device_ptrIKyEEEESI_EEEEESK_NSA_INS5_IJNSE_INSF_IyEEEESM_EEEEEPS7_SP_SP_NSC_11hip_rocprim7__merge17predicate_wrapperIyyNSC_4lessIyEEEEEE10hipError_tPvRmT0_T1_T2_T3_T4_T5_mmT6_P12ihipStream_tbEUlT_E_NS1_11comp_targetILNS1_3genE10ELNS1_11target_archE1200ELNS1_3gpuE4ELNS1_3repE0EEENS1_30default_config_static_selectorELNS0_4arch9wavefront6targetE0EEEvS10_
                                        ; -- End function
	.set _ZN7rocprim17ROCPRIM_400000_NS6detail17trampoline_kernelINS0_14default_configENS1_21merge_config_selectorINS0_5tupleIJyyEEENS0_10empty_typeEEEZNS1_10merge_implIS3_NS0_12zip_iteratorINS5_IJN6thrust23THRUST_200600_302600_NS6detail15normal_iteratorINSC_10device_ptrIKyEEEESI_EEEEESK_NSA_INS5_IJNSE_INSF_IyEEEESM_EEEEEPS7_SP_SP_NSC_11hip_rocprim7__merge17predicate_wrapperIyyNSC_4lessIyEEEEEE10hipError_tPvRmT0_T1_T2_T3_T4_T5_mmT6_P12ihipStream_tbEUlT_E_NS1_11comp_targetILNS1_3genE10ELNS1_11target_archE1200ELNS1_3gpuE4ELNS1_3repE0EEENS1_30default_config_static_selectorELNS0_4arch9wavefront6targetE0EEEvS10_.num_vgpr, 0
	.set _ZN7rocprim17ROCPRIM_400000_NS6detail17trampoline_kernelINS0_14default_configENS1_21merge_config_selectorINS0_5tupleIJyyEEENS0_10empty_typeEEEZNS1_10merge_implIS3_NS0_12zip_iteratorINS5_IJN6thrust23THRUST_200600_302600_NS6detail15normal_iteratorINSC_10device_ptrIKyEEEESI_EEEEESK_NSA_INS5_IJNSE_INSF_IyEEEESM_EEEEEPS7_SP_SP_NSC_11hip_rocprim7__merge17predicate_wrapperIyyNSC_4lessIyEEEEEE10hipError_tPvRmT0_T1_T2_T3_T4_T5_mmT6_P12ihipStream_tbEUlT_E_NS1_11comp_targetILNS1_3genE10ELNS1_11target_archE1200ELNS1_3gpuE4ELNS1_3repE0EEENS1_30default_config_static_selectorELNS0_4arch9wavefront6targetE0EEEvS10_.num_agpr, 0
	.set _ZN7rocprim17ROCPRIM_400000_NS6detail17trampoline_kernelINS0_14default_configENS1_21merge_config_selectorINS0_5tupleIJyyEEENS0_10empty_typeEEEZNS1_10merge_implIS3_NS0_12zip_iteratorINS5_IJN6thrust23THRUST_200600_302600_NS6detail15normal_iteratorINSC_10device_ptrIKyEEEESI_EEEEESK_NSA_INS5_IJNSE_INSF_IyEEEESM_EEEEEPS7_SP_SP_NSC_11hip_rocprim7__merge17predicate_wrapperIyyNSC_4lessIyEEEEEE10hipError_tPvRmT0_T1_T2_T3_T4_T5_mmT6_P12ihipStream_tbEUlT_E_NS1_11comp_targetILNS1_3genE10ELNS1_11target_archE1200ELNS1_3gpuE4ELNS1_3repE0EEENS1_30default_config_static_selectorELNS0_4arch9wavefront6targetE0EEEvS10_.numbered_sgpr, 0
	.set _ZN7rocprim17ROCPRIM_400000_NS6detail17trampoline_kernelINS0_14default_configENS1_21merge_config_selectorINS0_5tupleIJyyEEENS0_10empty_typeEEEZNS1_10merge_implIS3_NS0_12zip_iteratorINS5_IJN6thrust23THRUST_200600_302600_NS6detail15normal_iteratorINSC_10device_ptrIKyEEEESI_EEEEESK_NSA_INS5_IJNSE_INSF_IyEEEESM_EEEEEPS7_SP_SP_NSC_11hip_rocprim7__merge17predicate_wrapperIyyNSC_4lessIyEEEEEE10hipError_tPvRmT0_T1_T2_T3_T4_T5_mmT6_P12ihipStream_tbEUlT_E_NS1_11comp_targetILNS1_3genE10ELNS1_11target_archE1200ELNS1_3gpuE4ELNS1_3repE0EEENS1_30default_config_static_selectorELNS0_4arch9wavefront6targetE0EEEvS10_.num_named_barrier, 0
	.set _ZN7rocprim17ROCPRIM_400000_NS6detail17trampoline_kernelINS0_14default_configENS1_21merge_config_selectorINS0_5tupleIJyyEEENS0_10empty_typeEEEZNS1_10merge_implIS3_NS0_12zip_iteratorINS5_IJN6thrust23THRUST_200600_302600_NS6detail15normal_iteratorINSC_10device_ptrIKyEEEESI_EEEEESK_NSA_INS5_IJNSE_INSF_IyEEEESM_EEEEEPS7_SP_SP_NSC_11hip_rocprim7__merge17predicate_wrapperIyyNSC_4lessIyEEEEEE10hipError_tPvRmT0_T1_T2_T3_T4_T5_mmT6_P12ihipStream_tbEUlT_E_NS1_11comp_targetILNS1_3genE10ELNS1_11target_archE1200ELNS1_3gpuE4ELNS1_3repE0EEENS1_30default_config_static_selectorELNS0_4arch9wavefront6targetE0EEEvS10_.private_seg_size, 0
	.set _ZN7rocprim17ROCPRIM_400000_NS6detail17trampoline_kernelINS0_14default_configENS1_21merge_config_selectorINS0_5tupleIJyyEEENS0_10empty_typeEEEZNS1_10merge_implIS3_NS0_12zip_iteratorINS5_IJN6thrust23THRUST_200600_302600_NS6detail15normal_iteratorINSC_10device_ptrIKyEEEESI_EEEEESK_NSA_INS5_IJNSE_INSF_IyEEEESM_EEEEEPS7_SP_SP_NSC_11hip_rocprim7__merge17predicate_wrapperIyyNSC_4lessIyEEEEEE10hipError_tPvRmT0_T1_T2_T3_T4_T5_mmT6_P12ihipStream_tbEUlT_E_NS1_11comp_targetILNS1_3genE10ELNS1_11target_archE1200ELNS1_3gpuE4ELNS1_3repE0EEENS1_30default_config_static_selectorELNS0_4arch9wavefront6targetE0EEEvS10_.uses_vcc, 0
	.set _ZN7rocprim17ROCPRIM_400000_NS6detail17trampoline_kernelINS0_14default_configENS1_21merge_config_selectorINS0_5tupleIJyyEEENS0_10empty_typeEEEZNS1_10merge_implIS3_NS0_12zip_iteratorINS5_IJN6thrust23THRUST_200600_302600_NS6detail15normal_iteratorINSC_10device_ptrIKyEEEESI_EEEEESK_NSA_INS5_IJNSE_INSF_IyEEEESM_EEEEEPS7_SP_SP_NSC_11hip_rocprim7__merge17predicate_wrapperIyyNSC_4lessIyEEEEEE10hipError_tPvRmT0_T1_T2_T3_T4_T5_mmT6_P12ihipStream_tbEUlT_E_NS1_11comp_targetILNS1_3genE10ELNS1_11target_archE1200ELNS1_3gpuE4ELNS1_3repE0EEENS1_30default_config_static_selectorELNS0_4arch9wavefront6targetE0EEEvS10_.uses_flat_scratch, 0
	.set _ZN7rocprim17ROCPRIM_400000_NS6detail17trampoline_kernelINS0_14default_configENS1_21merge_config_selectorINS0_5tupleIJyyEEENS0_10empty_typeEEEZNS1_10merge_implIS3_NS0_12zip_iteratorINS5_IJN6thrust23THRUST_200600_302600_NS6detail15normal_iteratorINSC_10device_ptrIKyEEEESI_EEEEESK_NSA_INS5_IJNSE_INSF_IyEEEESM_EEEEEPS7_SP_SP_NSC_11hip_rocprim7__merge17predicate_wrapperIyyNSC_4lessIyEEEEEE10hipError_tPvRmT0_T1_T2_T3_T4_T5_mmT6_P12ihipStream_tbEUlT_E_NS1_11comp_targetILNS1_3genE10ELNS1_11target_archE1200ELNS1_3gpuE4ELNS1_3repE0EEENS1_30default_config_static_selectorELNS0_4arch9wavefront6targetE0EEEvS10_.has_dyn_sized_stack, 0
	.set _ZN7rocprim17ROCPRIM_400000_NS6detail17trampoline_kernelINS0_14default_configENS1_21merge_config_selectorINS0_5tupleIJyyEEENS0_10empty_typeEEEZNS1_10merge_implIS3_NS0_12zip_iteratorINS5_IJN6thrust23THRUST_200600_302600_NS6detail15normal_iteratorINSC_10device_ptrIKyEEEESI_EEEEESK_NSA_INS5_IJNSE_INSF_IyEEEESM_EEEEEPS7_SP_SP_NSC_11hip_rocprim7__merge17predicate_wrapperIyyNSC_4lessIyEEEEEE10hipError_tPvRmT0_T1_T2_T3_T4_T5_mmT6_P12ihipStream_tbEUlT_E_NS1_11comp_targetILNS1_3genE10ELNS1_11target_archE1200ELNS1_3gpuE4ELNS1_3repE0EEENS1_30default_config_static_selectorELNS0_4arch9wavefront6targetE0EEEvS10_.has_recursion, 0
	.set _ZN7rocprim17ROCPRIM_400000_NS6detail17trampoline_kernelINS0_14default_configENS1_21merge_config_selectorINS0_5tupleIJyyEEENS0_10empty_typeEEEZNS1_10merge_implIS3_NS0_12zip_iteratorINS5_IJN6thrust23THRUST_200600_302600_NS6detail15normal_iteratorINSC_10device_ptrIKyEEEESI_EEEEESK_NSA_INS5_IJNSE_INSF_IyEEEESM_EEEEEPS7_SP_SP_NSC_11hip_rocprim7__merge17predicate_wrapperIyyNSC_4lessIyEEEEEE10hipError_tPvRmT0_T1_T2_T3_T4_T5_mmT6_P12ihipStream_tbEUlT_E_NS1_11comp_targetILNS1_3genE10ELNS1_11target_archE1200ELNS1_3gpuE4ELNS1_3repE0EEENS1_30default_config_static_selectorELNS0_4arch9wavefront6targetE0EEEvS10_.has_indirect_call, 0
	.section	.AMDGPU.csdata,"",@progbits
; Kernel info:
; codeLenInByte = 0
; TotalNumSgprs: 0
; NumVgprs: 0
; ScratchSize: 0
; MemoryBound: 0
; FloatMode: 240
; IeeeMode: 1
; LDSByteSize: 0 bytes/workgroup (compile time only)
; SGPRBlocks: 0
; VGPRBlocks: 0
; NumSGPRsForWavesPerEU: 1
; NumVGPRsForWavesPerEU: 1
; NamedBarCnt: 0
; Occupancy: 16
; WaveLimiterHint : 0
; COMPUTE_PGM_RSRC2:SCRATCH_EN: 0
; COMPUTE_PGM_RSRC2:USER_SGPR: 2
; COMPUTE_PGM_RSRC2:TRAP_HANDLER: 0
; COMPUTE_PGM_RSRC2:TGID_X_EN: 1
; COMPUTE_PGM_RSRC2:TGID_Y_EN: 0
; COMPUTE_PGM_RSRC2:TGID_Z_EN: 0
; COMPUTE_PGM_RSRC2:TIDIG_COMP_CNT: 0
	.section	.text._ZN7rocprim17ROCPRIM_400000_NS6detail17trampoline_kernelINS0_14default_configENS1_21merge_config_selectorINS0_5tupleIJyyEEENS0_10empty_typeEEEZNS1_10merge_implIS3_NS0_12zip_iteratorINS5_IJN6thrust23THRUST_200600_302600_NS6detail15normal_iteratorINSC_10device_ptrIKyEEEESI_EEEEESK_NSA_INS5_IJNSE_INSF_IyEEEESM_EEEEEPS7_SP_SP_NSC_11hip_rocprim7__merge17predicate_wrapperIyyNSC_4lessIyEEEEEE10hipError_tPvRmT0_T1_T2_T3_T4_T5_mmT6_P12ihipStream_tbEUlT_E_NS1_11comp_targetILNS1_3genE9ELNS1_11target_archE1100ELNS1_3gpuE3ELNS1_3repE0EEENS1_30default_config_static_selectorELNS0_4arch9wavefront6targetE0EEEvS10_,"axG",@progbits,_ZN7rocprim17ROCPRIM_400000_NS6detail17trampoline_kernelINS0_14default_configENS1_21merge_config_selectorINS0_5tupleIJyyEEENS0_10empty_typeEEEZNS1_10merge_implIS3_NS0_12zip_iteratorINS5_IJN6thrust23THRUST_200600_302600_NS6detail15normal_iteratorINSC_10device_ptrIKyEEEESI_EEEEESK_NSA_INS5_IJNSE_INSF_IyEEEESM_EEEEEPS7_SP_SP_NSC_11hip_rocprim7__merge17predicate_wrapperIyyNSC_4lessIyEEEEEE10hipError_tPvRmT0_T1_T2_T3_T4_T5_mmT6_P12ihipStream_tbEUlT_E_NS1_11comp_targetILNS1_3genE9ELNS1_11target_archE1100ELNS1_3gpuE3ELNS1_3repE0EEENS1_30default_config_static_selectorELNS0_4arch9wavefront6targetE0EEEvS10_,comdat
	.protected	_ZN7rocprim17ROCPRIM_400000_NS6detail17trampoline_kernelINS0_14default_configENS1_21merge_config_selectorINS0_5tupleIJyyEEENS0_10empty_typeEEEZNS1_10merge_implIS3_NS0_12zip_iteratorINS5_IJN6thrust23THRUST_200600_302600_NS6detail15normal_iteratorINSC_10device_ptrIKyEEEESI_EEEEESK_NSA_INS5_IJNSE_INSF_IyEEEESM_EEEEEPS7_SP_SP_NSC_11hip_rocprim7__merge17predicate_wrapperIyyNSC_4lessIyEEEEEE10hipError_tPvRmT0_T1_T2_T3_T4_T5_mmT6_P12ihipStream_tbEUlT_E_NS1_11comp_targetILNS1_3genE9ELNS1_11target_archE1100ELNS1_3gpuE3ELNS1_3repE0EEENS1_30default_config_static_selectorELNS0_4arch9wavefront6targetE0EEEvS10_ ; -- Begin function _ZN7rocprim17ROCPRIM_400000_NS6detail17trampoline_kernelINS0_14default_configENS1_21merge_config_selectorINS0_5tupleIJyyEEENS0_10empty_typeEEEZNS1_10merge_implIS3_NS0_12zip_iteratorINS5_IJN6thrust23THRUST_200600_302600_NS6detail15normal_iteratorINSC_10device_ptrIKyEEEESI_EEEEESK_NSA_INS5_IJNSE_INSF_IyEEEESM_EEEEEPS7_SP_SP_NSC_11hip_rocprim7__merge17predicate_wrapperIyyNSC_4lessIyEEEEEE10hipError_tPvRmT0_T1_T2_T3_T4_T5_mmT6_P12ihipStream_tbEUlT_E_NS1_11comp_targetILNS1_3genE9ELNS1_11target_archE1100ELNS1_3gpuE3ELNS1_3repE0EEENS1_30default_config_static_selectorELNS0_4arch9wavefront6targetE0EEEvS10_
	.globl	_ZN7rocprim17ROCPRIM_400000_NS6detail17trampoline_kernelINS0_14default_configENS1_21merge_config_selectorINS0_5tupleIJyyEEENS0_10empty_typeEEEZNS1_10merge_implIS3_NS0_12zip_iteratorINS5_IJN6thrust23THRUST_200600_302600_NS6detail15normal_iteratorINSC_10device_ptrIKyEEEESI_EEEEESK_NSA_INS5_IJNSE_INSF_IyEEEESM_EEEEEPS7_SP_SP_NSC_11hip_rocprim7__merge17predicate_wrapperIyyNSC_4lessIyEEEEEE10hipError_tPvRmT0_T1_T2_T3_T4_T5_mmT6_P12ihipStream_tbEUlT_E_NS1_11comp_targetILNS1_3genE9ELNS1_11target_archE1100ELNS1_3gpuE3ELNS1_3repE0EEENS1_30default_config_static_selectorELNS0_4arch9wavefront6targetE0EEEvS10_
	.p2align	8
	.type	_ZN7rocprim17ROCPRIM_400000_NS6detail17trampoline_kernelINS0_14default_configENS1_21merge_config_selectorINS0_5tupleIJyyEEENS0_10empty_typeEEEZNS1_10merge_implIS3_NS0_12zip_iteratorINS5_IJN6thrust23THRUST_200600_302600_NS6detail15normal_iteratorINSC_10device_ptrIKyEEEESI_EEEEESK_NSA_INS5_IJNSE_INSF_IyEEEESM_EEEEEPS7_SP_SP_NSC_11hip_rocprim7__merge17predicate_wrapperIyyNSC_4lessIyEEEEEE10hipError_tPvRmT0_T1_T2_T3_T4_T5_mmT6_P12ihipStream_tbEUlT_E_NS1_11comp_targetILNS1_3genE9ELNS1_11target_archE1100ELNS1_3gpuE3ELNS1_3repE0EEENS1_30default_config_static_selectorELNS0_4arch9wavefront6targetE0EEEvS10_,@function
_ZN7rocprim17ROCPRIM_400000_NS6detail17trampoline_kernelINS0_14default_configENS1_21merge_config_selectorINS0_5tupleIJyyEEENS0_10empty_typeEEEZNS1_10merge_implIS3_NS0_12zip_iteratorINS5_IJN6thrust23THRUST_200600_302600_NS6detail15normal_iteratorINSC_10device_ptrIKyEEEESI_EEEEESK_NSA_INS5_IJNSE_INSF_IyEEEESM_EEEEEPS7_SP_SP_NSC_11hip_rocprim7__merge17predicate_wrapperIyyNSC_4lessIyEEEEEE10hipError_tPvRmT0_T1_T2_T3_T4_T5_mmT6_P12ihipStream_tbEUlT_E_NS1_11comp_targetILNS1_3genE9ELNS1_11target_archE1100ELNS1_3gpuE3ELNS1_3repE0EEENS1_30default_config_static_selectorELNS0_4arch9wavefront6targetE0EEEvS10_: ; @_ZN7rocprim17ROCPRIM_400000_NS6detail17trampoline_kernelINS0_14default_configENS1_21merge_config_selectorINS0_5tupleIJyyEEENS0_10empty_typeEEEZNS1_10merge_implIS3_NS0_12zip_iteratorINS5_IJN6thrust23THRUST_200600_302600_NS6detail15normal_iteratorINSC_10device_ptrIKyEEEESI_EEEEESK_NSA_INS5_IJNSE_INSF_IyEEEESM_EEEEEPS7_SP_SP_NSC_11hip_rocprim7__merge17predicate_wrapperIyyNSC_4lessIyEEEEEE10hipError_tPvRmT0_T1_T2_T3_T4_T5_mmT6_P12ihipStream_tbEUlT_E_NS1_11comp_targetILNS1_3genE9ELNS1_11target_archE1100ELNS1_3gpuE3ELNS1_3repE0EEENS1_30default_config_static_selectorELNS0_4arch9wavefront6targetE0EEEvS10_
; %bb.0:
	.section	.rodata,"a",@progbits
	.p2align	6, 0x0
	.amdhsa_kernel _ZN7rocprim17ROCPRIM_400000_NS6detail17trampoline_kernelINS0_14default_configENS1_21merge_config_selectorINS0_5tupleIJyyEEENS0_10empty_typeEEEZNS1_10merge_implIS3_NS0_12zip_iteratorINS5_IJN6thrust23THRUST_200600_302600_NS6detail15normal_iteratorINSC_10device_ptrIKyEEEESI_EEEEESK_NSA_INS5_IJNSE_INSF_IyEEEESM_EEEEEPS7_SP_SP_NSC_11hip_rocprim7__merge17predicate_wrapperIyyNSC_4lessIyEEEEEE10hipError_tPvRmT0_T1_T2_T3_T4_T5_mmT6_P12ihipStream_tbEUlT_E_NS1_11comp_targetILNS1_3genE9ELNS1_11target_archE1100ELNS1_3gpuE3ELNS1_3repE0EEENS1_30default_config_static_selectorELNS0_4arch9wavefront6targetE0EEEvS10_
		.amdhsa_group_segment_fixed_size 0
		.amdhsa_private_segment_fixed_size 0
		.amdhsa_kernarg_size 64
		.amdhsa_user_sgpr_count 2
		.amdhsa_user_sgpr_dispatch_ptr 0
		.amdhsa_user_sgpr_queue_ptr 0
		.amdhsa_user_sgpr_kernarg_segment_ptr 1
		.amdhsa_user_sgpr_dispatch_id 0
		.amdhsa_user_sgpr_kernarg_preload_length 0
		.amdhsa_user_sgpr_kernarg_preload_offset 0
		.amdhsa_user_sgpr_private_segment_size 0
		.amdhsa_wavefront_size32 1
		.amdhsa_uses_dynamic_stack 0
		.amdhsa_enable_private_segment 0
		.amdhsa_system_sgpr_workgroup_id_x 1
		.amdhsa_system_sgpr_workgroup_id_y 0
		.amdhsa_system_sgpr_workgroup_id_z 0
		.amdhsa_system_sgpr_workgroup_info 0
		.amdhsa_system_vgpr_workitem_id 0
		.amdhsa_next_free_vgpr 1
		.amdhsa_next_free_sgpr 1
		.amdhsa_named_barrier_count 0
		.amdhsa_reserve_vcc 0
		.amdhsa_float_round_mode_32 0
		.amdhsa_float_round_mode_16_64 0
		.amdhsa_float_denorm_mode_32 3
		.amdhsa_float_denorm_mode_16_64 3
		.amdhsa_fp16_overflow 0
		.amdhsa_memory_ordered 1
		.amdhsa_forward_progress 1
		.amdhsa_inst_pref_size 0
		.amdhsa_round_robin_scheduling 0
		.amdhsa_exception_fp_ieee_invalid_op 0
		.amdhsa_exception_fp_denorm_src 0
		.amdhsa_exception_fp_ieee_div_zero 0
		.amdhsa_exception_fp_ieee_overflow 0
		.amdhsa_exception_fp_ieee_underflow 0
		.amdhsa_exception_fp_ieee_inexact 0
		.amdhsa_exception_int_div_zero 0
	.end_amdhsa_kernel
	.section	.text._ZN7rocprim17ROCPRIM_400000_NS6detail17trampoline_kernelINS0_14default_configENS1_21merge_config_selectorINS0_5tupleIJyyEEENS0_10empty_typeEEEZNS1_10merge_implIS3_NS0_12zip_iteratorINS5_IJN6thrust23THRUST_200600_302600_NS6detail15normal_iteratorINSC_10device_ptrIKyEEEESI_EEEEESK_NSA_INS5_IJNSE_INSF_IyEEEESM_EEEEEPS7_SP_SP_NSC_11hip_rocprim7__merge17predicate_wrapperIyyNSC_4lessIyEEEEEE10hipError_tPvRmT0_T1_T2_T3_T4_T5_mmT6_P12ihipStream_tbEUlT_E_NS1_11comp_targetILNS1_3genE9ELNS1_11target_archE1100ELNS1_3gpuE3ELNS1_3repE0EEENS1_30default_config_static_selectorELNS0_4arch9wavefront6targetE0EEEvS10_,"axG",@progbits,_ZN7rocprim17ROCPRIM_400000_NS6detail17trampoline_kernelINS0_14default_configENS1_21merge_config_selectorINS0_5tupleIJyyEEENS0_10empty_typeEEEZNS1_10merge_implIS3_NS0_12zip_iteratorINS5_IJN6thrust23THRUST_200600_302600_NS6detail15normal_iteratorINSC_10device_ptrIKyEEEESI_EEEEESK_NSA_INS5_IJNSE_INSF_IyEEEESM_EEEEEPS7_SP_SP_NSC_11hip_rocprim7__merge17predicate_wrapperIyyNSC_4lessIyEEEEEE10hipError_tPvRmT0_T1_T2_T3_T4_T5_mmT6_P12ihipStream_tbEUlT_E_NS1_11comp_targetILNS1_3genE9ELNS1_11target_archE1100ELNS1_3gpuE3ELNS1_3repE0EEENS1_30default_config_static_selectorELNS0_4arch9wavefront6targetE0EEEvS10_,comdat
.Lfunc_end103:
	.size	_ZN7rocprim17ROCPRIM_400000_NS6detail17trampoline_kernelINS0_14default_configENS1_21merge_config_selectorINS0_5tupleIJyyEEENS0_10empty_typeEEEZNS1_10merge_implIS3_NS0_12zip_iteratorINS5_IJN6thrust23THRUST_200600_302600_NS6detail15normal_iteratorINSC_10device_ptrIKyEEEESI_EEEEESK_NSA_INS5_IJNSE_INSF_IyEEEESM_EEEEEPS7_SP_SP_NSC_11hip_rocprim7__merge17predicate_wrapperIyyNSC_4lessIyEEEEEE10hipError_tPvRmT0_T1_T2_T3_T4_T5_mmT6_P12ihipStream_tbEUlT_E_NS1_11comp_targetILNS1_3genE9ELNS1_11target_archE1100ELNS1_3gpuE3ELNS1_3repE0EEENS1_30default_config_static_selectorELNS0_4arch9wavefront6targetE0EEEvS10_, .Lfunc_end103-_ZN7rocprim17ROCPRIM_400000_NS6detail17trampoline_kernelINS0_14default_configENS1_21merge_config_selectorINS0_5tupleIJyyEEENS0_10empty_typeEEEZNS1_10merge_implIS3_NS0_12zip_iteratorINS5_IJN6thrust23THRUST_200600_302600_NS6detail15normal_iteratorINSC_10device_ptrIKyEEEESI_EEEEESK_NSA_INS5_IJNSE_INSF_IyEEEESM_EEEEEPS7_SP_SP_NSC_11hip_rocprim7__merge17predicate_wrapperIyyNSC_4lessIyEEEEEE10hipError_tPvRmT0_T1_T2_T3_T4_T5_mmT6_P12ihipStream_tbEUlT_E_NS1_11comp_targetILNS1_3genE9ELNS1_11target_archE1100ELNS1_3gpuE3ELNS1_3repE0EEENS1_30default_config_static_selectorELNS0_4arch9wavefront6targetE0EEEvS10_
                                        ; -- End function
	.set _ZN7rocprim17ROCPRIM_400000_NS6detail17trampoline_kernelINS0_14default_configENS1_21merge_config_selectorINS0_5tupleIJyyEEENS0_10empty_typeEEEZNS1_10merge_implIS3_NS0_12zip_iteratorINS5_IJN6thrust23THRUST_200600_302600_NS6detail15normal_iteratorINSC_10device_ptrIKyEEEESI_EEEEESK_NSA_INS5_IJNSE_INSF_IyEEEESM_EEEEEPS7_SP_SP_NSC_11hip_rocprim7__merge17predicate_wrapperIyyNSC_4lessIyEEEEEE10hipError_tPvRmT0_T1_T2_T3_T4_T5_mmT6_P12ihipStream_tbEUlT_E_NS1_11comp_targetILNS1_3genE9ELNS1_11target_archE1100ELNS1_3gpuE3ELNS1_3repE0EEENS1_30default_config_static_selectorELNS0_4arch9wavefront6targetE0EEEvS10_.num_vgpr, 0
	.set _ZN7rocprim17ROCPRIM_400000_NS6detail17trampoline_kernelINS0_14default_configENS1_21merge_config_selectorINS0_5tupleIJyyEEENS0_10empty_typeEEEZNS1_10merge_implIS3_NS0_12zip_iteratorINS5_IJN6thrust23THRUST_200600_302600_NS6detail15normal_iteratorINSC_10device_ptrIKyEEEESI_EEEEESK_NSA_INS5_IJNSE_INSF_IyEEEESM_EEEEEPS7_SP_SP_NSC_11hip_rocprim7__merge17predicate_wrapperIyyNSC_4lessIyEEEEEE10hipError_tPvRmT0_T1_T2_T3_T4_T5_mmT6_P12ihipStream_tbEUlT_E_NS1_11comp_targetILNS1_3genE9ELNS1_11target_archE1100ELNS1_3gpuE3ELNS1_3repE0EEENS1_30default_config_static_selectorELNS0_4arch9wavefront6targetE0EEEvS10_.num_agpr, 0
	.set _ZN7rocprim17ROCPRIM_400000_NS6detail17trampoline_kernelINS0_14default_configENS1_21merge_config_selectorINS0_5tupleIJyyEEENS0_10empty_typeEEEZNS1_10merge_implIS3_NS0_12zip_iteratorINS5_IJN6thrust23THRUST_200600_302600_NS6detail15normal_iteratorINSC_10device_ptrIKyEEEESI_EEEEESK_NSA_INS5_IJNSE_INSF_IyEEEESM_EEEEEPS7_SP_SP_NSC_11hip_rocprim7__merge17predicate_wrapperIyyNSC_4lessIyEEEEEE10hipError_tPvRmT0_T1_T2_T3_T4_T5_mmT6_P12ihipStream_tbEUlT_E_NS1_11comp_targetILNS1_3genE9ELNS1_11target_archE1100ELNS1_3gpuE3ELNS1_3repE0EEENS1_30default_config_static_selectorELNS0_4arch9wavefront6targetE0EEEvS10_.numbered_sgpr, 0
	.set _ZN7rocprim17ROCPRIM_400000_NS6detail17trampoline_kernelINS0_14default_configENS1_21merge_config_selectorINS0_5tupleIJyyEEENS0_10empty_typeEEEZNS1_10merge_implIS3_NS0_12zip_iteratorINS5_IJN6thrust23THRUST_200600_302600_NS6detail15normal_iteratorINSC_10device_ptrIKyEEEESI_EEEEESK_NSA_INS5_IJNSE_INSF_IyEEEESM_EEEEEPS7_SP_SP_NSC_11hip_rocprim7__merge17predicate_wrapperIyyNSC_4lessIyEEEEEE10hipError_tPvRmT0_T1_T2_T3_T4_T5_mmT6_P12ihipStream_tbEUlT_E_NS1_11comp_targetILNS1_3genE9ELNS1_11target_archE1100ELNS1_3gpuE3ELNS1_3repE0EEENS1_30default_config_static_selectorELNS0_4arch9wavefront6targetE0EEEvS10_.num_named_barrier, 0
	.set _ZN7rocprim17ROCPRIM_400000_NS6detail17trampoline_kernelINS0_14default_configENS1_21merge_config_selectorINS0_5tupleIJyyEEENS0_10empty_typeEEEZNS1_10merge_implIS3_NS0_12zip_iteratorINS5_IJN6thrust23THRUST_200600_302600_NS6detail15normal_iteratorINSC_10device_ptrIKyEEEESI_EEEEESK_NSA_INS5_IJNSE_INSF_IyEEEESM_EEEEEPS7_SP_SP_NSC_11hip_rocprim7__merge17predicate_wrapperIyyNSC_4lessIyEEEEEE10hipError_tPvRmT0_T1_T2_T3_T4_T5_mmT6_P12ihipStream_tbEUlT_E_NS1_11comp_targetILNS1_3genE9ELNS1_11target_archE1100ELNS1_3gpuE3ELNS1_3repE0EEENS1_30default_config_static_selectorELNS0_4arch9wavefront6targetE0EEEvS10_.private_seg_size, 0
	.set _ZN7rocprim17ROCPRIM_400000_NS6detail17trampoline_kernelINS0_14default_configENS1_21merge_config_selectorINS0_5tupleIJyyEEENS0_10empty_typeEEEZNS1_10merge_implIS3_NS0_12zip_iteratorINS5_IJN6thrust23THRUST_200600_302600_NS6detail15normal_iteratorINSC_10device_ptrIKyEEEESI_EEEEESK_NSA_INS5_IJNSE_INSF_IyEEEESM_EEEEEPS7_SP_SP_NSC_11hip_rocprim7__merge17predicate_wrapperIyyNSC_4lessIyEEEEEE10hipError_tPvRmT0_T1_T2_T3_T4_T5_mmT6_P12ihipStream_tbEUlT_E_NS1_11comp_targetILNS1_3genE9ELNS1_11target_archE1100ELNS1_3gpuE3ELNS1_3repE0EEENS1_30default_config_static_selectorELNS0_4arch9wavefront6targetE0EEEvS10_.uses_vcc, 0
	.set _ZN7rocprim17ROCPRIM_400000_NS6detail17trampoline_kernelINS0_14default_configENS1_21merge_config_selectorINS0_5tupleIJyyEEENS0_10empty_typeEEEZNS1_10merge_implIS3_NS0_12zip_iteratorINS5_IJN6thrust23THRUST_200600_302600_NS6detail15normal_iteratorINSC_10device_ptrIKyEEEESI_EEEEESK_NSA_INS5_IJNSE_INSF_IyEEEESM_EEEEEPS7_SP_SP_NSC_11hip_rocprim7__merge17predicate_wrapperIyyNSC_4lessIyEEEEEE10hipError_tPvRmT0_T1_T2_T3_T4_T5_mmT6_P12ihipStream_tbEUlT_E_NS1_11comp_targetILNS1_3genE9ELNS1_11target_archE1100ELNS1_3gpuE3ELNS1_3repE0EEENS1_30default_config_static_selectorELNS0_4arch9wavefront6targetE0EEEvS10_.uses_flat_scratch, 0
	.set _ZN7rocprim17ROCPRIM_400000_NS6detail17trampoline_kernelINS0_14default_configENS1_21merge_config_selectorINS0_5tupleIJyyEEENS0_10empty_typeEEEZNS1_10merge_implIS3_NS0_12zip_iteratorINS5_IJN6thrust23THRUST_200600_302600_NS6detail15normal_iteratorINSC_10device_ptrIKyEEEESI_EEEEESK_NSA_INS5_IJNSE_INSF_IyEEEESM_EEEEEPS7_SP_SP_NSC_11hip_rocprim7__merge17predicate_wrapperIyyNSC_4lessIyEEEEEE10hipError_tPvRmT0_T1_T2_T3_T4_T5_mmT6_P12ihipStream_tbEUlT_E_NS1_11comp_targetILNS1_3genE9ELNS1_11target_archE1100ELNS1_3gpuE3ELNS1_3repE0EEENS1_30default_config_static_selectorELNS0_4arch9wavefront6targetE0EEEvS10_.has_dyn_sized_stack, 0
	.set _ZN7rocprim17ROCPRIM_400000_NS6detail17trampoline_kernelINS0_14default_configENS1_21merge_config_selectorINS0_5tupleIJyyEEENS0_10empty_typeEEEZNS1_10merge_implIS3_NS0_12zip_iteratorINS5_IJN6thrust23THRUST_200600_302600_NS6detail15normal_iteratorINSC_10device_ptrIKyEEEESI_EEEEESK_NSA_INS5_IJNSE_INSF_IyEEEESM_EEEEEPS7_SP_SP_NSC_11hip_rocprim7__merge17predicate_wrapperIyyNSC_4lessIyEEEEEE10hipError_tPvRmT0_T1_T2_T3_T4_T5_mmT6_P12ihipStream_tbEUlT_E_NS1_11comp_targetILNS1_3genE9ELNS1_11target_archE1100ELNS1_3gpuE3ELNS1_3repE0EEENS1_30default_config_static_selectorELNS0_4arch9wavefront6targetE0EEEvS10_.has_recursion, 0
	.set _ZN7rocprim17ROCPRIM_400000_NS6detail17trampoline_kernelINS0_14default_configENS1_21merge_config_selectorINS0_5tupleIJyyEEENS0_10empty_typeEEEZNS1_10merge_implIS3_NS0_12zip_iteratorINS5_IJN6thrust23THRUST_200600_302600_NS6detail15normal_iteratorINSC_10device_ptrIKyEEEESI_EEEEESK_NSA_INS5_IJNSE_INSF_IyEEEESM_EEEEEPS7_SP_SP_NSC_11hip_rocprim7__merge17predicate_wrapperIyyNSC_4lessIyEEEEEE10hipError_tPvRmT0_T1_T2_T3_T4_T5_mmT6_P12ihipStream_tbEUlT_E_NS1_11comp_targetILNS1_3genE9ELNS1_11target_archE1100ELNS1_3gpuE3ELNS1_3repE0EEENS1_30default_config_static_selectorELNS0_4arch9wavefront6targetE0EEEvS10_.has_indirect_call, 0
	.section	.AMDGPU.csdata,"",@progbits
; Kernel info:
; codeLenInByte = 0
; TotalNumSgprs: 0
; NumVgprs: 0
; ScratchSize: 0
; MemoryBound: 0
; FloatMode: 240
; IeeeMode: 1
; LDSByteSize: 0 bytes/workgroup (compile time only)
; SGPRBlocks: 0
; VGPRBlocks: 0
; NumSGPRsForWavesPerEU: 1
; NumVGPRsForWavesPerEU: 1
; NamedBarCnt: 0
; Occupancy: 16
; WaveLimiterHint : 0
; COMPUTE_PGM_RSRC2:SCRATCH_EN: 0
; COMPUTE_PGM_RSRC2:USER_SGPR: 2
; COMPUTE_PGM_RSRC2:TRAP_HANDLER: 0
; COMPUTE_PGM_RSRC2:TGID_X_EN: 1
; COMPUTE_PGM_RSRC2:TGID_Y_EN: 0
; COMPUTE_PGM_RSRC2:TGID_Z_EN: 0
; COMPUTE_PGM_RSRC2:TIDIG_COMP_CNT: 0
	.section	.text._ZN7rocprim17ROCPRIM_400000_NS6detail17trampoline_kernelINS0_14default_configENS1_21merge_config_selectorINS0_5tupleIJyyEEENS0_10empty_typeEEEZNS1_10merge_implIS3_NS0_12zip_iteratorINS5_IJN6thrust23THRUST_200600_302600_NS6detail15normal_iteratorINSC_10device_ptrIKyEEEESI_EEEEESK_NSA_INS5_IJNSE_INSF_IyEEEESM_EEEEEPS7_SP_SP_NSC_11hip_rocprim7__merge17predicate_wrapperIyyNSC_4lessIyEEEEEE10hipError_tPvRmT0_T1_T2_T3_T4_T5_mmT6_P12ihipStream_tbEUlT_E_NS1_11comp_targetILNS1_3genE8ELNS1_11target_archE1030ELNS1_3gpuE2ELNS1_3repE0EEENS1_30default_config_static_selectorELNS0_4arch9wavefront6targetE0EEEvS10_,"axG",@progbits,_ZN7rocprim17ROCPRIM_400000_NS6detail17trampoline_kernelINS0_14default_configENS1_21merge_config_selectorINS0_5tupleIJyyEEENS0_10empty_typeEEEZNS1_10merge_implIS3_NS0_12zip_iteratorINS5_IJN6thrust23THRUST_200600_302600_NS6detail15normal_iteratorINSC_10device_ptrIKyEEEESI_EEEEESK_NSA_INS5_IJNSE_INSF_IyEEEESM_EEEEEPS7_SP_SP_NSC_11hip_rocprim7__merge17predicate_wrapperIyyNSC_4lessIyEEEEEE10hipError_tPvRmT0_T1_T2_T3_T4_T5_mmT6_P12ihipStream_tbEUlT_E_NS1_11comp_targetILNS1_3genE8ELNS1_11target_archE1030ELNS1_3gpuE2ELNS1_3repE0EEENS1_30default_config_static_selectorELNS0_4arch9wavefront6targetE0EEEvS10_,comdat
	.protected	_ZN7rocprim17ROCPRIM_400000_NS6detail17trampoline_kernelINS0_14default_configENS1_21merge_config_selectorINS0_5tupleIJyyEEENS0_10empty_typeEEEZNS1_10merge_implIS3_NS0_12zip_iteratorINS5_IJN6thrust23THRUST_200600_302600_NS6detail15normal_iteratorINSC_10device_ptrIKyEEEESI_EEEEESK_NSA_INS5_IJNSE_INSF_IyEEEESM_EEEEEPS7_SP_SP_NSC_11hip_rocprim7__merge17predicate_wrapperIyyNSC_4lessIyEEEEEE10hipError_tPvRmT0_T1_T2_T3_T4_T5_mmT6_P12ihipStream_tbEUlT_E_NS1_11comp_targetILNS1_3genE8ELNS1_11target_archE1030ELNS1_3gpuE2ELNS1_3repE0EEENS1_30default_config_static_selectorELNS0_4arch9wavefront6targetE0EEEvS10_ ; -- Begin function _ZN7rocprim17ROCPRIM_400000_NS6detail17trampoline_kernelINS0_14default_configENS1_21merge_config_selectorINS0_5tupleIJyyEEENS0_10empty_typeEEEZNS1_10merge_implIS3_NS0_12zip_iteratorINS5_IJN6thrust23THRUST_200600_302600_NS6detail15normal_iteratorINSC_10device_ptrIKyEEEESI_EEEEESK_NSA_INS5_IJNSE_INSF_IyEEEESM_EEEEEPS7_SP_SP_NSC_11hip_rocprim7__merge17predicate_wrapperIyyNSC_4lessIyEEEEEE10hipError_tPvRmT0_T1_T2_T3_T4_T5_mmT6_P12ihipStream_tbEUlT_E_NS1_11comp_targetILNS1_3genE8ELNS1_11target_archE1030ELNS1_3gpuE2ELNS1_3repE0EEENS1_30default_config_static_selectorELNS0_4arch9wavefront6targetE0EEEvS10_
	.globl	_ZN7rocprim17ROCPRIM_400000_NS6detail17trampoline_kernelINS0_14default_configENS1_21merge_config_selectorINS0_5tupleIJyyEEENS0_10empty_typeEEEZNS1_10merge_implIS3_NS0_12zip_iteratorINS5_IJN6thrust23THRUST_200600_302600_NS6detail15normal_iteratorINSC_10device_ptrIKyEEEESI_EEEEESK_NSA_INS5_IJNSE_INSF_IyEEEESM_EEEEEPS7_SP_SP_NSC_11hip_rocprim7__merge17predicate_wrapperIyyNSC_4lessIyEEEEEE10hipError_tPvRmT0_T1_T2_T3_T4_T5_mmT6_P12ihipStream_tbEUlT_E_NS1_11comp_targetILNS1_3genE8ELNS1_11target_archE1030ELNS1_3gpuE2ELNS1_3repE0EEENS1_30default_config_static_selectorELNS0_4arch9wavefront6targetE0EEEvS10_
	.p2align	8
	.type	_ZN7rocprim17ROCPRIM_400000_NS6detail17trampoline_kernelINS0_14default_configENS1_21merge_config_selectorINS0_5tupleIJyyEEENS0_10empty_typeEEEZNS1_10merge_implIS3_NS0_12zip_iteratorINS5_IJN6thrust23THRUST_200600_302600_NS6detail15normal_iteratorINSC_10device_ptrIKyEEEESI_EEEEESK_NSA_INS5_IJNSE_INSF_IyEEEESM_EEEEEPS7_SP_SP_NSC_11hip_rocprim7__merge17predicate_wrapperIyyNSC_4lessIyEEEEEE10hipError_tPvRmT0_T1_T2_T3_T4_T5_mmT6_P12ihipStream_tbEUlT_E_NS1_11comp_targetILNS1_3genE8ELNS1_11target_archE1030ELNS1_3gpuE2ELNS1_3repE0EEENS1_30default_config_static_selectorELNS0_4arch9wavefront6targetE0EEEvS10_,@function
_ZN7rocprim17ROCPRIM_400000_NS6detail17trampoline_kernelINS0_14default_configENS1_21merge_config_selectorINS0_5tupleIJyyEEENS0_10empty_typeEEEZNS1_10merge_implIS3_NS0_12zip_iteratorINS5_IJN6thrust23THRUST_200600_302600_NS6detail15normal_iteratorINSC_10device_ptrIKyEEEESI_EEEEESK_NSA_INS5_IJNSE_INSF_IyEEEESM_EEEEEPS7_SP_SP_NSC_11hip_rocprim7__merge17predicate_wrapperIyyNSC_4lessIyEEEEEE10hipError_tPvRmT0_T1_T2_T3_T4_T5_mmT6_P12ihipStream_tbEUlT_E_NS1_11comp_targetILNS1_3genE8ELNS1_11target_archE1030ELNS1_3gpuE2ELNS1_3repE0EEENS1_30default_config_static_selectorELNS0_4arch9wavefront6targetE0EEEvS10_: ; @_ZN7rocprim17ROCPRIM_400000_NS6detail17trampoline_kernelINS0_14default_configENS1_21merge_config_selectorINS0_5tupleIJyyEEENS0_10empty_typeEEEZNS1_10merge_implIS3_NS0_12zip_iteratorINS5_IJN6thrust23THRUST_200600_302600_NS6detail15normal_iteratorINSC_10device_ptrIKyEEEESI_EEEEESK_NSA_INS5_IJNSE_INSF_IyEEEESM_EEEEEPS7_SP_SP_NSC_11hip_rocprim7__merge17predicate_wrapperIyyNSC_4lessIyEEEEEE10hipError_tPvRmT0_T1_T2_T3_T4_T5_mmT6_P12ihipStream_tbEUlT_E_NS1_11comp_targetILNS1_3genE8ELNS1_11target_archE1030ELNS1_3gpuE2ELNS1_3repE0EEENS1_30default_config_static_selectorELNS0_4arch9wavefront6targetE0EEEvS10_
; %bb.0:
	.section	.rodata,"a",@progbits
	.p2align	6, 0x0
	.amdhsa_kernel _ZN7rocprim17ROCPRIM_400000_NS6detail17trampoline_kernelINS0_14default_configENS1_21merge_config_selectorINS0_5tupleIJyyEEENS0_10empty_typeEEEZNS1_10merge_implIS3_NS0_12zip_iteratorINS5_IJN6thrust23THRUST_200600_302600_NS6detail15normal_iteratorINSC_10device_ptrIKyEEEESI_EEEEESK_NSA_INS5_IJNSE_INSF_IyEEEESM_EEEEEPS7_SP_SP_NSC_11hip_rocprim7__merge17predicate_wrapperIyyNSC_4lessIyEEEEEE10hipError_tPvRmT0_T1_T2_T3_T4_T5_mmT6_P12ihipStream_tbEUlT_E_NS1_11comp_targetILNS1_3genE8ELNS1_11target_archE1030ELNS1_3gpuE2ELNS1_3repE0EEENS1_30default_config_static_selectorELNS0_4arch9wavefront6targetE0EEEvS10_
		.amdhsa_group_segment_fixed_size 0
		.amdhsa_private_segment_fixed_size 0
		.amdhsa_kernarg_size 64
		.amdhsa_user_sgpr_count 2
		.amdhsa_user_sgpr_dispatch_ptr 0
		.amdhsa_user_sgpr_queue_ptr 0
		.amdhsa_user_sgpr_kernarg_segment_ptr 1
		.amdhsa_user_sgpr_dispatch_id 0
		.amdhsa_user_sgpr_kernarg_preload_length 0
		.amdhsa_user_sgpr_kernarg_preload_offset 0
		.amdhsa_user_sgpr_private_segment_size 0
		.amdhsa_wavefront_size32 1
		.amdhsa_uses_dynamic_stack 0
		.amdhsa_enable_private_segment 0
		.amdhsa_system_sgpr_workgroup_id_x 1
		.amdhsa_system_sgpr_workgroup_id_y 0
		.amdhsa_system_sgpr_workgroup_id_z 0
		.amdhsa_system_sgpr_workgroup_info 0
		.amdhsa_system_vgpr_workitem_id 0
		.amdhsa_next_free_vgpr 1
		.amdhsa_next_free_sgpr 1
		.amdhsa_named_barrier_count 0
		.amdhsa_reserve_vcc 0
		.amdhsa_float_round_mode_32 0
		.amdhsa_float_round_mode_16_64 0
		.amdhsa_float_denorm_mode_32 3
		.amdhsa_float_denorm_mode_16_64 3
		.amdhsa_fp16_overflow 0
		.amdhsa_memory_ordered 1
		.amdhsa_forward_progress 1
		.amdhsa_inst_pref_size 0
		.amdhsa_round_robin_scheduling 0
		.amdhsa_exception_fp_ieee_invalid_op 0
		.amdhsa_exception_fp_denorm_src 0
		.amdhsa_exception_fp_ieee_div_zero 0
		.amdhsa_exception_fp_ieee_overflow 0
		.amdhsa_exception_fp_ieee_underflow 0
		.amdhsa_exception_fp_ieee_inexact 0
		.amdhsa_exception_int_div_zero 0
	.end_amdhsa_kernel
	.section	.text._ZN7rocprim17ROCPRIM_400000_NS6detail17trampoline_kernelINS0_14default_configENS1_21merge_config_selectorINS0_5tupleIJyyEEENS0_10empty_typeEEEZNS1_10merge_implIS3_NS0_12zip_iteratorINS5_IJN6thrust23THRUST_200600_302600_NS6detail15normal_iteratorINSC_10device_ptrIKyEEEESI_EEEEESK_NSA_INS5_IJNSE_INSF_IyEEEESM_EEEEEPS7_SP_SP_NSC_11hip_rocprim7__merge17predicate_wrapperIyyNSC_4lessIyEEEEEE10hipError_tPvRmT0_T1_T2_T3_T4_T5_mmT6_P12ihipStream_tbEUlT_E_NS1_11comp_targetILNS1_3genE8ELNS1_11target_archE1030ELNS1_3gpuE2ELNS1_3repE0EEENS1_30default_config_static_selectorELNS0_4arch9wavefront6targetE0EEEvS10_,"axG",@progbits,_ZN7rocprim17ROCPRIM_400000_NS6detail17trampoline_kernelINS0_14default_configENS1_21merge_config_selectorINS0_5tupleIJyyEEENS0_10empty_typeEEEZNS1_10merge_implIS3_NS0_12zip_iteratorINS5_IJN6thrust23THRUST_200600_302600_NS6detail15normal_iteratorINSC_10device_ptrIKyEEEESI_EEEEESK_NSA_INS5_IJNSE_INSF_IyEEEESM_EEEEEPS7_SP_SP_NSC_11hip_rocprim7__merge17predicate_wrapperIyyNSC_4lessIyEEEEEE10hipError_tPvRmT0_T1_T2_T3_T4_T5_mmT6_P12ihipStream_tbEUlT_E_NS1_11comp_targetILNS1_3genE8ELNS1_11target_archE1030ELNS1_3gpuE2ELNS1_3repE0EEENS1_30default_config_static_selectorELNS0_4arch9wavefront6targetE0EEEvS10_,comdat
.Lfunc_end104:
	.size	_ZN7rocprim17ROCPRIM_400000_NS6detail17trampoline_kernelINS0_14default_configENS1_21merge_config_selectorINS0_5tupleIJyyEEENS0_10empty_typeEEEZNS1_10merge_implIS3_NS0_12zip_iteratorINS5_IJN6thrust23THRUST_200600_302600_NS6detail15normal_iteratorINSC_10device_ptrIKyEEEESI_EEEEESK_NSA_INS5_IJNSE_INSF_IyEEEESM_EEEEEPS7_SP_SP_NSC_11hip_rocprim7__merge17predicate_wrapperIyyNSC_4lessIyEEEEEE10hipError_tPvRmT0_T1_T2_T3_T4_T5_mmT6_P12ihipStream_tbEUlT_E_NS1_11comp_targetILNS1_3genE8ELNS1_11target_archE1030ELNS1_3gpuE2ELNS1_3repE0EEENS1_30default_config_static_selectorELNS0_4arch9wavefront6targetE0EEEvS10_, .Lfunc_end104-_ZN7rocprim17ROCPRIM_400000_NS6detail17trampoline_kernelINS0_14default_configENS1_21merge_config_selectorINS0_5tupleIJyyEEENS0_10empty_typeEEEZNS1_10merge_implIS3_NS0_12zip_iteratorINS5_IJN6thrust23THRUST_200600_302600_NS6detail15normal_iteratorINSC_10device_ptrIKyEEEESI_EEEEESK_NSA_INS5_IJNSE_INSF_IyEEEESM_EEEEEPS7_SP_SP_NSC_11hip_rocprim7__merge17predicate_wrapperIyyNSC_4lessIyEEEEEE10hipError_tPvRmT0_T1_T2_T3_T4_T5_mmT6_P12ihipStream_tbEUlT_E_NS1_11comp_targetILNS1_3genE8ELNS1_11target_archE1030ELNS1_3gpuE2ELNS1_3repE0EEENS1_30default_config_static_selectorELNS0_4arch9wavefront6targetE0EEEvS10_
                                        ; -- End function
	.set _ZN7rocprim17ROCPRIM_400000_NS6detail17trampoline_kernelINS0_14default_configENS1_21merge_config_selectorINS0_5tupleIJyyEEENS0_10empty_typeEEEZNS1_10merge_implIS3_NS0_12zip_iteratorINS5_IJN6thrust23THRUST_200600_302600_NS6detail15normal_iteratorINSC_10device_ptrIKyEEEESI_EEEEESK_NSA_INS5_IJNSE_INSF_IyEEEESM_EEEEEPS7_SP_SP_NSC_11hip_rocprim7__merge17predicate_wrapperIyyNSC_4lessIyEEEEEE10hipError_tPvRmT0_T1_T2_T3_T4_T5_mmT6_P12ihipStream_tbEUlT_E_NS1_11comp_targetILNS1_3genE8ELNS1_11target_archE1030ELNS1_3gpuE2ELNS1_3repE0EEENS1_30default_config_static_selectorELNS0_4arch9wavefront6targetE0EEEvS10_.num_vgpr, 0
	.set _ZN7rocprim17ROCPRIM_400000_NS6detail17trampoline_kernelINS0_14default_configENS1_21merge_config_selectorINS0_5tupleIJyyEEENS0_10empty_typeEEEZNS1_10merge_implIS3_NS0_12zip_iteratorINS5_IJN6thrust23THRUST_200600_302600_NS6detail15normal_iteratorINSC_10device_ptrIKyEEEESI_EEEEESK_NSA_INS5_IJNSE_INSF_IyEEEESM_EEEEEPS7_SP_SP_NSC_11hip_rocprim7__merge17predicate_wrapperIyyNSC_4lessIyEEEEEE10hipError_tPvRmT0_T1_T2_T3_T4_T5_mmT6_P12ihipStream_tbEUlT_E_NS1_11comp_targetILNS1_3genE8ELNS1_11target_archE1030ELNS1_3gpuE2ELNS1_3repE0EEENS1_30default_config_static_selectorELNS0_4arch9wavefront6targetE0EEEvS10_.num_agpr, 0
	.set _ZN7rocprim17ROCPRIM_400000_NS6detail17trampoline_kernelINS0_14default_configENS1_21merge_config_selectorINS0_5tupleIJyyEEENS0_10empty_typeEEEZNS1_10merge_implIS3_NS0_12zip_iteratorINS5_IJN6thrust23THRUST_200600_302600_NS6detail15normal_iteratorINSC_10device_ptrIKyEEEESI_EEEEESK_NSA_INS5_IJNSE_INSF_IyEEEESM_EEEEEPS7_SP_SP_NSC_11hip_rocprim7__merge17predicate_wrapperIyyNSC_4lessIyEEEEEE10hipError_tPvRmT0_T1_T2_T3_T4_T5_mmT6_P12ihipStream_tbEUlT_E_NS1_11comp_targetILNS1_3genE8ELNS1_11target_archE1030ELNS1_3gpuE2ELNS1_3repE0EEENS1_30default_config_static_selectorELNS0_4arch9wavefront6targetE0EEEvS10_.numbered_sgpr, 0
	.set _ZN7rocprim17ROCPRIM_400000_NS6detail17trampoline_kernelINS0_14default_configENS1_21merge_config_selectorINS0_5tupleIJyyEEENS0_10empty_typeEEEZNS1_10merge_implIS3_NS0_12zip_iteratorINS5_IJN6thrust23THRUST_200600_302600_NS6detail15normal_iteratorINSC_10device_ptrIKyEEEESI_EEEEESK_NSA_INS5_IJNSE_INSF_IyEEEESM_EEEEEPS7_SP_SP_NSC_11hip_rocprim7__merge17predicate_wrapperIyyNSC_4lessIyEEEEEE10hipError_tPvRmT0_T1_T2_T3_T4_T5_mmT6_P12ihipStream_tbEUlT_E_NS1_11comp_targetILNS1_3genE8ELNS1_11target_archE1030ELNS1_3gpuE2ELNS1_3repE0EEENS1_30default_config_static_selectorELNS0_4arch9wavefront6targetE0EEEvS10_.num_named_barrier, 0
	.set _ZN7rocprim17ROCPRIM_400000_NS6detail17trampoline_kernelINS0_14default_configENS1_21merge_config_selectorINS0_5tupleIJyyEEENS0_10empty_typeEEEZNS1_10merge_implIS3_NS0_12zip_iteratorINS5_IJN6thrust23THRUST_200600_302600_NS6detail15normal_iteratorINSC_10device_ptrIKyEEEESI_EEEEESK_NSA_INS5_IJNSE_INSF_IyEEEESM_EEEEEPS7_SP_SP_NSC_11hip_rocprim7__merge17predicate_wrapperIyyNSC_4lessIyEEEEEE10hipError_tPvRmT0_T1_T2_T3_T4_T5_mmT6_P12ihipStream_tbEUlT_E_NS1_11comp_targetILNS1_3genE8ELNS1_11target_archE1030ELNS1_3gpuE2ELNS1_3repE0EEENS1_30default_config_static_selectorELNS0_4arch9wavefront6targetE0EEEvS10_.private_seg_size, 0
	.set _ZN7rocprim17ROCPRIM_400000_NS6detail17trampoline_kernelINS0_14default_configENS1_21merge_config_selectorINS0_5tupleIJyyEEENS0_10empty_typeEEEZNS1_10merge_implIS3_NS0_12zip_iteratorINS5_IJN6thrust23THRUST_200600_302600_NS6detail15normal_iteratorINSC_10device_ptrIKyEEEESI_EEEEESK_NSA_INS5_IJNSE_INSF_IyEEEESM_EEEEEPS7_SP_SP_NSC_11hip_rocprim7__merge17predicate_wrapperIyyNSC_4lessIyEEEEEE10hipError_tPvRmT0_T1_T2_T3_T4_T5_mmT6_P12ihipStream_tbEUlT_E_NS1_11comp_targetILNS1_3genE8ELNS1_11target_archE1030ELNS1_3gpuE2ELNS1_3repE0EEENS1_30default_config_static_selectorELNS0_4arch9wavefront6targetE0EEEvS10_.uses_vcc, 0
	.set _ZN7rocprim17ROCPRIM_400000_NS6detail17trampoline_kernelINS0_14default_configENS1_21merge_config_selectorINS0_5tupleIJyyEEENS0_10empty_typeEEEZNS1_10merge_implIS3_NS0_12zip_iteratorINS5_IJN6thrust23THRUST_200600_302600_NS6detail15normal_iteratorINSC_10device_ptrIKyEEEESI_EEEEESK_NSA_INS5_IJNSE_INSF_IyEEEESM_EEEEEPS7_SP_SP_NSC_11hip_rocprim7__merge17predicate_wrapperIyyNSC_4lessIyEEEEEE10hipError_tPvRmT0_T1_T2_T3_T4_T5_mmT6_P12ihipStream_tbEUlT_E_NS1_11comp_targetILNS1_3genE8ELNS1_11target_archE1030ELNS1_3gpuE2ELNS1_3repE0EEENS1_30default_config_static_selectorELNS0_4arch9wavefront6targetE0EEEvS10_.uses_flat_scratch, 0
	.set _ZN7rocprim17ROCPRIM_400000_NS6detail17trampoline_kernelINS0_14default_configENS1_21merge_config_selectorINS0_5tupleIJyyEEENS0_10empty_typeEEEZNS1_10merge_implIS3_NS0_12zip_iteratorINS5_IJN6thrust23THRUST_200600_302600_NS6detail15normal_iteratorINSC_10device_ptrIKyEEEESI_EEEEESK_NSA_INS5_IJNSE_INSF_IyEEEESM_EEEEEPS7_SP_SP_NSC_11hip_rocprim7__merge17predicate_wrapperIyyNSC_4lessIyEEEEEE10hipError_tPvRmT0_T1_T2_T3_T4_T5_mmT6_P12ihipStream_tbEUlT_E_NS1_11comp_targetILNS1_3genE8ELNS1_11target_archE1030ELNS1_3gpuE2ELNS1_3repE0EEENS1_30default_config_static_selectorELNS0_4arch9wavefront6targetE0EEEvS10_.has_dyn_sized_stack, 0
	.set _ZN7rocprim17ROCPRIM_400000_NS6detail17trampoline_kernelINS0_14default_configENS1_21merge_config_selectorINS0_5tupleIJyyEEENS0_10empty_typeEEEZNS1_10merge_implIS3_NS0_12zip_iteratorINS5_IJN6thrust23THRUST_200600_302600_NS6detail15normal_iteratorINSC_10device_ptrIKyEEEESI_EEEEESK_NSA_INS5_IJNSE_INSF_IyEEEESM_EEEEEPS7_SP_SP_NSC_11hip_rocprim7__merge17predicate_wrapperIyyNSC_4lessIyEEEEEE10hipError_tPvRmT0_T1_T2_T3_T4_T5_mmT6_P12ihipStream_tbEUlT_E_NS1_11comp_targetILNS1_3genE8ELNS1_11target_archE1030ELNS1_3gpuE2ELNS1_3repE0EEENS1_30default_config_static_selectorELNS0_4arch9wavefront6targetE0EEEvS10_.has_recursion, 0
	.set _ZN7rocprim17ROCPRIM_400000_NS6detail17trampoline_kernelINS0_14default_configENS1_21merge_config_selectorINS0_5tupleIJyyEEENS0_10empty_typeEEEZNS1_10merge_implIS3_NS0_12zip_iteratorINS5_IJN6thrust23THRUST_200600_302600_NS6detail15normal_iteratorINSC_10device_ptrIKyEEEESI_EEEEESK_NSA_INS5_IJNSE_INSF_IyEEEESM_EEEEEPS7_SP_SP_NSC_11hip_rocprim7__merge17predicate_wrapperIyyNSC_4lessIyEEEEEE10hipError_tPvRmT0_T1_T2_T3_T4_T5_mmT6_P12ihipStream_tbEUlT_E_NS1_11comp_targetILNS1_3genE8ELNS1_11target_archE1030ELNS1_3gpuE2ELNS1_3repE0EEENS1_30default_config_static_selectorELNS0_4arch9wavefront6targetE0EEEvS10_.has_indirect_call, 0
	.section	.AMDGPU.csdata,"",@progbits
; Kernel info:
; codeLenInByte = 0
; TotalNumSgprs: 0
; NumVgprs: 0
; ScratchSize: 0
; MemoryBound: 0
; FloatMode: 240
; IeeeMode: 1
; LDSByteSize: 0 bytes/workgroup (compile time only)
; SGPRBlocks: 0
; VGPRBlocks: 0
; NumSGPRsForWavesPerEU: 1
; NumVGPRsForWavesPerEU: 1
; NamedBarCnt: 0
; Occupancy: 16
; WaveLimiterHint : 0
; COMPUTE_PGM_RSRC2:SCRATCH_EN: 0
; COMPUTE_PGM_RSRC2:USER_SGPR: 2
; COMPUTE_PGM_RSRC2:TRAP_HANDLER: 0
; COMPUTE_PGM_RSRC2:TGID_X_EN: 1
; COMPUTE_PGM_RSRC2:TGID_Y_EN: 0
; COMPUTE_PGM_RSRC2:TGID_Z_EN: 0
; COMPUTE_PGM_RSRC2:TIDIG_COMP_CNT: 0
	.section	.text._ZN7rocprim17ROCPRIM_400000_NS6detail17trampoline_kernelINS0_14default_configENS1_21merge_config_selectorINS0_5tupleIJyyEEENS0_10empty_typeEEEZNS1_10merge_implIS3_NS0_12zip_iteratorINS5_IJN6thrust23THRUST_200600_302600_NS6detail15normal_iteratorINSC_10device_ptrIKyEEEESI_EEEEESK_NSA_INS5_IJNSE_INSF_IyEEEESM_EEEEEPS7_SP_SP_NSC_11hip_rocprim7__merge17predicate_wrapperIyyNSC_4lessIyEEEEEE10hipError_tPvRmT0_T1_T2_T3_T4_T5_mmT6_P12ihipStream_tbEUlT_E0_NS1_11comp_targetILNS1_3genE0ELNS1_11target_archE4294967295ELNS1_3gpuE0ELNS1_3repE0EEENS1_30default_config_static_selectorELNS0_4arch9wavefront6targetE0EEEvS10_,"axG",@progbits,_ZN7rocprim17ROCPRIM_400000_NS6detail17trampoline_kernelINS0_14default_configENS1_21merge_config_selectorINS0_5tupleIJyyEEENS0_10empty_typeEEEZNS1_10merge_implIS3_NS0_12zip_iteratorINS5_IJN6thrust23THRUST_200600_302600_NS6detail15normal_iteratorINSC_10device_ptrIKyEEEESI_EEEEESK_NSA_INS5_IJNSE_INSF_IyEEEESM_EEEEEPS7_SP_SP_NSC_11hip_rocprim7__merge17predicate_wrapperIyyNSC_4lessIyEEEEEE10hipError_tPvRmT0_T1_T2_T3_T4_T5_mmT6_P12ihipStream_tbEUlT_E0_NS1_11comp_targetILNS1_3genE0ELNS1_11target_archE4294967295ELNS1_3gpuE0ELNS1_3repE0EEENS1_30default_config_static_selectorELNS0_4arch9wavefront6targetE0EEEvS10_,comdat
	.protected	_ZN7rocprim17ROCPRIM_400000_NS6detail17trampoline_kernelINS0_14default_configENS1_21merge_config_selectorINS0_5tupleIJyyEEENS0_10empty_typeEEEZNS1_10merge_implIS3_NS0_12zip_iteratorINS5_IJN6thrust23THRUST_200600_302600_NS6detail15normal_iteratorINSC_10device_ptrIKyEEEESI_EEEEESK_NSA_INS5_IJNSE_INSF_IyEEEESM_EEEEEPS7_SP_SP_NSC_11hip_rocprim7__merge17predicate_wrapperIyyNSC_4lessIyEEEEEE10hipError_tPvRmT0_T1_T2_T3_T4_T5_mmT6_P12ihipStream_tbEUlT_E0_NS1_11comp_targetILNS1_3genE0ELNS1_11target_archE4294967295ELNS1_3gpuE0ELNS1_3repE0EEENS1_30default_config_static_selectorELNS0_4arch9wavefront6targetE0EEEvS10_ ; -- Begin function _ZN7rocprim17ROCPRIM_400000_NS6detail17trampoline_kernelINS0_14default_configENS1_21merge_config_selectorINS0_5tupleIJyyEEENS0_10empty_typeEEEZNS1_10merge_implIS3_NS0_12zip_iteratorINS5_IJN6thrust23THRUST_200600_302600_NS6detail15normal_iteratorINSC_10device_ptrIKyEEEESI_EEEEESK_NSA_INS5_IJNSE_INSF_IyEEEESM_EEEEEPS7_SP_SP_NSC_11hip_rocprim7__merge17predicate_wrapperIyyNSC_4lessIyEEEEEE10hipError_tPvRmT0_T1_T2_T3_T4_T5_mmT6_P12ihipStream_tbEUlT_E0_NS1_11comp_targetILNS1_3genE0ELNS1_11target_archE4294967295ELNS1_3gpuE0ELNS1_3repE0EEENS1_30default_config_static_selectorELNS0_4arch9wavefront6targetE0EEEvS10_
	.globl	_ZN7rocprim17ROCPRIM_400000_NS6detail17trampoline_kernelINS0_14default_configENS1_21merge_config_selectorINS0_5tupleIJyyEEENS0_10empty_typeEEEZNS1_10merge_implIS3_NS0_12zip_iteratorINS5_IJN6thrust23THRUST_200600_302600_NS6detail15normal_iteratorINSC_10device_ptrIKyEEEESI_EEEEESK_NSA_INS5_IJNSE_INSF_IyEEEESM_EEEEEPS7_SP_SP_NSC_11hip_rocprim7__merge17predicate_wrapperIyyNSC_4lessIyEEEEEE10hipError_tPvRmT0_T1_T2_T3_T4_T5_mmT6_P12ihipStream_tbEUlT_E0_NS1_11comp_targetILNS1_3genE0ELNS1_11target_archE4294967295ELNS1_3gpuE0ELNS1_3repE0EEENS1_30default_config_static_selectorELNS0_4arch9wavefront6targetE0EEEvS10_
	.p2align	8
	.type	_ZN7rocprim17ROCPRIM_400000_NS6detail17trampoline_kernelINS0_14default_configENS1_21merge_config_selectorINS0_5tupleIJyyEEENS0_10empty_typeEEEZNS1_10merge_implIS3_NS0_12zip_iteratorINS5_IJN6thrust23THRUST_200600_302600_NS6detail15normal_iteratorINSC_10device_ptrIKyEEEESI_EEEEESK_NSA_INS5_IJNSE_INSF_IyEEEESM_EEEEEPS7_SP_SP_NSC_11hip_rocprim7__merge17predicate_wrapperIyyNSC_4lessIyEEEEEE10hipError_tPvRmT0_T1_T2_T3_T4_T5_mmT6_P12ihipStream_tbEUlT_E0_NS1_11comp_targetILNS1_3genE0ELNS1_11target_archE4294967295ELNS1_3gpuE0ELNS1_3repE0EEENS1_30default_config_static_selectorELNS0_4arch9wavefront6targetE0EEEvS10_,@function
_ZN7rocprim17ROCPRIM_400000_NS6detail17trampoline_kernelINS0_14default_configENS1_21merge_config_selectorINS0_5tupleIJyyEEENS0_10empty_typeEEEZNS1_10merge_implIS3_NS0_12zip_iteratorINS5_IJN6thrust23THRUST_200600_302600_NS6detail15normal_iteratorINSC_10device_ptrIKyEEEESI_EEEEESK_NSA_INS5_IJNSE_INSF_IyEEEESM_EEEEEPS7_SP_SP_NSC_11hip_rocprim7__merge17predicate_wrapperIyyNSC_4lessIyEEEEEE10hipError_tPvRmT0_T1_T2_T3_T4_T5_mmT6_P12ihipStream_tbEUlT_E0_NS1_11comp_targetILNS1_3genE0ELNS1_11target_archE4294967295ELNS1_3gpuE0ELNS1_3repE0EEENS1_30default_config_static_selectorELNS0_4arch9wavefront6targetE0EEEvS10_: ; @_ZN7rocprim17ROCPRIM_400000_NS6detail17trampoline_kernelINS0_14default_configENS1_21merge_config_selectorINS0_5tupleIJyyEEENS0_10empty_typeEEEZNS1_10merge_implIS3_NS0_12zip_iteratorINS5_IJN6thrust23THRUST_200600_302600_NS6detail15normal_iteratorINSC_10device_ptrIKyEEEESI_EEEEESK_NSA_INS5_IJNSE_INSF_IyEEEESM_EEEEEPS7_SP_SP_NSC_11hip_rocprim7__merge17predicate_wrapperIyyNSC_4lessIyEEEEEE10hipError_tPvRmT0_T1_T2_T3_T4_T5_mmT6_P12ihipStream_tbEUlT_E0_NS1_11comp_targetILNS1_3genE0ELNS1_11target_archE4294967295ELNS1_3gpuE0ELNS1_3repE0EEENS1_30default_config_static_selectorELNS0_4arch9wavefront6targetE0EEEvS10_
; %bb.0:
	s_clause 0x1
	s_load_b128 s[12:15], s[0:1], 0x58
	s_load_b256 s[4:11], s[0:1], 0x8
	s_bfe_u32 s2, ttmp6, 0x4000c
	s_and_b32 s3, ttmp6, 15
	s_add_co_i32 s2, s2, 1
	s_wait_kmcnt 0x0
	s_getreg_b32 s13, hwreg(HW_REG_IB_STS2, 6, 4)
	s_mul_i32 s2, ttmp9, s2
	v_mov_b32_e32 v1, 0
	s_add_co_i32 s3, s3, s2
	s_cmp_eq_u32 s13, 0
	s_cselect_b32 s16, ttmp9, s3
	s_delay_alu instid0(SALU_CYCLE_1) | instskip(SKIP_1) | instid1(SALU_CYCLE_1)
	s_add_co_i32 s3, s16, 1
	s_add_co_i32 s24, s14, s12
	;; [unrolled: 1-line block ×3, first 2 shown]
	s_delay_alu instid0(SALU_CYCLE_1) | instskip(NEXT) | instid1(SALU_CYCLE_1)
	s_lshr_b32 s2, s2, 10
	s_min_u32 s17, s16, s2
	s_min_u32 s3, s3, s2
	s_clause 0x1
	s_load_b32 s2, s[4:5], s17 offset:0x0 scale_offset
	s_load_b32 s20, s[4:5], s3 offset:0x0 scale_offset
	s_load_b128 s[12:15], s[0:1], 0x28
	s_wait_xcnt 0x0
	s_mov_b32 s3, 0
	s_lshl_b32 s4, s16, 10
	s_mov_b32 s17, s3
	s_add_co_i32 s5, s4, 0x400
	s_delay_alu instid0(SALU_CYCLE_1)
	s_min_u32 s5, s24, s5
	s_wait_kmcnt 0x0
	s_sub_co_i32 s16, s4, s2
	s_lshl_b64 s[22:23], s[2:3], 3
	s_sub_co_i32 s2, s20, s2
	s_lshl_b64 s[18:19], s[16:17], 3
	s_add_co_i32 s20, s16, s20
	s_add_nc_u64 s[16:17], s[10:11], s[18:19]
	s_sub_co_i32 s10, s5, s20
	s_mov_b32 s11, s3
	s_add_nc_u64 s[12:13], s[12:13], s[18:19]
	s_add_nc_u64 s[20:21], s[10:11], s[2:3]
	s_mov_b32 s5, exec_lo
	v_cmpx_le_u32_e64 s2, v0
	s_xor_b32 s5, exec_lo, s5
	s_cbranch_execz .LBB105_4
; %bb.1:
	s_mov_b32 s11, exec_lo
	v_cmpx_gt_u64_e64 s[20:21], v[0:1]
	s_cbranch_execz .LBB105_3
; %bb.2:
	v_subrev_nc_u32_e32 v6, s2, v0
	s_clause 0x1
	global_load_b64 v[2:3], v6, s[16:17] scale_offset
	global_load_b64 v[4:5], v6, s[12:13] scale_offset
	s_wait_xcnt 0x0
	v_lshlrev_b32_e32 v6, 4, v0
	s_wait_loadcnt 0x0
	ds_store_b128 v6, v[2:5]
.LBB105_3:
	s_or_b32 exec_lo, exec_lo, s11
.LBB105_4:
	s_or_saveexec_b32 s5, s5
	v_lshlrev_b32_e32 v14, 4, v0
	s_add_nc_u64 s[18:19], s[6:7], s[22:23]
	s_add_nc_u64 s[8:9], s[8:9], s[22:23]
	s_xor_b32 exec_lo, exec_lo, s5
	s_cbranch_execz .LBB105_6
; %bb.5:
	s_clause 0x1
	global_load_b64 v[2:3], v0, s[18:19] scale_offset
	global_load_b64 v[4:5], v0, s[8:9] scale_offset
	s_wait_loadcnt 0x0
	ds_store_b128 v14, v[2:5]
.LBB105_6:
	s_or_b32 exec_lo, exec_lo, s5
	v_or_b32_e32 v12, 0x200, v0
	v_mov_b32_e32 v13, 0
	s_mov_b32 s5, exec_lo
	s_delay_alu instid0(VALU_DEP_2)
	v_cmpx_le_u32_e64 s2, v12
	s_xor_b32 s5, exec_lo, s5
	s_cbranch_execz .LBB105_10
; %bb.7:
	s_mov_b32 s6, exec_lo
	v_cmpx_gt_u64_e64 s[20:21], v[12:13]
	s_cbranch_execz .LBB105_9
; %bb.8:
	v_sub_nc_u64_e64 v[2:3], v[0:1], s[2:3]
	s_delay_alu instid0(VALU_DEP_1) | instskip(NEXT) | instid1(VALU_DEP_1)
	v_lshlrev_b64_e32 v[2:3], 3, v[2:3]
	v_add_nc_u64_e32 v[6:7], s[16:17], v[2:3]
	v_add_nc_u64_e32 v[8:9], s[12:13], v[2:3]
	global_load_b64 v[2:3], v[6:7], off offset:4096
	global_load_b64 v[4:5], v[8:9], off offset:4096
	s_wait_loadcnt 0x0
	ds_store_b128 v14, v[2:5] offset:8192
.LBB105_9:
	s_or_b32 exec_lo, exec_lo, s6
.LBB105_10:
	s_or_saveexec_b32 s3, s5
	s_load_b64 s[6:7], s[0:1], 0x38
	s_xor_b32 exec_lo, exec_lo, s3
	s_cbranch_execz .LBB105_12
; %bb.11:
	s_clause 0x1
	global_load_b64 v[2:3], v0, s[18:19] offset:4096 scale_offset
	global_load_b64 v[4:5], v0, s[8:9] offset:4096 scale_offset
	s_wait_loadcnt 0x0
	ds_store_b128 v14, v[2:5] offset:8192
.LBB105_12:
	s_or_b32 exec_lo, exec_lo, s3
	v_lshlrev_b32_e32 v1, 1, v0
	s_wait_xcnt 0x0
	s_mov_b32 s0, exec_lo
	s_wait_dscnt 0x0
	s_barrier_signal -1
	s_barrier_wait -1
	v_sub_nc_u32_e64 v13, v1, s10 clamp
	v_min_u32_e32 v2, s2, v1
	s_delay_alu instid0(VALU_DEP_1)
	v_cmpx_lt_u32_e64 v13, v2
	s_cbranch_execz .LBB105_16
; %bb.13:
	v_lshlrev_b32_e32 v3, 4, v1
	s_mov_b32 s1, 0
	s_delay_alu instid0(VALU_DEP_1)
	v_lshl_add_u32 v3, s2, 4, v3
.LBB105_14:                             ; =>This Inner Loop Header: Depth=1
	v_add_nc_u32_e32 v4, v2, v13
	s_delay_alu instid0(VALU_DEP_1) | instskip(NEXT) | instid1(VALU_DEP_1)
	v_lshrrev_b32_e32 v8, 1, v4
	v_not_b32_e32 v4, v8
	v_lshlrev_b32_e32 v5, 4, v8
	s_delay_alu instid0(VALU_DEP_2)
	v_lshl_add_u32 v6, v4, 4, v3
	ds_load_b64 v[4:5], v5
	ds_load_b64 v[6:7], v6
	s_wait_dscnt 0x0
	v_cmp_lt_u64_e32 vcc_lo, v[6:7], v[4:5]
	v_add_nc_u32_e32 v4, 1, v8
	s_delay_alu instid0(VALU_DEP_1) | instskip(NEXT) | instid1(VALU_DEP_1)
	v_dual_cndmask_b32 v13, v4, v13 :: v_dual_cndmask_b32 v2, v2, v8
	v_cmp_ge_u32_e32 vcc_lo, v13, v2
	s_or_b32 s1, vcc_lo, s1
	s_delay_alu instid0(SALU_CYCLE_1)
	s_and_not1_b32 exec_lo, exec_lo, s1
	s_cbranch_execnz .LBB105_14
; %bb.15:
	s_or_b32 exec_lo, exec_lo, s1
.LBB105_16:
	s_delay_alu instid0(SALU_CYCLE_1)
	s_or_b32 exec_lo, exec_lo, s0
	v_add_nc_u32_e32 v2, s2, v1
	s_add_co_i32 s5, s10, s2
	v_cmp_ge_u32_e32 vcc_lo, s2, v13
	v_mov_b64_e32 v[4:5], 0
	v_mov_b64_e32 v[8:9], 0
	v_sub_nc_u32_e32 v15, v2, v13
	v_mov_b64_e32 v[6:7], 0
	v_mov_b64_e32 v[2:3], 0
	s_delay_alu instid0(VALU_DEP_3) | instskip(SKIP_1) | instid1(SALU_CYCLE_1)
	v_cmp_ge_u32_e64 s0, s5, v15
	s_or_b32 s0, vcc_lo, s0
	s_and_saveexec_b32 s3, s0
	s_cbranch_execz .LBB105_22
; %bb.17:
	v_mov_b64_e32 v[10:11], 0
	v_mov_b64_e32 v[6:7], 0
	;; [unrolled: 1-line block ×3, first 2 shown]
	v_cmp_gt_u32_e32 vcc_lo, s2, v13
	s_and_saveexec_b32 s0, vcc_lo
; %bb.18:
	v_lshlrev_b32_e32 v2, 4, v13
	ds_load_b128 v[4:7], v2
; %bb.19:
	s_or_b32 exec_lo, exec_lo, s0
	v_mov_b64_e32 v[8:9], 0
	v_cmp_le_u32_e64 s0, s5, v15
	s_mov_b32 s8, exec_lo
	v_cmpx_gt_u32_e64 s5, v15
; %bb.20:
	v_lshlrev_b32_e32 v2, 4, v15
	ds_load_b128 v[8:11], v2
; %bb.21:
	s_or_b32 exec_lo, exec_lo, s8
	s_wait_dscnt 0x0
	v_cmp_ge_u64_e64 s1, v[8:9], v[4:5]
	s_and_b32 s1, vcc_lo, s1
	s_delay_alu instid0(SALU_CYCLE_1) | instskip(SKIP_1) | instid1(VALU_DEP_1)
	s_or_b32 vcc_lo, s0, s1
	v_dual_mov_b32 v2, s2 :: v_dual_cndmask_b32 v3, v15, v13
	v_dual_cndmask_b32 v2, s5, v2, vcc_lo :: v_dual_add_nc_u32 v22, 1, v3
	v_cndmask_b32_e32 v3, v9, v5, vcc_lo
	s_delay_alu instid0(VALU_DEP_2) | instskip(NEXT) | instid1(VALU_DEP_1)
	v_add_min_u32_e64 v2, v2, -1, v22
	v_lshlrev_b32_e32 v2, 4, v2
	ds_load_b128 v[16:19], v2
	s_wait_dscnt 0x0
	v_dual_cndmask_b32 v2, v8, v4 :: v_dual_cndmask_b32 v21, v17, v9
	v_dual_cndmask_b32 v20, v16, v8 :: v_dual_cndmask_b32 v17, v5, v17
	v_dual_cndmask_b32 v16, v4, v16, vcc_lo :: v_dual_cndmask_b32 v8, v13, v22, vcc_lo
	v_cndmask_b32_e32 v9, v22, v15, vcc_lo
	v_dual_cndmask_b32 v5, v11, v7 :: v_dual_cndmask_b32 v4, v10, v6
	s_delay_alu instid0(VALU_DEP_3) | instskip(NEXT) | instid1(VALU_DEP_4)
	v_cmp_ge_u64_e64 s0, v[20:21], v[16:17]
	v_cmp_gt_u32_e64 s1, s2, v8
	s_delay_alu instid0(VALU_DEP_4) | instskip(SKIP_3) | instid1(SALU_CYCLE_1)
	v_cmp_le_u32_e64 s2, s5, v9
	v_dual_cndmask_b32 v8, v18, v10 :: v_dual_cndmask_b32 v9, v19, v11
	v_dual_cndmask_b32 v10, v7, v19 :: v_dual_cndmask_b32 v11, v6, v18
	s_and_b32 s0, s1, s0
	s_or_b32 vcc_lo, s2, s0
	v_dual_cndmask_b32 v7, v21, v17 :: v_dual_cndmask_b32 v6, v20, v16
	s_delay_alu instid0(VALU_DEP_2)
	v_dual_cndmask_b32 v9, v9, v10 :: v_dual_cndmask_b32 v8, v8, v11
.LBB105_22:
	s_or_b32 exec_lo, exec_lo, s3
	v_and_b32_e32 v10, 0x1f0, v0
	s_mov_b32 s5, 0
	s_sub_co_i32 s8, s24, s4
	s_lshl_b64 s[2:3], s[4:5], 3
	s_cmp_gt_u32 s8, 0x3ff
	v_lshl_add_u32 v10, v1, 4, v10
	v_lshrrev_b32_e32 v1, 1, v12
	s_add_nc_u64 s[0:1], s[14:15], s[2:3]
	s_wait_kmcnt 0x0
	s_add_nc_u64 s[2:3], s[6:7], s[2:3]
	s_barrier_signal -1
	s_barrier_wait -1
	ds_store_b128 v10, v[2:5]
	ds_store_b128 v10, v[6:9] offset:16
	s_wait_dscnt 0x0
	s_cbranch_scc0 .LBB105_24
; %bb.23:
	v_and_b32_e32 v3, 0x1f0, v1
	v_lshrrev_b32_e32 v2, 1, v0
	s_barrier_signal -1
	s_barrier_wait -1
	s_delay_alu instid0(VALU_DEP_2) | instskip(NEXT) | instid1(VALU_DEP_2)
	v_add_nc_u32_e32 v3, v3, v14
	v_and_b32_e32 v2, 0xf0, v2
	s_mov_b32 s5, -1
	s_delay_alu instid0(VALU_DEP_1)
	v_add_nc_u32_e32 v2, v2, v14
	ds_load_b128 v[6:9], v2
	ds_load_b128 v[2:5], v3 offset:8192
	s_wait_dscnt 0x1
	s_clause 0x1
	global_store_b64 v0, v[6:7], s[0:1] scale_offset
	global_store_b64 v0, v[8:9], s[2:3] scale_offset
	s_cbranch_execz .LBB105_25
	s_branch .LBB105_28
.LBB105_24:
                                        ; implicit-def: $vgpr4_vgpr5
.LBB105_25:
	v_and_b32_e32 v1, 0x1f0, v1
	s_barrier_signal -1
	s_barrier_wait -1
	s_wait_storecnt_dscnt 0x0
	s_mov_b32 s4, exec_lo
	v_lshl_add_u32 v1, v0, 4, v1
	ds_load_b128 v[2:5], v1 offset:8192
	s_wait_xcnt 0x0
	v_cmpx_gt_u32_e64 s8, v0
	s_cbranch_execz .LBB105_27
; %bb.26:
	v_lshrrev_b32_e32 v1, 1, v0
	s_delay_alu instid0(VALU_DEP_1) | instskip(NEXT) | instid1(VALU_DEP_1)
	v_and_b32_e32 v1, 0xf0, v1
	v_lshl_add_u32 v1, v0, 4, v1
	ds_load_b128 v[6:9], v1
	s_wait_dscnt 0x0
	s_clause 0x1
	global_store_b64 v0, v[6:7], s[0:1] scale_offset
	global_store_b64 v0, v[8:9], s[2:3] scale_offset
.LBB105_27:
	s_wait_xcnt 0x0
	s_or_b32 exec_lo, exec_lo, s4
	v_cmp_gt_u32_e64 s5, s8, v12
.LBB105_28:
	s_wait_xcnt 0x0
	s_delay_alu instid0(VALU_DEP_1)
	s_and_saveexec_b32 s4, s5
	s_cbranch_execnz .LBB105_30
; %bb.29:
	s_endpgm
.LBB105_30:
	s_wait_dscnt 0x0
	s_clause 0x1
	global_store_b64 v0, v[2:3], s[0:1] offset:4096 scale_offset
	global_store_b64 v0, v[4:5], s[2:3] offset:4096 scale_offset
	s_endpgm
	.section	.rodata,"a",@progbits
	.p2align	6, 0x0
	.amdhsa_kernel _ZN7rocprim17ROCPRIM_400000_NS6detail17trampoline_kernelINS0_14default_configENS1_21merge_config_selectorINS0_5tupleIJyyEEENS0_10empty_typeEEEZNS1_10merge_implIS3_NS0_12zip_iteratorINS5_IJN6thrust23THRUST_200600_302600_NS6detail15normal_iteratorINSC_10device_ptrIKyEEEESI_EEEEESK_NSA_INS5_IJNSE_INSF_IyEEEESM_EEEEEPS7_SP_SP_NSC_11hip_rocprim7__merge17predicate_wrapperIyyNSC_4lessIyEEEEEE10hipError_tPvRmT0_T1_T2_T3_T4_T5_mmT6_P12ihipStream_tbEUlT_E0_NS1_11comp_targetILNS1_3genE0ELNS1_11target_archE4294967295ELNS1_3gpuE0ELNS1_3repE0EEENS1_30default_config_static_selectorELNS0_4arch9wavefront6targetE0EEEvS10_
		.amdhsa_group_segment_fixed_size 16896
		.amdhsa_private_segment_fixed_size 0
		.amdhsa_kernarg_size 112
		.amdhsa_user_sgpr_count 2
		.amdhsa_user_sgpr_dispatch_ptr 0
		.amdhsa_user_sgpr_queue_ptr 0
		.amdhsa_user_sgpr_kernarg_segment_ptr 1
		.amdhsa_user_sgpr_dispatch_id 0
		.amdhsa_user_sgpr_kernarg_preload_length 0
		.amdhsa_user_sgpr_kernarg_preload_offset 0
		.amdhsa_user_sgpr_private_segment_size 0
		.amdhsa_wavefront_size32 1
		.amdhsa_uses_dynamic_stack 0
		.amdhsa_enable_private_segment 0
		.amdhsa_system_sgpr_workgroup_id_x 1
		.amdhsa_system_sgpr_workgroup_id_y 0
		.amdhsa_system_sgpr_workgroup_id_z 0
		.amdhsa_system_sgpr_workgroup_info 0
		.amdhsa_system_vgpr_workitem_id 0
		.amdhsa_next_free_vgpr 23
		.amdhsa_next_free_sgpr 25
		.amdhsa_named_barrier_count 0
		.amdhsa_reserve_vcc 1
		.amdhsa_float_round_mode_32 0
		.amdhsa_float_round_mode_16_64 0
		.amdhsa_float_denorm_mode_32 3
		.amdhsa_float_denorm_mode_16_64 3
		.amdhsa_fp16_overflow 0
		.amdhsa_memory_ordered 1
		.amdhsa_forward_progress 1
		.amdhsa_inst_pref_size 12
		.amdhsa_round_robin_scheduling 0
		.amdhsa_exception_fp_ieee_invalid_op 0
		.amdhsa_exception_fp_denorm_src 0
		.amdhsa_exception_fp_ieee_div_zero 0
		.amdhsa_exception_fp_ieee_overflow 0
		.amdhsa_exception_fp_ieee_underflow 0
		.amdhsa_exception_fp_ieee_inexact 0
		.amdhsa_exception_int_div_zero 0
	.end_amdhsa_kernel
	.section	.text._ZN7rocprim17ROCPRIM_400000_NS6detail17trampoline_kernelINS0_14default_configENS1_21merge_config_selectorINS0_5tupleIJyyEEENS0_10empty_typeEEEZNS1_10merge_implIS3_NS0_12zip_iteratorINS5_IJN6thrust23THRUST_200600_302600_NS6detail15normal_iteratorINSC_10device_ptrIKyEEEESI_EEEEESK_NSA_INS5_IJNSE_INSF_IyEEEESM_EEEEEPS7_SP_SP_NSC_11hip_rocprim7__merge17predicate_wrapperIyyNSC_4lessIyEEEEEE10hipError_tPvRmT0_T1_T2_T3_T4_T5_mmT6_P12ihipStream_tbEUlT_E0_NS1_11comp_targetILNS1_3genE0ELNS1_11target_archE4294967295ELNS1_3gpuE0ELNS1_3repE0EEENS1_30default_config_static_selectorELNS0_4arch9wavefront6targetE0EEEvS10_,"axG",@progbits,_ZN7rocprim17ROCPRIM_400000_NS6detail17trampoline_kernelINS0_14default_configENS1_21merge_config_selectorINS0_5tupleIJyyEEENS0_10empty_typeEEEZNS1_10merge_implIS3_NS0_12zip_iteratorINS5_IJN6thrust23THRUST_200600_302600_NS6detail15normal_iteratorINSC_10device_ptrIKyEEEESI_EEEEESK_NSA_INS5_IJNSE_INSF_IyEEEESM_EEEEEPS7_SP_SP_NSC_11hip_rocprim7__merge17predicate_wrapperIyyNSC_4lessIyEEEEEE10hipError_tPvRmT0_T1_T2_T3_T4_T5_mmT6_P12ihipStream_tbEUlT_E0_NS1_11comp_targetILNS1_3genE0ELNS1_11target_archE4294967295ELNS1_3gpuE0ELNS1_3repE0EEENS1_30default_config_static_selectorELNS0_4arch9wavefront6targetE0EEEvS10_,comdat
.Lfunc_end105:
	.size	_ZN7rocprim17ROCPRIM_400000_NS6detail17trampoline_kernelINS0_14default_configENS1_21merge_config_selectorINS0_5tupleIJyyEEENS0_10empty_typeEEEZNS1_10merge_implIS3_NS0_12zip_iteratorINS5_IJN6thrust23THRUST_200600_302600_NS6detail15normal_iteratorINSC_10device_ptrIKyEEEESI_EEEEESK_NSA_INS5_IJNSE_INSF_IyEEEESM_EEEEEPS7_SP_SP_NSC_11hip_rocprim7__merge17predicate_wrapperIyyNSC_4lessIyEEEEEE10hipError_tPvRmT0_T1_T2_T3_T4_T5_mmT6_P12ihipStream_tbEUlT_E0_NS1_11comp_targetILNS1_3genE0ELNS1_11target_archE4294967295ELNS1_3gpuE0ELNS1_3repE0EEENS1_30default_config_static_selectorELNS0_4arch9wavefront6targetE0EEEvS10_, .Lfunc_end105-_ZN7rocprim17ROCPRIM_400000_NS6detail17trampoline_kernelINS0_14default_configENS1_21merge_config_selectorINS0_5tupleIJyyEEENS0_10empty_typeEEEZNS1_10merge_implIS3_NS0_12zip_iteratorINS5_IJN6thrust23THRUST_200600_302600_NS6detail15normal_iteratorINSC_10device_ptrIKyEEEESI_EEEEESK_NSA_INS5_IJNSE_INSF_IyEEEESM_EEEEEPS7_SP_SP_NSC_11hip_rocprim7__merge17predicate_wrapperIyyNSC_4lessIyEEEEEE10hipError_tPvRmT0_T1_T2_T3_T4_T5_mmT6_P12ihipStream_tbEUlT_E0_NS1_11comp_targetILNS1_3genE0ELNS1_11target_archE4294967295ELNS1_3gpuE0ELNS1_3repE0EEENS1_30default_config_static_selectorELNS0_4arch9wavefront6targetE0EEEvS10_
                                        ; -- End function
	.set _ZN7rocprim17ROCPRIM_400000_NS6detail17trampoline_kernelINS0_14default_configENS1_21merge_config_selectorINS0_5tupleIJyyEEENS0_10empty_typeEEEZNS1_10merge_implIS3_NS0_12zip_iteratorINS5_IJN6thrust23THRUST_200600_302600_NS6detail15normal_iteratorINSC_10device_ptrIKyEEEESI_EEEEESK_NSA_INS5_IJNSE_INSF_IyEEEESM_EEEEEPS7_SP_SP_NSC_11hip_rocprim7__merge17predicate_wrapperIyyNSC_4lessIyEEEEEE10hipError_tPvRmT0_T1_T2_T3_T4_T5_mmT6_P12ihipStream_tbEUlT_E0_NS1_11comp_targetILNS1_3genE0ELNS1_11target_archE4294967295ELNS1_3gpuE0ELNS1_3repE0EEENS1_30default_config_static_selectorELNS0_4arch9wavefront6targetE0EEEvS10_.num_vgpr, 23
	.set _ZN7rocprim17ROCPRIM_400000_NS6detail17trampoline_kernelINS0_14default_configENS1_21merge_config_selectorINS0_5tupleIJyyEEENS0_10empty_typeEEEZNS1_10merge_implIS3_NS0_12zip_iteratorINS5_IJN6thrust23THRUST_200600_302600_NS6detail15normal_iteratorINSC_10device_ptrIKyEEEESI_EEEEESK_NSA_INS5_IJNSE_INSF_IyEEEESM_EEEEEPS7_SP_SP_NSC_11hip_rocprim7__merge17predicate_wrapperIyyNSC_4lessIyEEEEEE10hipError_tPvRmT0_T1_T2_T3_T4_T5_mmT6_P12ihipStream_tbEUlT_E0_NS1_11comp_targetILNS1_3genE0ELNS1_11target_archE4294967295ELNS1_3gpuE0ELNS1_3repE0EEENS1_30default_config_static_selectorELNS0_4arch9wavefront6targetE0EEEvS10_.num_agpr, 0
	.set _ZN7rocprim17ROCPRIM_400000_NS6detail17trampoline_kernelINS0_14default_configENS1_21merge_config_selectorINS0_5tupleIJyyEEENS0_10empty_typeEEEZNS1_10merge_implIS3_NS0_12zip_iteratorINS5_IJN6thrust23THRUST_200600_302600_NS6detail15normal_iteratorINSC_10device_ptrIKyEEEESI_EEEEESK_NSA_INS5_IJNSE_INSF_IyEEEESM_EEEEEPS7_SP_SP_NSC_11hip_rocprim7__merge17predicate_wrapperIyyNSC_4lessIyEEEEEE10hipError_tPvRmT0_T1_T2_T3_T4_T5_mmT6_P12ihipStream_tbEUlT_E0_NS1_11comp_targetILNS1_3genE0ELNS1_11target_archE4294967295ELNS1_3gpuE0ELNS1_3repE0EEENS1_30default_config_static_selectorELNS0_4arch9wavefront6targetE0EEEvS10_.numbered_sgpr, 25
	.set _ZN7rocprim17ROCPRIM_400000_NS6detail17trampoline_kernelINS0_14default_configENS1_21merge_config_selectorINS0_5tupleIJyyEEENS0_10empty_typeEEEZNS1_10merge_implIS3_NS0_12zip_iteratorINS5_IJN6thrust23THRUST_200600_302600_NS6detail15normal_iteratorINSC_10device_ptrIKyEEEESI_EEEEESK_NSA_INS5_IJNSE_INSF_IyEEEESM_EEEEEPS7_SP_SP_NSC_11hip_rocprim7__merge17predicate_wrapperIyyNSC_4lessIyEEEEEE10hipError_tPvRmT0_T1_T2_T3_T4_T5_mmT6_P12ihipStream_tbEUlT_E0_NS1_11comp_targetILNS1_3genE0ELNS1_11target_archE4294967295ELNS1_3gpuE0ELNS1_3repE0EEENS1_30default_config_static_selectorELNS0_4arch9wavefront6targetE0EEEvS10_.num_named_barrier, 0
	.set _ZN7rocprim17ROCPRIM_400000_NS6detail17trampoline_kernelINS0_14default_configENS1_21merge_config_selectorINS0_5tupleIJyyEEENS0_10empty_typeEEEZNS1_10merge_implIS3_NS0_12zip_iteratorINS5_IJN6thrust23THRUST_200600_302600_NS6detail15normal_iteratorINSC_10device_ptrIKyEEEESI_EEEEESK_NSA_INS5_IJNSE_INSF_IyEEEESM_EEEEEPS7_SP_SP_NSC_11hip_rocprim7__merge17predicate_wrapperIyyNSC_4lessIyEEEEEE10hipError_tPvRmT0_T1_T2_T3_T4_T5_mmT6_P12ihipStream_tbEUlT_E0_NS1_11comp_targetILNS1_3genE0ELNS1_11target_archE4294967295ELNS1_3gpuE0ELNS1_3repE0EEENS1_30default_config_static_selectorELNS0_4arch9wavefront6targetE0EEEvS10_.private_seg_size, 0
	.set _ZN7rocprim17ROCPRIM_400000_NS6detail17trampoline_kernelINS0_14default_configENS1_21merge_config_selectorINS0_5tupleIJyyEEENS0_10empty_typeEEEZNS1_10merge_implIS3_NS0_12zip_iteratorINS5_IJN6thrust23THRUST_200600_302600_NS6detail15normal_iteratorINSC_10device_ptrIKyEEEESI_EEEEESK_NSA_INS5_IJNSE_INSF_IyEEEESM_EEEEEPS7_SP_SP_NSC_11hip_rocprim7__merge17predicate_wrapperIyyNSC_4lessIyEEEEEE10hipError_tPvRmT0_T1_T2_T3_T4_T5_mmT6_P12ihipStream_tbEUlT_E0_NS1_11comp_targetILNS1_3genE0ELNS1_11target_archE4294967295ELNS1_3gpuE0ELNS1_3repE0EEENS1_30default_config_static_selectorELNS0_4arch9wavefront6targetE0EEEvS10_.uses_vcc, 1
	.set _ZN7rocprim17ROCPRIM_400000_NS6detail17trampoline_kernelINS0_14default_configENS1_21merge_config_selectorINS0_5tupleIJyyEEENS0_10empty_typeEEEZNS1_10merge_implIS3_NS0_12zip_iteratorINS5_IJN6thrust23THRUST_200600_302600_NS6detail15normal_iteratorINSC_10device_ptrIKyEEEESI_EEEEESK_NSA_INS5_IJNSE_INSF_IyEEEESM_EEEEEPS7_SP_SP_NSC_11hip_rocprim7__merge17predicate_wrapperIyyNSC_4lessIyEEEEEE10hipError_tPvRmT0_T1_T2_T3_T4_T5_mmT6_P12ihipStream_tbEUlT_E0_NS1_11comp_targetILNS1_3genE0ELNS1_11target_archE4294967295ELNS1_3gpuE0ELNS1_3repE0EEENS1_30default_config_static_selectorELNS0_4arch9wavefront6targetE0EEEvS10_.uses_flat_scratch, 0
	.set _ZN7rocprim17ROCPRIM_400000_NS6detail17trampoline_kernelINS0_14default_configENS1_21merge_config_selectorINS0_5tupleIJyyEEENS0_10empty_typeEEEZNS1_10merge_implIS3_NS0_12zip_iteratorINS5_IJN6thrust23THRUST_200600_302600_NS6detail15normal_iteratorINSC_10device_ptrIKyEEEESI_EEEEESK_NSA_INS5_IJNSE_INSF_IyEEEESM_EEEEEPS7_SP_SP_NSC_11hip_rocprim7__merge17predicate_wrapperIyyNSC_4lessIyEEEEEE10hipError_tPvRmT0_T1_T2_T3_T4_T5_mmT6_P12ihipStream_tbEUlT_E0_NS1_11comp_targetILNS1_3genE0ELNS1_11target_archE4294967295ELNS1_3gpuE0ELNS1_3repE0EEENS1_30default_config_static_selectorELNS0_4arch9wavefront6targetE0EEEvS10_.has_dyn_sized_stack, 0
	.set _ZN7rocprim17ROCPRIM_400000_NS6detail17trampoline_kernelINS0_14default_configENS1_21merge_config_selectorINS0_5tupleIJyyEEENS0_10empty_typeEEEZNS1_10merge_implIS3_NS0_12zip_iteratorINS5_IJN6thrust23THRUST_200600_302600_NS6detail15normal_iteratorINSC_10device_ptrIKyEEEESI_EEEEESK_NSA_INS5_IJNSE_INSF_IyEEEESM_EEEEEPS7_SP_SP_NSC_11hip_rocprim7__merge17predicate_wrapperIyyNSC_4lessIyEEEEEE10hipError_tPvRmT0_T1_T2_T3_T4_T5_mmT6_P12ihipStream_tbEUlT_E0_NS1_11comp_targetILNS1_3genE0ELNS1_11target_archE4294967295ELNS1_3gpuE0ELNS1_3repE0EEENS1_30default_config_static_selectorELNS0_4arch9wavefront6targetE0EEEvS10_.has_recursion, 0
	.set _ZN7rocprim17ROCPRIM_400000_NS6detail17trampoline_kernelINS0_14default_configENS1_21merge_config_selectorINS0_5tupleIJyyEEENS0_10empty_typeEEEZNS1_10merge_implIS3_NS0_12zip_iteratorINS5_IJN6thrust23THRUST_200600_302600_NS6detail15normal_iteratorINSC_10device_ptrIKyEEEESI_EEEEESK_NSA_INS5_IJNSE_INSF_IyEEEESM_EEEEEPS7_SP_SP_NSC_11hip_rocprim7__merge17predicate_wrapperIyyNSC_4lessIyEEEEEE10hipError_tPvRmT0_T1_T2_T3_T4_T5_mmT6_P12ihipStream_tbEUlT_E0_NS1_11comp_targetILNS1_3genE0ELNS1_11target_archE4294967295ELNS1_3gpuE0ELNS1_3repE0EEENS1_30default_config_static_selectorELNS0_4arch9wavefront6targetE0EEEvS10_.has_indirect_call, 0
	.section	.AMDGPU.csdata,"",@progbits
; Kernel info:
; codeLenInByte = 1428
; TotalNumSgprs: 27
; NumVgprs: 23
; ScratchSize: 0
; MemoryBound: 0
; FloatMode: 240
; IeeeMode: 1
; LDSByteSize: 16896 bytes/workgroup (compile time only)
; SGPRBlocks: 0
; VGPRBlocks: 1
; NumSGPRsForWavesPerEU: 27
; NumVGPRsForWavesPerEU: 23
; NamedBarCnt: 0
; Occupancy: 16
; WaveLimiterHint : 1
; COMPUTE_PGM_RSRC2:SCRATCH_EN: 0
; COMPUTE_PGM_RSRC2:USER_SGPR: 2
; COMPUTE_PGM_RSRC2:TRAP_HANDLER: 0
; COMPUTE_PGM_RSRC2:TGID_X_EN: 1
; COMPUTE_PGM_RSRC2:TGID_Y_EN: 0
; COMPUTE_PGM_RSRC2:TGID_Z_EN: 0
; COMPUTE_PGM_RSRC2:TIDIG_COMP_CNT: 0
	.section	.text._ZN7rocprim17ROCPRIM_400000_NS6detail17trampoline_kernelINS0_14default_configENS1_21merge_config_selectorINS0_5tupleIJyyEEENS0_10empty_typeEEEZNS1_10merge_implIS3_NS0_12zip_iteratorINS5_IJN6thrust23THRUST_200600_302600_NS6detail15normal_iteratorINSC_10device_ptrIKyEEEESI_EEEEESK_NSA_INS5_IJNSE_INSF_IyEEEESM_EEEEEPS7_SP_SP_NSC_11hip_rocprim7__merge17predicate_wrapperIyyNSC_4lessIyEEEEEE10hipError_tPvRmT0_T1_T2_T3_T4_T5_mmT6_P12ihipStream_tbEUlT_E0_NS1_11comp_targetILNS1_3genE5ELNS1_11target_archE942ELNS1_3gpuE9ELNS1_3repE0EEENS1_30default_config_static_selectorELNS0_4arch9wavefront6targetE0EEEvS10_,"axG",@progbits,_ZN7rocprim17ROCPRIM_400000_NS6detail17trampoline_kernelINS0_14default_configENS1_21merge_config_selectorINS0_5tupleIJyyEEENS0_10empty_typeEEEZNS1_10merge_implIS3_NS0_12zip_iteratorINS5_IJN6thrust23THRUST_200600_302600_NS6detail15normal_iteratorINSC_10device_ptrIKyEEEESI_EEEEESK_NSA_INS5_IJNSE_INSF_IyEEEESM_EEEEEPS7_SP_SP_NSC_11hip_rocprim7__merge17predicate_wrapperIyyNSC_4lessIyEEEEEE10hipError_tPvRmT0_T1_T2_T3_T4_T5_mmT6_P12ihipStream_tbEUlT_E0_NS1_11comp_targetILNS1_3genE5ELNS1_11target_archE942ELNS1_3gpuE9ELNS1_3repE0EEENS1_30default_config_static_selectorELNS0_4arch9wavefront6targetE0EEEvS10_,comdat
	.protected	_ZN7rocprim17ROCPRIM_400000_NS6detail17trampoline_kernelINS0_14default_configENS1_21merge_config_selectorINS0_5tupleIJyyEEENS0_10empty_typeEEEZNS1_10merge_implIS3_NS0_12zip_iteratorINS5_IJN6thrust23THRUST_200600_302600_NS6detail15normal_iteratorINSC_10device_ptrIKyEEEESI_EEEEESK_NSA_INS5_IJNSE_INSF_IyEEEESM_EEEEEPS7_SP_SP_NSC_11hip_rocprim7__merge17predicate_wrapperIyyNSC_4lessIyEEEEEE10hipError_tPvRmT0_T1_T2_T3_T4_T5_mmT6_P12ihipStream_tbEUlT_E0_NS1_11comp_targetILNS1_3genE5ELNS1_11target_archE942ELNS1_3gpuE9ELNS1_3repE0EEENS1_30default_config_static_selectorELNS0_4arch9wavefront6targetE0EEEvS10_ ; -- Begin function _ZN7rocprim17ROCPRIM_400000_NS6detail17trampoline_kernelINS0_14default_configENS1_21merge_config_selectorINS0_5tupleIJyyEEENS0_10empty_typeEEEZNS1_10merge_implIS3_NS0_12zip_iteratorINS5_IJN6thrust23THRUST_200600_302600_NS6detail15normal_iteratorINSC_10device_ptrIKyEEEESI_EEEEESK_NSA_INS5_IJNSE_INSF_IyEEEESM_EEEEEPS7_SP_SP_NSC_11hip_rocprim7__merge17predicate_wrapperIyyNSC_4lessIyEEEEEE10hipError_tPvRmT0_T1_T2_T3_T4_T5_mmT6_P12ihipStream_tbEUlT_E0_NS1_11comp_targetILNS1_3genE5ELNS1_11target_archE942ELNS1_3gpuE9ELNS1_3repE0EEENS1_30default_config_static_selectorELNS0_4arch9wavefront6targetE0EEEvS10_
	.globl	_ZN7rocprim17ROCPRIM_400000_NS6detail17trampoline_kernelINS0_14default_configENS1_21merge_config_selectorINS0_5tupleIJyyEEENS0_10empty_typeEEEZNS1_10merge_implIS3_NS0_12zip_iteratorINS5_IJN6thrust23THRUST_200600_302600_NS6detail15normal_iteratorINSC_10device_ptrIKyEEEESI_EEEEESK_NSA_INS5_IJNSE_INSF_IyEEEESM_EEEEEPS7_SP_SP_NSC_11hip_rocprim7__merge17predicate_wrapperIyyNSC_4lessIyEEEEEE10hipError_tPvRmT0_T1_T2_T3_T4_T5_mmT6_P12ihipStream_tbEUlT_E0_NS1_11comp_targetILNS1_3genE5ELNS1_11target_archE942ELNS1_3gpuE9ELNS1_3repE0EEENS1_30default_config_static_selectorELNS0_4arch9wavefront6targetE0EEEvS10_
	.p2align	8
	.type	_ZN7rocprim17ROCPRIM_400000_NS6detail17trampoline_kernelINS0_14default_configENS1_21merge_config_selectorINS0_5tupleIJyyEEENS0_10empty_typeEEEZNS1_10merge_implIS3_NS0_12zip_iteratorINS5_IJN6thrust23THRUST_200600_302600_NS6detail15normal_iteratorINSC_10device_ptrIKyEEEESI_EEEEESK_NSA_INS5_IJNSE_INSF_IyEEEESM_EEEEEPS7_SP_SP_NSC_11hip_rocprim7__merge17predicate_wrapperIyyNSC_4lessIyEEEEEE10hipError_tPvRmT0_T1_T2_T3_T4_T5_mmT6_P12ihipStream_tbEUlT_E0_NS1_11comp_targetILNS1_3genE5ELNS1_11target_archE942ELNS1_3gpuE9ELNS1_3repE0EEENS1_30default_config_static_selectorELNS0_4arch9wavefront6targetE0EEEvS10_,@function
_ZN7rocprim17ROCPRIM_400000_NS6detail17trampoline_kernelINS0_14default_configENS1_21merge_config_selectorINS0_5tupleIJyyEEENS0_10empty_typeEEEZNS1_10merge_implIS3_NS0_12zip_iteratorINS5_IJN6thrust23THRUST_200600_302600_NS6detail15normal_iteratorINSC_10device_ptrIKyEEEESI_EEEEESK_NSA_INS5_IJNSE_INSF_IyEEEESM_EEEEEPS7_SP_SP_NSC_11hip_rocprim7__merge17predicate_wrapperIyyNSC_4lessIyEEEEEE10hipError_tPvRmT0_T1_T2_T3_T4_T5_mmT6_P12ihipStream_tbEUlT_E0_NS1_11comp_targetILNS1_3genE5ELNS1_11target_archE942ELNS1_3gpuE9ELNS1_3repE0EEENS1_30default_config_static_selectorELNS0_4arch9wavefront6targetE0EEEvS10_: ; @_ZN7rocprim17ROCPRIM_400000_NS6detail17trampoline_kernelINS0_14default_configENS1_21merge_config_selectorINS0_5tupleIJyyEEENS0_10empty_typeEEEZNS1_10merge_implIS3_NS0_12zip_iteratorINS5_IJN6thrust23THRUST_200600_302600_NS6detail15normal_iteratorINSC_10device_ptrIKyEEEESI_EEEEESK_NSA_INS5_IJNSE_INSF_IyEEEESM_EEEEEPS7_SP_SP_NSC_11hip_rocprim7__merge17predicate_wrapperIyyNSC_4lessIyEEEEEE10hipError_tPvRmT0_T1_T2_T3_T4_T5_mmT6_P12ihipStream_tbEUlT_E0_NS1_11comp_targetILNS1_3genE5ELNS1_11target_archE942ELNS1_3gpuE9ELNS1_3repE0EEENS1_30default_config_static_selectorELNS0_4arch9wavefront6targetE0EEEvS10_
; %bb.0:
	.section	.rodata,"a",@progbits
	.p2align	6, 0x0
	.amdhsa_kernel _ZN7rocprim17ROCPRIM_400000_NS6detail17trampoline_kernelINS0_14default_configENS1_21merge_config_selectorINS0_5tupleIJyyEEENS0_10empty_typeEEEZNS1_10merge_implIS3_NS0_12zip_iteratorINS5_IJN6thrust23THRUST_200600_302600_NS6detail15normal_iteratorINSC_10device_ptrIKyEEEESI_EEEEESK_NSA_INS5_IJNSE_INSF_IyEEEESM_EEEEEPS7_SP_SP_NSC_11hip_rocprim7__merge17predicate_wrapperIyyNSC_4lessIyEEEEEE10hipError_tPvRmT0_T1_T2_T3_T4_T5_mmT6_P12ihipStream_tbEUlT_E0_NS1_11comp_targetILNS1_3genE5ELNS1_11target_archE942ELNS1_3gpuE9ELNS1_3repE0EEENS1_30default_config_static_selectorELNS0_4arch9wavefront6targetE0EEEvS10_
		.amdhsa_group_segment_fixed_size 0
		.amdhsa_private_segment_fixed_size 0
		.amdhsa_kernarg_size 112
		.amdhsa_user_sgpr_count 2
		.amdhsa_user_sgpr_dispatch_ptr 0
		.amdhsa_user_sgpr_queue_ptr 0
		.amdhsa_user_sgpr_kernarg_segment_ptr 1
		.amdhsa_user_sgpr_dispatch_id 0
		.amdhsa_user_sgpr_kernarg_preload_length 0
		.amdhsa_user_sgpr_kernarg_preload_offset 0
		.amdhsa_user_sgpr_private_segment_size 0
		.amdhsa_wavefront_size32 1
		.amdhsa_uses_dynamic_stack 0
		.amdhsa_enable_private_segment 0
		.amdhsa_system_sgpr_workgroup_id_x 1
		.amdhsa_system_sgpr_workgroup_id_y 0
		.amdhsa_system_sgpr_workgroup_id_z 0
		.amdhsa_system_sgpr_workgroup_info 0
		.amdhsa_system_vgpr_workitem_id 0
		.amdhsa_next_free_vgpr 1
		.amdhsa_next_free_sgpr 1
		.amdhsa_named_barrier_count 0
		.amdhsa_reserve_vcc 0
		.amdhsa_float_round_mode_32 0
		.amdhsa_float_round_mode_16_64 0
		.amdhsa_float_denorm_mode_32 3
		.amdhsa_float_denorm_mode_16_64 3
		.amdhsa_fp16_overflow 0
		.amdhsa_memory_ordered 1
		.amdhsa_forward_progress 1
		.amdhsa_inst_pref_size 0
		.amdhsa_round_robin_scheduling 0
		.amdhsa_exception_fp_ieee_invalid_op 0
		.amdhsa_exception_fp_denorm_src 0
		.amdhsa_exception_fp_ieee_div_zero 0
		.amdhsa_exception_fp_ieee_overflow 0
		.amdhsa_exception_fp_ieee_underflow 0
		.amdhsa_exception_fp_ieee_inexact 0
		.amdhsa_exception_int_div_zero 0
	.end_amdhsa_kernel
	.section	.text._ZN7rocprim17ROCPRIM_400000_NS6detail17trampoline_kernelINS0_14default_configENS1_21merge_config_selectorINS0_5tupleIJyyEEENS0_10empty_typeEEEZNS1_10merge_implIS3_NS0_12zip_iteratorINS5_IJN6thrust23THRUST_200600_302600_NS6detail15normal_iteratorINSC_10device_ptrIKyEEEESI_EEEEESK_NSA_INS5_IJNSE_INSF_IyEEEESM_EEEEEPS7_SP_SP_NSC_11hip_rocprim7__merge17predicate_wrapperIyyNSC_4lessIyEEEEEE10hipError_tPvRmT0_T1_T2_T3_T4_T5_mmT6_P12ihipStream_tbEUlT_E0_NS1_11comp_targetILNS1_3genE5ELNS1_11target_archE942ELNS1_3gpuE9ELNS1_3repE0EEENS1_30default_config_static_selectorELNS0_4arch9wavefront6targetE0EEEvS10_,"axG",@progbits,_ZN7rocprim17ROCPRIM_400000_NS6detail17trampoline_kernelINS0_14default_configENS1_21merge_config_selectorINS0_5tupleIJyyEEENS0_10empty_typeEEEZNS1_10merge_implIS3_NS0_12zip_iteratorINS5_IJN6thrust23THRUST_200600_302600_NS6detail15normal_iteratorINSC_10device_ptrIKyEEEESI_EEEEESK_NSA_INS5_IJNSE_INSF_IyEEEESM_EEEEEPS7_SP_SP_NSC_11hip_rocprim7__merge17predicate_wrapperIyyNSC_4lessIyEEEEEE10hipError_tPvRmT0_T1_T2_T3_T4_T5_mmT6_P12ihipStream_tbEUlT_E0_NS1_11comp_targetILNS1_3genE5ELNS1_11target_archE942ELNS1_3gpuE9ELNS1_3repE0EEENS1_30default_config_static_selectorELNS0_4arch9wavefront6targetE0EEEvS10_,comdat
.Lfunc_end106:
	.size	_ZN7rocprim17ROCPRIM_400000_NS6detail17trampoline_kernelINS0_14default_configENS1_21merge_config_selectorINS0_5tupleIJyyEEENS0_10empty_typeEEEZNS1_10merge_implIS3_NS0_12zip_iteratorINS5_IJN6thrust23THRUST_200600_302600_NS6detail15normal_iteratorINSC_10device_ptrIKyEEEESI_EEEEESK_NSA_INS5_IJNSE_INSF_IyEEEESM_EEEEEPS7_SP_SP_NSC_11hip_rocprim7__merge17predicate_wrapperIyyNSC_4lessIyEEEEEE10hipError_tPvRmT0_T1_T2_T3_T4_T5_mmT6_P12ihipStream_tbEUlT_E0_NS1_11comp_targetILNS1_3genE5ELNS1_11target_archE942ELNS1_3gpuE9ELNS1_3repE0EEENS1_30default_config_static_selectorELNS0_4arch9wavefront6targetE0EEEvS10_, .Lfunc_end106-_ZN7rocprim17ROCPRIM_400000_NS6detail17trampoline_kernelINS0_14default_configENS1_21merge_config_selectorINS0_5tupleIJyyEEENS0_10empty_typeEEEZNS1_10merge_implIS3_NS0_12zip_iteratorINS5_IJN6thrust23THRUST_200600_302600_NS6detail15normal_iteratorINSC_10device_ptrIKyEEEESI_EEEEESK_NSA_INS5_IJNSE_INSF_IyEEEESM_EEEEEPS7_SP_SP_NSC_11hip_rocprim7__merge17predicate_wrapperIyyNSC_4lessIyEEEEEE10hipError_tPvRmT0_T1_T2_T3_T4_T5_mmT6_P12ihipStream_tbEUlT_E0_NS1_11comp_targetILNS1_3genE5ELNS1_11target_archE942ELNS1_3gpuE9ELNS1_3repE0EEENS1_30default_config_static_selectorELNS0_4arch9wavefront6targetE0EEEvS10_
                                        ; -- End function
	.set _ZN7rocprim17ROCPRIM_400000_NS6detail17trampoline_kernelINS0_14default_configENS1_21merge_config_selectorINS0_5tupleIJyyEEENS0_10empty_typeEEEZNS1_10merge_implIS3_NS0_12zip_iteratorINS5_IJN6thrust23THRUST_200600_302600_NS6detail15normal_iteratorINSC_10device_ptrIKyEEEESI_EEEEESK_NSA_INS5_IJNSE_INSF_IyEEEESM_EEEEEPS7_SP_SP_NSC_11hip_rocprim7__merge17predicate_wrapperIyyNSC_4lessIyEEEEEE10hipError_tPvRmT0_T1_T2_T3_T4_T5_mmT6_P12ihipStream_tbEUlT_E0_NS1_11comp_targetILNS1_3genE5ELNS1_11target_archE942ELNS1_3gpuE9ELNS1_3repE0EEENS1_30default_config_static_selectorELNS0_4arch9wavefront6targetE0EEEvS10_.num_vgpr, 0
	.set _ZN7rocprim17ROCPRIM_400000_NS6detail17trampoline_kernelINS0_14default_configENS1_21merge_config_selectorINS0_5tupleIJyyEEENS0_10empty_typeEEEZNS1_10merge_implIS3_NS0_12zip_iteratorINS5_IJN6thrust23THRUST_200600_302600_NS6detail15normal_iteratorINSC_10device_ptrIKyEEEESI_EEEEESK_NSA_INS5_IJNSE_INSF_IyEEEESM_EEEEEPS7_SP_SP_NSC_11hip_rocprim7__merge17predicate_wrapperIyyNSC_4lessIyEEEEEE10hipError_tPvRmT0_T1_T2_T3_T4_T5_mmT6_P12ihipStream_tbEUlT_E0_NS1_11comp_targetILNS1_3genE5ELNS1_11target_archE942ELNS1_3gpuE9ELNS1_3repE0EEENS1_30default_config_static_selectorELNS0_4arch9wavefront6targetE0EEEvS10_.num_agpr, 0
	.set _ZN7rocprim17ROCPRIM_400000_NS6detail17trampoline_kernelINS0_14default_configENS1_21merge_config_selectorINS0_5tupleIJyyEEENS0_10empty_typeEEEZNS1_10merge_implIS3_NS0_12zip_iteratorINS5_IJN6thrust23THRUST_200600_302600_NS6detail15normal_iteratorINSC_10device_ptrIKyEEEESI_EEEEESK_NSA_INS5_IJNSE_INSF_IyEEEESM_EEEEEPS7_SP_SP_NSC_11hip_rocprim7__merge17predicate_wrapperIyyNSC_4lessIyEEEEEE10hipError_tPvRmT0_T1_T2_T3_T4_T5_mmT6_P12ihipStream_tbEUlT_E0_NS1_11comp_targetILNS1_3genE5ELNS1_11target_archE942ELNS1_3gpuE9ELNS1_3repE0EEENS1_30default_config_static_selectorELNS0_4arch9wavefront6targetE0EEEvS10_.numbered_sgpr, 0
	.set _ZN7rocprim17ROCPRIM_400000_NS6detail17trampoline_kernelINS0_14default_configENS1_21merge_config_selectorINS0_5tupleIJyyEEENS0_10empty_typeEEEZNS1_10merge_implIS3_NS0_12zip_iteratorINS5_IJN6thrust23THRUST_200600_302600_NS6detail15normal_iteratorINSC_10device_ptrIKyEEEESI_EEEEESK_NSA_INS5_IJNSE_INSF_IyEEEESM_EEEEEPS7_SP_SP_NSC_11hip_rocprim7__merge17predicate_wrapperIyyNSC_4lessIyEEEEEE10hipError_tPvRmT0_T1_T2_T3_T4_T5_mmT6_P12ihipStream_tbEUlT_E0_NS1_11comp_targetILNS1_3genE5ELNS1_11target_archE942ELNS1_3gpuE9ELNS1_3repE0EEENS1_30default_config_static_selectorELNS0_4arch9wavefront6targetE0EEEvS10_.num_named_barrier, 0
	.set _ZN7rocprim17ROCPRIM_400000_NS6detail17trampoline_kernelINS0_14default_configENS1_21merge_config_selectorINS0_5tupleIJyyEEENS0_10empty_typeEEEZNS1_10merge_implIS3_NS0_12zip_iteratorINS5_IJN6thrust23THRUST_200600_302600_NS6detail15normal_iteratorINSC_10device_ptrIKyEEEESI_EEEEESK_NSA_INS5_IJNSE_INSF_IyEEEESM_EEEEEPS7_SP_SP_NSC_11hip_rocprim7__merge17predicate_wrapperIyyNSC_4lessIyEEEEEE10hipError_tPvRmT0_T1_T2_T3_T4_T5_mmT6_P12ihipStream_tbEUlT_E0_NS1_11comp_targetILNS1_3genE5ELNS1_11target_archE942ELNS1_3gpuE9ELNS1_3repE0EEENS1_30default_config_static_selectorELNS0_4arch9wavefront6targetE0EEEvS10_.private_seg_size, 0
	.set _ZN7rocprim17ROCPRIM_400000_NS6detail17trampoline_kernelINS0_14default_configENS1_21merge_config_selectorINS0_5tupleIJyyEEENS0_10empty_typeEEEZNS1_10merge_implIS3_NS0_12zip_iteratorINS5_IJN6thrust23THRUST_200600_302600_NS6detail15normal_iteratorINSC_10device_ptrIKyEEEESI_EEEEESK_NSA_INS5_IJNSE_INSF_IyEEEESM_EEEEEPS7_SP_SP_NSC_11hip_rocprim7__merge17predicate_wrapperIyyNSC_4lessIyEEEEEE10hipError_tPvRmT0_T1_T2_T3_T4_T5_mmT6_P12ihipStream_tbEUlT_E0_NS1_11comp_targetILNS1_3genE5ELNS1_11target_archE942ELNS1_3gpuE9ELNS1_3repE0EEENS1_30default_config_static_selectorELNS0_4arch9wavefront6targetE0EEEvS10_.uses_vcc, 0
	.set _ZN7rocprim17ROCPRIM_400000_NS6detail17trampoline_kernelINS0_14default_configENS1_21merge_config_selectorINS0_5tupleIJyyEEENS0_10empty_typeEEEZNS1_10merge_implIS3_NS0_12zip_iteratorINS5_IJN6thrust23THRUST_200600_302600_NS6detail15normal_iteratorINSC_10device_ptrIKyEEEESI_EEEEESK_NSA_INS5_IJNSE_INSF_IyEEEESM_EEEEEPS7_SP_SP_NSC_11hip_rocprim7__merge17predicate_wrapperIyyNSC_4lessIyEEEEEE10hipError_tPvRmT0_T1_T2_T3_T4_T5_mmT6_P12ihipStream_tbEUlT_E0_NS1_11comp_targetILNS1_3genE5ELNS1_11target_archE942ELNS1_3gpuE9ELNS1_3repE0EEENS1_30default_config_static_selectorELNS0_4arch9wavefront6targetE0EEEvS10_.uses_flat_scratch, 0
	.set _ZN7rocprim17ROCPRIM_400000_NS6detail17trampoline_kernelINS0_14default_configENS1_21merge_config_selectorINS0_5tupleIJyyEEENS0_10empty_typeEEEZNS1_10merge_implIS3_NS0_12zip_iteratorINS5_IJN6thrust23THRUST_200600_302600_NS6detail15normal_iteratorINSC_10device_ptrIKyEEEESI_EEEEESK_NSA_INS5_IJNSE_INSF_IyEEEESM_EEEEEPS7_SP_SP_NSC_11hip_rocprim7__merge17predicate_wrapperIyyNSC_4lessIyEEEEEE10hipError_tPvRmT0_T1_T2_T3_T4_T5_mmT6_P12ihipStream_tbEUlT_E0_NS1_11comp_targetILNS1_3genE5ELNS1_11target_archE942ELNS1_3gpuE9ELNS1_3repE0EEENS1_30default_config_static_selectorELNS0_4arch9wavefront6targetE0EEEvS10_.has_dyn_sized_stack, 0
	.set _ZN7rocprim17ROCPRIM_400000_NS6detail17trampoline_kernelINS0_14default_configENS1_21merge_config_selectorINS0_5tupleIJyyEEENS0_10empty_typeEEEZNS1_10merge_implIS3_NS0_12zip_iteratorINS5_IJN6thrust23THRUST_200600_302600_NS6detail15normal_iteratorINSC_10device_ptrIKyEEEESI_EEEEESK_NSA_INS5_IJNSE_INSF_IyEEEESM_EEEEEPS7_SP_SP_NSC_11hip_rocprim7__merge17predicate_wrapperIyyNSC_4lessIyEEEEEE10hipError_tPvRmT0_T1_T2_T3_T4_T5_mmT6_P12ihipStream_tbEUlT_E0_NS1_11comp_targetILNS1_3genE5ELNS1_11target_archE942ELNS1_3gpuE9ELNS1_3repE0EEENS1_30default_config_static_selectorELNS0_4arch9wavefront6targetE0EEEvS10_.has_recursion, 0
	.set _ZN7rocprim17ROCPRIM_400000_NS6detail17trampoline_kernelINS0_14default_configENS1_21merge_config_selectorINS0_5tupleIJyyEEENS0_10empty_typeEEEZNS1_10merge_implIS3_NS0_12zip_iteratorINS5_IJN6thrust23THRUST_200600_302600_NS6detail15normal_iteratorINSC_10device_ptrIKyEEEESI_EEEEESK_NSA_INS5_IJNSE_INSF_IyEEEESM_EEEEEPS7_SP_SP_NSC_11hip_rocprim7__merge17predicate_wrapperIyyNSC_4lessIyEEEEEE10hipError_tPvRmT0_T1_T2_T3_T4_T5_mmT6_P12ihipStream_tbEUlT_E0_NS1_11comp_targetILNS1_3genE5ELNS1_11target_archE942ELNS1_3gpuE9ELNS1_3repE0EEENS1_30default_config_static_selectorELNS0_4arch9wavefront6targetE0EEEvS10_.has_indirect_call, 0
	.section	.AMDGPU.csdata,"",@progbits
; Kernel info:
; codeLenInByte = 0
; TotalNumSgprs: 0
; NumVgprs: 0
; ScratchSize: 0
; MemoryBound: 0
; FloatMode: 240
; IeeeMode: 1
; LDSByteSize: 0 bytes/workgroup (compile time only)
; SGPRBlocks: 0
; VGPRBlocks: 0
; NumSGPRsForWavesPerEU: 1
; NumVGPRsForWavesPerEU: 1
; NamedBarCnt: 0
; Occupancy: 16
; WaveLimiterHint : 0
; COMPUTE_PGM_RSRC2:SCRATCH_EN: 0
; COMPUTE_PGM_RSRC2:USER_SGPR: 2
; COMPUTE_PGM_RSRC2:TRAP_HANDLER: 0
; COMPUTE_PGM_RSRC2:TGID_X_EN: 1
; COMPUTE_PGM_RSRC2:TGID_Y_EN: 0
; COMPUTE_PGM_RSRC2:TGID_Z_EN: 0
; COMPUTE_PGM_RSRC2:TIDIG_COMP_CNT: 0
	.section	.text._ZN7rocprim17ROCPRIM_400000_NS6detail17trampoline_kernelINS0_14default_configENS1_21merge_config_selectorINS0_5tupleIJyyEEENS0_10empty_typeEEEZNS1_10merge_implIS3_NS0_12zip_iteratorINS5_IJN6thrust23THRUST_200600_302600_NS6detail15normal_iteratorINSC_10device_ptrIKyEEEESI_EEEEESK_NSA_INS5_IJNSE_INSF_IyEEEESM_EEEEEPS7_SP_SP_NSC_11hip_rocprim7__merge17predicate_wrapperIyyNSC_4lessIyEEEEEE10hipError_tPvRmT0_T1_T2_T3_T4_T5_mmT6_P12ihipStream_tbEUlT_E0_NS1_11comp_targetILNS1_3genE4ELNS1_11target_archE910ELNS1_3gpuE8ELNS1_3repE0EEENS1_30default_config_static_selectorELNS0_4arch9wavefront6targetE0EEEvS10_,"axG",@progbits,_ZN7rocprim17ROCPRIM_400000_NS6detail17trampoline_kernelINS0_14default_configENS1_21merge_config_selectorINS0_5tupleIJyyEEENS0_10empty_typeEEEZNS1_10merge_implIS3_NS0_12zip_iteratorINS5_IJN6thrust23THRUST_200600_302600_NS6detail15normal_iteratorINSC_10device_ptrIKyEEEESI_EEEEESK_NSA_INS5_IJNSE_INSF_IyEEEESM_EEEEEPS7_SP_SP_NSC_11hip_rocprim7__merge17predicate_wrapperIyyNSC_4lessIyEEEEEE10hipError_tPvRmT0_T1_T2_T3_T4_T5_mmT6_P12ihipStream_tbEUlT_E0_NS1_11comp_targetILNS1_3genE4ELNS1_11target_archE910ELNS1_3gpuE8ELNS1_3repE0EEENS1_30default_config_static_selectorELNS0_4arch9wavefront6targetE0EEEvS10_,comdat
	.protected	_ZN7rocprim17ROCPRIM_400000_NS6detail17trampoline_kernelINS0_14default_configENS1_21merge_config_selectorINS0_5tupleIJyyEEENS0_10empty_typeEEEZNS1_10merge_implIS3_NS0_12zip_iteratorINS5_IJN6thrust23THRUST_200600_302600_NS6detail15normal_iteratorINSC_10device_ptrIKyEEEESI_EEEEESK_NSA_INS5_IJNSE_INSF_IyEEEESM_EEEEEPS7_SP_SP_NSC_11hip_rocprim7__merge17predicate_wrapperIyyNSC_4lessIyEEEEEE10hipError_tPvRmT0_T1_T2_T3_T4_T5_mmT6_P12ihipStream_tbEUlT_E0_NS1_11comp_targetILNS1_3genE4ELNS1_11target_archE910ELNS1_3gpuE8ELNS1_3repE0EEENS1_30default_config_static_selectorELNS0_4arch9wavefront6targetE0EEEvS10_ ; -- Begin function _ZN7rocprim17ROCPRIM_400000_NS6detail17trampoline_kernelINS0_14default_configENS1_21merge_config_selectorINS0_5tupleIJyyEEENS0_10empty_typeEEEZNS1_10merge_implIS3_NS0_12zip_iteratorINS5_IJN6thrust23THRUST_200600_302600_NS6detail15normal_iteratorINSC_10device_ptrIKyEEEESI_EEEEESK_NSA_INS5_IJNSE_INSF_IyEEEESM_EEEEEPS7_SP_SP_NSC_11hip_rocprim7__merge17predicate_wrapperIyyNSC_4lessIyEEEEEE10hipError_tPvRmT0_T1_T2_T3_T4_T5_mmT6_P12ihipStream_tbEUlT_E0_NS1_11comp_targetILNS1_3genE4ELNS1_11target_archE910ELNS1_3gpuE8ELNS1_3repE0EEENS1_30default_config_static_selectorELNS0_4arch9wavefront6targetE0EEEvS10_
	.globl	_ZN7rocprim17ROCPRIM_400000_NS6detail17trampoline_kernelINS0_14default_configENS1_21merge_config_selectorINS0_5tupleIJyyEEENS0_10empty_typeEEEZNS1_10merge_implIS3_NS0_12zip_iteratorINS5_IJN6thrust23THRUST_200600_302600_NS6detail15normal_iteratorINSC_10device_ptrIKyEEEESI_EEEEESK_NSA_INS5_IJNSE_INSF_IyEEEESM_EEEEEPS7_SP_SP_NSC_11hip_rocprim7__merge17predicate_wrapperIyyNSC_4lessIyEEEEEE10hipError_tPvRmT0_T1_T2_T3_T4_T5_mmT6_P12ihipStream_tbEUlT_E0_NS1_11comp_targetILNS1_3genE4ELNS1_11target_archE910ELNS1_3gpuE8ELNS1_3repE0EEENS1_30default_config_static_selectorELNS0_4arch9wavefront6targetE0EEEvS10_
	.p2align	8
	.type	_ZN7rocprim17ROCPRIM_400000_NS6detail17trampoline_kernelINS0_14default_configENS1_21merge_config_selectorINS0_5tupleIJyyEEENS0_10empty_typeEEEZNS1_10merge_implIS3_NS0_12zip_iteratorINS5_IJN6thrust23THRUST_200600_302600_NS6detail15normal_iteratorINSC_10device_ptrIKyEEEESI_EEEEESK_NSA_INS5_IJNSE_INSF_IyEEEESM_EEEEEPS7_SP_SP_NSC_11hip_rocprim7__merge17predicate_wrapperIyyNSC_4lessIyEEEEEE10hipError_tPvRmT0_T1_T2_T3_T4_T5_mmT6_P12ihipStream_tbEUlT_E0_NS1_11comp_targetILNS1_3genE4ELNS1_11target_archE910ELNS1_3gpuE8ELNS1_3repE0EEENS1_30default_config_static_selectorELNS0_4arch9wavefront6targetE0EEEvS10_,@function
_ZN7rocprim17ROCPRIM_400000_NS6detail17trampoline_kernelINS0_14default_configENS1_21merge_config_selectorINS0_5tupleIJyyEEENS0_10empty_typeEEEZNS1_10merge_implIS3_NS0_12zip_iteratorINS5_IJN6thrust23THRUST_200600_302600_NS6detail15normal_iteratorINSC_10device_ptrIKyEEEESI_EEEEESK_NSA_INS5_IJNSE_INSF_IyEEEESM_EEEEEPS7_SP_SP_NSC_11hip_rocprim7__merge17predicate_wrapperIyyNSC_4lessIyEEEEEE10hipError_tPvRmT0_T1_T2_T3_T4_T5_mmT6_P12ihipStream_tbEUlT_E0_NS1_11comp_targetILNS1_3genE4ELNS1_11target_archE910ELNS1_3gpuE8ELNS1_3repE0EEENS1_30default_config_static_selectorELNS0_4arch9wavefront6targetE0EEEvS10_: ; @_ZN7rocprim17ROCPRIM_400000_NS6detail17trampoline_kernelINS0_14default_configENS1_21merge_config_selectorINS0_5tupleIJyyEEENS0_10empty_typeEEEZNS1_10merge_implIS3_NS0_12zip_iteratorINS5_IJN6thrust23THRUST_200600_302600_NS6detail15normal_iteratorINSC_10device_ptrIKyEEEESI_EEEEESK_NSA_INS5_IJNSE_INSF_IyEEEESM_EEEEEPS7_SP_SP_NSC_11hip_rocprim7__merge17predicate_wrapperIyyNSC_4lessIyEEEEEE10hipError_tPvRmT0_T1_T2_T3_T4_T5_mmT6_P12ihipStream_tbEUlT_E0_NS1_11comp_targetILNS1_3genE4ELNS1_11target_archE910ELNS1_3gpuE8ELNS1_3repE0EEENS1_30default_config_static_selectorELNS0_4arch9wavefront6targetE0EEEvS10_
; %bb.0:
	.section	.rodata,"a",@progbits
	.p2align	6, 0x0
	.amdhsa_kernel _ZN7rocprim17ROCPRIM_400000_NS6detail17trampoline_kernelINS0_14default_configENS1_21merge_config_selectorINS0_5tupleIJyyEEENS0_10empty_typeEEEZNS1_10merge_implIS3_NS0_12zip_iteratorINS5_IJN6thrust23THRUST_200600_302600_NS6detail15normal_iteratorINSC_10device_ptrIKyEEEESI_EEEEESK_NSA_INS5_IJNSE_INSF_IyEEEESM_EEEEEPS7_SP_SP_NSC_11hip_rocprim7__merge17predicate_wrapperIyyNSC_4lessIyEEEEEE10hipError_tPvRmT0_T1_T2_T3_T4_T5_mmT6_P12ihipStream_tbEUlT_E0_NS1_11comp_targetILNS1_3genE4ELNS1_11target_archE910ELNS1_3gpuE8ELNS1_3repE0EEENS1_30default_config_static_selectorELNS0_4arch9wavefront6targetE0EEEvS10_
		.amdhsa_group_segment_fixed_size 0
		.amdhsa_private_segment_fixed_size 0
		.amdhsa_kernarg_size 112
		.amdhsa_user_sgpr_count 2
		.amdhsa_user_sgpr_dispatch_ptr 0
		.amdhsa_user_sgpr_queue_ptr 0
		.amdhsa_user_sgpr_kernarg_segment_ptr 1
		.amdhsa_user_sgpr_dispatch_id 0
		.amdhsa_user_sgpr_kernarg_preload_length 0
		.amdhsa_user_sgpr_kernarg_preload_offset 0
		.amdhsa_user_sgpr_private_segment_size 0
		.amdhsa_wavefront_size32 1
		.amdhsa_uses_dynamic_stack 0
		.amdhsa_enable_private_segment 0
		.amdhsa_system_sgpr_workgroup_id_x 1
		.amdhsa_system_sgpr_workgroup_id_y 0
		.amdhsa_system_sgpr_workgroup_id_z 0
		.amdhsa_system_sgpr_workgroup_info 0
		.amdhsa_system_vgpr_workitem_id 0
		.amdhsa_next_free_vgpr 1
		.amdhsa_next_free_sgpr 1
		.amdhsa_named_barrier_count 0
		.amdhsa_reserve_vcc 0
		.amdhsa_float_round_mode_32 0
		.amdhsa_float_round_mode_16_64 0
		.amdhsa_float_denorm_mode_32 3
		.amdhsa_float_denorm_mode_16_64 3
		.amdhsa_fp16_overflow 0
		.amdhsa_memory_ordered 1
		.amdhsa_forward_progress 1
		.amdhsa_inst_pref_size 0
		.amdhsa_round_robin_scheduling 0
		.amdhsa_exception_fp_ieee_invalid_op 0
		.amdhsa_exception_fp_denorm_src 0
		.amdhsa_exception_fp_ieee_div_zero 0
		.amdhsa_exception_fp_ieee_overflow 0
		.amdhsa_exception_fp_ieee_underflow 0
		.amdhsa_exception_fp_ieee_inexact 0
		.amdhsa_exception_int_div_zero 0
	.end_amdhsa_kernel
	.section	.text._ZN7rocprim17ROCPRIM_400000_NS6detail17trampoline_kernelINS0_14default_configENS1_21merge_config_selectorINS0_5tupleIJyyEEENS0_10empty_typeEEEZNS1_10merge_implIS3_NS0_12zip_iteratorINS5_IJN6thrust23THRUST_200600_302600_NS6detail15normal_iteratorINSC_10device_ptrIKyEEEESI_EEEEESK_NSA_INS5_IJNSE_INSF_IyEEEESM_EEEEEPS7_SP_SP_NSC_11hip_rocprim7__merge17predicate_wrapperIyyNSC_4lessIyEEEEEE10hipError_tPvRmT0_T1_T2_T3_T4_T5_mmT6_P12ihipStream_tbEUlT_E0_NS1_11comp_targetILNS1_3genE4ELNS1_11target_archE910ELNS1_3gpuE8ELNS1_3repE0EEENS1_30default_config_static_selectorELNS0_4arch9wavefront6targetE0EEEvS10_,"axG",@progbits,_ZN7rocprim17ROCPRIM_400000_NS6detail17trampoline_kernelINS0_14default_configENS1_21merge_config_selectorINS0_5tupleIJyyEEENS0_10empty_typeEEEZNS1_10merge_implIS3_NS0_12zip_iteratorINS5_IJN6thrust23THRUST_200600_302600_NS6detail15normal_iteratorINSC_10device_ptrIKyEEEESI_EEEEESK_NSA_INS5_IJNSE_INSF_IyEEEESM_EEEEEPS7_SP_SP_NSC_11hip_rocprim7__merge17predicate_wrapperIyyNSC_4lessIyEEEEEE10hipError_tPvRmT0_T1_T2_T3_T4_T5_mmT6_P12ihipStream_tbEUlT_E0_NS1_11comp_targetILNS1_3genE4ELNS1_11target_archE910ELNS1_3gpuE8ELNS1_3repE0EEENS1_30default_config_static_selectorELNS0_4arch9wavefront6targetE0EEEvS10_,comdat
.Lfunc_end107:
	.size	_ZN7rocprim17ROCPRIM_400000_NS6detail17trampoline_kernelINS0_14default_configENS1_21merge_config_selectorINS0_5tupleIJyyEEENS0_10empty_typeEEEZNS1_10merge_implIS3_NS0_12zip_iteratorINS5_IJN6thrust23THRUST_200600_302600_NS6detail15normal_iteratorINSC_10device_ptrIKyEEEESI_EEEEESK_NSA_INS5_IJNSE_INSF_IyEEEESM_EEEEEPS7_SP_SP_NSC_11hip_rocprim7__merge17predicate_wrapperIyyNSC_4lessIyEEEEEE10hipError_tPvRmT0_T1_T2_T3_T4_T5_mmT6_P12ihipStream_tbEUlT_E0_NS1_11comp_targetILNS1_3genE4ELNS1_11target_archE910ELNS1_3gpuE8ELNS1_3repE0EEENS1_30default_config_static_selectorELNS0_4arch9wavefront6targetE0EEEvS10_, .Lfunc_end107-_ZN7rocprim17ROCPRIM_400000_NS6detail17trampoline_kernelINS0_14default_configENS1_21merge_config_selectorINS0_5tupleIJyyEEENS0_10empty_typeEEEZNS1_10merge_implIS3_NS0_12zip_iteratorINS5_IJN6thrust23THRUST_200600_302600_NS6detail15normal_iteratorINSC_10device_ptrIKyEEEESI_EEEEESK_NSA_INS5_IJNSE_INSF_IyEEEESM_EEEEEPS7_SP_SP_NSC_11hip_rocprim7__merge17predicate_wrapperIyyNSC_4lessIyEEEEEE10hipError_tPvRmT0_T1_T2_T3_T4_T5_mmT6_P12ihipStream_tbEUlT_E0_NS1_11comp_targetILNS1_3genE4ELNS1_11target_archE910ELNS1_3gpuE8ELNS1_3repE0EEENS1_30default_config_static_selectorELNS0_4arch9wavefront6targetE0EEEvS10_
                                        ; -- End function
	.set _ZN7rocprim17ROCPRIM_400000_NS6detail17trampoline_kernelINS0_14default_configENS1_21merge_config_selectorINS0_5tupleIJyyEEENS0_10empty_typeEEEZNS1_10merge_implIS3_NS0_12zip_iteratorINS5_IJN6thrust23THRUST_200600_302600_NS6detail15normal_iteratorINSC_10device_ptrIKyEEEESI_EEEEESK_NSA_INS5_IJNSE_INSF_IyEEEESM_EEEEEPS7_SP_SP_NSC_11hip_rocprim7__merge17predicate_wrapperIyyNSC_4lessIyEEEEEE10hipError_tPvRmT0_T1_T2_T3_T4_T5_mmT6_P12ihipStream_tbEUlT_E0_NS1_11comp_targetILNS1_3genE4ELNS1_11target_archE910ELNS1_3gpuE8ELNS1_3repE0EEENS1_30default_config_static_selectorELNS0_4arch9wavefront6targetE0EEEvS10_.num_vgpr, 0
	.set _ZN7rocprim17ROCPRIM_400000_NS6detail17trampoline_kernelINS0_14default_configENS1_21merge_config_selectorINS0_5tupleIJyyEEENS0_10empty_typeEEEZNS1_10merge_implIS3_NS0_12zip_iteratorINS5_IJN6thrust23THRUST_200600_302600_NS6detail15normal_iteratorINSC_10device_ptrIKyEEEESI_EEEEESK_NSA_INS5_IJNSE_INSF_IyEEEESM_EEEEEPS7_SP_SP_NSC_11hip_rocprim7__merge17predicate_wrapperIyyNSC_4lessIyEEEEEE10hipError_tPvRmT0_T1_T2_T3_T4_T5_mmT6_P12ihipStream_tbEUlT_E0_NS1_11comp_targetILNS1_3genE4ELNS1_11target_archE910ELNS1_3gpuE8ELNS1_3repE0EEENS1_30default_config_static_selectorELNS0_4arch9wavefront6targetE0EEEvS10_.num_agpr, 0
	.set _ZN7rocprim17ROCPRIM_400000_NS6detail17trampoline_kernelINS0_14default_configENS1_21merge_config_selectorINS0_5tupleIJyyEEENS0_10empty_typeEEEZNS1_10merge_implIS3_NS0_12zip_iteratorINS5_IJN6thrust23THRUST_200600_302600_NS6detail15normal_iteratorINSC_10device_ptrIKyEEEESI_EEEEESK_NSA_INS5_IJNSE_INSF_IyEEEESM_EEEEEPS7_SP_SP_NSC_11hip_rocprim7__merge17predicate_wrapperIyyNSC_4lessIyEEEEEE10hipError_tPvRmT0_T1_T2_T3_T4_T5_mmT6_P12ihipStream_tbEUlT_E0_NS1_11comp_targetILNS1_3genE4ELNS1_11target_archE910ELNS1_3gpuE8ELNS1_3repE0EEENS1_30default_config_static_selectorELNS0_4arch9wavefront6targetE0EEEvS10_.numbered_sgpr, 0
	.set _ZN7rocprim17ROCPRIM_400000_NS6detail17trampoline_kernelINS0_14default_configENS1_21merge_config_selectorINS0_5tupleIJyyEEENS0_10empty_typeEEEZNS1_10merge_implIS3_NS0_12zip_iteratorINS5_IJN6thrust23THRUST_200600_302600_NS6detail15normal_iteratorINSC_10device_ptrIKyEEEESI_EEEEESK_NSA_INS5_IJNSE_INSF_IyEEEESM_EEEEEPS7_SP_SP_NSC_11hip_rocprim7__merge17predicate_wrapperIyyNSC_4lessIyEEEEEE10hipError_tPvRmT0_T1_T2_T3_T4_T5_mmT6_P12ihipStream_tbEUlT_E0_NS1_11comp_targetILNS1_3genE4ELNS1_11target_archE910ELNS1_3gpuE8ELNS1_3repE0EEENS1_30default_config_static_selectorELNS0_4arch9wavefront6targetE0EEEvS10_.num_named_barrier, 0
	.set _ZN7rocprim17ROCPRIM_400000_NS6detail17trampoline_kernelINS0_14default_configENS1_21merge_config_selectorINS0_5tupleIJyyEEENS0_10empty_typeEEEZNS1_10merge_implIS3_NS0_12zip_iteratorINS5_IJN6thrust23THRUST_200600_302600_NS6detail15normal_iteratorINSC_10device_ptrIKyEEEESI_EEEEESK_NSA_INS5_IJNSE_INSF_IyEEEESM_EEEEEPS7_SP_SP_NSC_11hip_rocprim7__merge17predicate_wrapperIyyNSC_4lessIyEEEEEE10hipError_tPvRmT0_T1_T2_T3_T4_T5_mmT6_P12ihipStream_tbEUlT_E0_NS1_11comp_targetILNS1_3genE4ELNS1_11target_archE910ELNS1_3gpuE8ELNS1_3repE0EEENS1_30default_config_static_selectorELNS0_4arch9wavefront6targetE0EEEvS10_.private_seg_size, 0
	.set _ZN7rocprim17ROCPRIM_400000_NS6detail17trampoline_kernelINS0_14default_configENS1_21merge_config_selectorINS0_5tupleIJyyEEENS0_10empty_typeEEEZNS1_10merge_implIS3_NS0_12zip_iteratorINS5_IJN6thrust23THRUST_200600_302600_NS6detail15normal_iteratorINSC_10device_ptrIKyEEEESI_EEEEESK_NSA_INS5_IJNSE_INSF_IyEEEESM_EEEEEPS7_SP_SP_NSC_11hip_rocprim7__merge17predicate_wrapperIyyNSC_4lessIyEEEEEE10hipError_tPvRmT0_T1_T2_T3_T4_T5_mmT6_P12ihipStream_tbEUlT_E0_NS1_11comp_targetILNS1_3genE4ELNS1_11target_archE910ELNS1_3gpuE8ELNS1_3repE0EEENS1_30default_config_static_selectorELNS0_4arch9wavefront6targetE0EEEvS10_.uses_vcc, 0
	.set _ZN7rocprim17ROCPRIM_400000_NS6detail17trampoline_kernelINS0_14default_configENS1_21merge_config_selectorINS0_5tupleIJyyEEENS0_10empty_typeEEEZNS1_10merge_implIS3_NS0_12zip_iteratorINS5_IJN6thrust23THRUST_200600_302600_NS6detail15normal_iteratorINSC_10device_ptrIKyEEEESI_EEEEESK_NSA_INS5_IJNSE_INSF_IyEEEESM_EEEEEPS7_SP_SP_NSC_11hip_rocprim7__merge17predicate_wrapperIyyNSC_4lessIyEEEEEE10hipError_tPvRmT0_T1_T2_T3_T4_T5_mmT6_P12ihipStream_tbEUlT_E0_NS1_11comp_targetILNS1_3genE4ELNS1_11target_archE910ELNS1_3gpuE8ELNS1_3repE0EEENS1_30default_config_static_selectorELNS0_4arch9wavefront6targetE0EEEvS10_.uses_flat_scratch, 0
	.set _ZN7rocprim17ROCPRIM_400000_NS6detail17trampoline_kernelINS0_14default_configENS1_21merge_config_selectorINS0_5tupleIJyyEEENS0_10empty_typeEEEZNS1_10merge_implIS3_NS0_12zip_iteratorINS5_IJN6thrust23THRUST_200600_302600_NS6detail15normal_iteratorINSC_10device_ptrIKyEEEESI_EEEEESK_NSA_INS5_IJNSE_INSF_IyEEEESM_EEEEEPS7_SP_SP_NSC_11hip_rocprim7__merge17predicate_wrapperIyyNSC_4lessIyEEEEEE10hipError_tPvRmT0_T1_T2_T3_T4_T5_mmT6_P12ihipStream_tbEUlT_E0_NS1_11comp_targetILNS1_3genE4ELNS1_11target_archE910ELNS1_3gpuE8ELNS1_3repE0EEENS1_30default_config_static_selectorELNS0_4arch9wavefront6targetE0EEEvS10_.has_dyn_sized_stack, 0
	.set _ZN7rocprim17ROCPRIM_400000_NS6detail17trampoline_kernelINS0_14default_configENS1_21merge_config_selectorINS0_5tupleIJyyEEENS0_10empty_typeEEEZNS1_10merge_implIS3_NS0_12zip_iteratorINS5_IJN6thrust23THRUST_200600_302600_NS6detail15normal_iteratorINSC_10device_ptrIKyEEEESI_EEEEESK_NSA_INS5_IJNSE_INSF_IyEEEESM_EEEEEPS7_SP_SP_NSC_11hip_rocprim7__merge17predicate_wrapperIyyNSC_4lessIyEEEEEE10hipError_tPvRmT0_T1_T2_T3_T4_T5_mmT6_P12ihipStream_tbEUlT_E0_NS1_11comp_targetILNS1_3genE4ELNS1_11target_archE910ELNS1_3gpuE8ELNS1_3repE0EEENS1_30default_config_static_selectorELNS0_4arch9wavefront6targetE0EEEvS10_.has_recursion, 0
	.set _ZN7rocprim17ROCPRIM_400000_NS6detail17trampoline_kernelINS0_14default_configENS1_21merge_config_selectorINS0_5tupleIJyyEEENS0_10empty_typeEEEZNS1_10merge_implIS3_NS0_12zip_iteratorINS5_IJN6thrust23THRUST_200600_302600_NS6detail15normal_iteratorINSC_10device_ptrIKyEEEESI_EEEEESK_NSA_INS5_IJNSE_INSF_IyEEEESM_EEEEEPS7_SP_SP_NSC_11hip_rocprim7__merge17predicate_wrapperIyyNSC_4lessIyEEEEEE10hipError_tPvRmT0_T1_T2_T3_T4_T5_mmT6_P12ihipStream_tbEUlT_E0_NS1_11comp_targetILNS1_3genE4ELNS1_11target_archE910ELNS1_3gpuE8ELNS1_3repE0EEENS1_30default_config_static_selectorELNS0_4arch9wavefront6targetE0EEEvS10_.has_indirect_call, 0
	.section	.AMDGPU.csdata,"",@progbits
; Kernel info:
; codeLenInByte = 0
; TotalNumSgprs: 0
; NumVgprs: 0
; ScratchSize: 0
; MemoryBound: 0
; FloatMode: 240
; IeeeMode: 1
; LDSByteSize: 0 bytes/workgroup (compile time only)
; SGPRBlocks: 0
; VGPRBlocks: 0
; NumSGPRsForWavesPerEU: 1
; NumVGPRsForWavesPerEU: 1
; NamedBarCnt: 0
; Occupancy: 16
; WaveLimiterHint : 0
; COMPUTE_PGM_RSRC2:SCRATCH_EN: 0
; COMPUTE_PGM_RSRC2:USER_SGPR: 2
; COMPUTE_PGM_RSRC2:TRAP_HANDLER: 0
; COMPUTE_PGM_RSRC2:TGID_X_EN: 1
; COMPUTE_PGM_RSRC2:TGID_Y_EN: 0
; COMPUTE_PGM_RSRC2:TGID_Z_EN: 0
; COMPUTE_PGM_RSRC2:TIDIG_COMP_CNT: 0
	.section	.text._ZN7rocprim17ROCPRIM_400000_NS6detail17trampoline_kernelINS0_14default_configENS1_21merge_config_selectorINS0_5tupleIJyyEEENS0_10empty_typeEEEZNS1_10merge_implIS3_NS0_12zip_iteratorINS5_IJN6thrust23THRUST_200600_302600_NS6detail15normal_iteratorINSC_10device_ptrIKyEEEESI_EEEEESK_NSA_INS5_IJNSE_INSF_IyEEEESM_EEEEEPS7_SP_SP_NSC_11hip_rocprim7__merge17predicate_wrapperIyyNSC_4lessIyEEEEEE10hipError_tPvRmT0_T1_T2_T3_T4_T5_mmT6_P12ihipStream_tbEUlT_E0_NS1_11comp_targetILNS1_3genE3ELNS1_11target_archE908ELNS1_3gpuE7ELNS1_3repE0EEENS1_30default_config_static_selectorELNS0_4arch9wavefront6targetE0EEEvS10_,"axG",@progbits,_ZN7rocprim17ROCPRIM_400000_NS6detail17trampoline_kernelINS0_14default_configENS1_21merge_config_selectorINS0_5tupleIJyyEEENS0_10empty_typeEEEZNS1_10merge_implIS3_NS0_12zip_iteratorINS5_IJN6thrust23THRUST_200600_302600_NS6detail15normal_iteratorINSC_10device_ptrIKyEEEESI_EEEEESK_NSA_INS5_IJNSE_INSF_IyEEEESM_EEEEEPS7_SP_SP_NSC_11hip_rocprim7__merge17predicate_wrapperIyyNSC_4lessIyEEEEEE10hipError_tPvRmT0_T1_T2_T3_T4_T5_mmT6_P12ihipStream_tbEUlT_E0_NS1_11comp_targetILNS1_3genE3ELNS1_11target_archE908ELNS1_3gpuE7ELNS1_3repE0EEENS1_30default_config_static_selectorELNS0_4arch9wavefront6targetE0EEEvS10_,comdat
	.protected	_ZN7rocprim17ROCPRIM_400000_NS6detail17trampoline_kernelINS0_14default_configENS1_21merge_config_selectorINS0_5tupleIJyyEEENS0_10empty_typeEEEZNS1_10merge_implIS3_NS0_12zip_iteratorINS5_IJN6thrust23THRUST_200600_302600_NS6detail15normal_iteratorINSC_10device_ptrIKyEEEESI_EEEEESK_NSA_INS5_IJNSE_INSF_IyEEEESM_EEEEEPS7_SP_SP_NSC_11hip_rocprim7__merge17predicate_wrapperIyyNSC_4lessIyEEEEEE10hipError_tPvRmT0_T1_T2_T3_T4_T5_mmT6_P12ihipStream_tbEUlT_E0_NS1_11comp_targetILNS1_3genE3ELNS1_11target_archE908ELNS1_3gpuE7ELNS1_3repE0EEENS1_30default_config_static_selectorELNS0_4arch9wavefront6targetE0EEEvS10_ ; -- Begin function _ZN7rocprim17ROCPRIM_400000_NS6detail17trampoline_kernelINS0_14default_configENS1_21merge_config_selectorINS0_5tupleIJyyEEENS0_10empty_typeEEEZNS1_10merge_implIS3_NS0_12zip_iteratorINS5_IJN6thrust23THRUST_200600_302600_NS6detail15normal_iteratorINSC_10device_ptrIKyEEEESI_EEEEESK_NSA_INS5_IJNSE_INSF_IyEEEESM_EEEEEPS7_SP_SP_NSC_11hip_rocprim7__merge17predicate_wrapperIyyNSC_4lessIyEEEEEE10hipError_tPvRmT0_T1_T2_T3_T4_T5_mmT6_P12ihipStream_tbEUlT_E0_NS1_11comp_targetILNS1_3genE3ELNS1_11target_archE908ELNS1_3gpuE7ELNS1_3repE0EEENS1_30default_config_static_selectorELNS0_4arch9wavefront6targetE0EEEvS10_
	.globl	_ZN7rocprim17ROCPRIM_400000_NS6detail17trampoline_kernelINS0_14default_configENS1_21merge_config_selectorINS0_5tupleIJyyEEENS0_10empty_typeEEEZNS1_10merge_implIS3_NS0_12zip_iteratorINS5_IJN6thrust23THRUST_200600_302600_NS6detail15normal_iteratorINSC_10device_ptrIKyEEEESI_EEEEESK_NSA_INS5_IJNSE_INSF_IyEEEESM_EEEEEPS7_SP_SP_NSC_11hip_rocprim7__merge17predicate_wrapperIyyNSC_4lessIyEEEEEE10hipError_tPvRmT0_T1_T2_T3_T4_T5_mmT6_P12ihipStream_tbEUlT_E0_NS1_11comp_targetILNS1_3genE3ELNS1_11target_archE908ELNS1_3gpuE7ELNS1_3repE0EEENS1_30default_config_static_selectorELNS0_4arch9wavefront6targetE0EEEvS10_
	.p2align	8
	.type	_ZN7rocprim17ROCPRIM_400000_NS6detail17trampoline_kernelINS0_14default_configENS1_21merge_config_selectorINS0_5tupleIJyyEEENS0_10empty_typeEEEZNS1_10merge_implIS3_NS0_12zip_iteratorINS5_IJN6thrust23THRUST_200600_302600_NS6detail15normal_iteratorINSC_10device_ptrIKyEEEESI_EEEEESK_NSA_INS5_IJNSE_INSF_IyEEEESM_EEEEEPS7_SP_SP_NSC_11hip_rocprim7__merge17predicate_wrapperIyyNSC_4lessIyEEEEEE10hipError_tPvRmT0_T1_T2_T3_T4_T5_mmT6_P12ihipStream_tbEUlT_E0_NS1_11comp_targetILNS1_3genE3ELNS1_11target_archE908ELNS1_3gpuE7ELNS1_3repE0EEENS1_30default_config_static_selectorELNS0_4arch9wavefront6targetE0EEEvS10_,@function
_ZN7rocprim17ROCPRIM_400000_NS6detail17trampoline_kernelINS0_14default_configENS1_21merge_config_selectorINS0_5tupleIJyyEEENS0_10empty_typeEEEZNS1_10merge_implIS3_NS0_12zip_iteratorINS5_IJN6thrust23THRUST_200600_302600_NS6detail15normal_iteratorINSC_10device_ptrIKyEEEESI_EEEEESK_NSA_INS5_IJNSE_INSF_IyEEEESM_EEEEEPS7_SP_SP_NSC_11hip_rocprim7__merge17predicate_wrapperIyyNSC_4lessIyEEEEEE10hipError_tPvRmT0_T1_T2_T3_T4_T5_mmT6_P12ihipStream_tbEUlT_E0_NS1_11comp_targetILNS1_3genE3ELNS1_11target_archE908ELNS1_3gpuE7ELNS1_3repE0EEENS1_30default_config_static_selectorELNS0_4arch9wavefront6targetE0EEEvS10_: ; @_ZN7rocprim17ROCPRIM_400000_NS6detail17trampoline_kernelINS0_14default_configENS1_21merge_config_selectorINS0_5tupleIJyyEEENS0_10empty_typeEEEZNS1_10merge_implIS3_NS0_12zip_iteratorINS5_IJN6thrust23THRUST_200600_302600_NS6detail15normal_iteratorINSC_10device_ptrIKyEEEESI_EEEEESK_NSA_INS5_IJNSE_INSF_IyEEEESM_EEEEEPS7_SP_SP_NSC_11hip_rocprim7__merge17predicate_wrapperIyyNSC_4lessIyEEEEEE10hipError_tPvRmT0_T1_T2_T3_T4_T5_mmT6_P12ihipStream_tbEUlT_E0_NS1_11comp_targetILNS1_3genE3ELNS1_11target_archE908ELNS1_3gpuE7ELNS1_3repE0EEENS1_30default_config_static_selectorELNS0_4arch9wavefront6targetE0EEEvS10_
; %bb.0:
	.section	.rodata,"a",@progbits
	.p2align	6, 0x0
	.amdhsa_kernel _ZN7rocprim17ROCPRIM_400000_NS6detail17trampoline_kernelINS0_14default_configENS1_21merge_config_selectorINS0_5tupleIJyyEEENS0_10empty_typeEEEZNS1_10merge_implIS3_NS0_12zip_iteratorINS5_IJN6thrust23THRUST_200600_302600_NS6detail15normal_iteratorINSC_10device_ptrIKyEEEESI_EEEEESK_NSA_INS5_IJNSE_INSF_IyEEEESM_EEEEEPS7_SP_SP_NSC_11hip_rocprim7__merge17predicate_wrapperIyyNSC_4lessIyEEEEEE10hipError_tPvRmT0_T1_T2_T3_T4_T5_mmT6_P12ihipStream_tbEUlT_E0_NS1_11comp_targetILNS1_3genE3ELNS1_11target_archE908ELNS1_3gpuE7ELNS1_3repE0EEENS1_30default_config_static_selectorELNS0_4arch9wavefront6targetE0EEEvS10_
		.amdhsa_group_segment_fixed_size 0
		.amdhsa_private_segment_fixed_size 0
		.amdhsa_kernarg_size 112
		.amdhsa_user_sgpr_count 2
		.amdhsa_user_sgpr_dispatch_ptr 0
		.amdhsa_user_sgpr_queue_ptr 0
		.amdhsa_user_sgpr_kernarg_segment_ptr 1
		.amdhsa_user_sgpr_dispatch_id 0
		.amdhsa_user_sgpr_kernarg_preload_length 0
		.amdhsa_user_sgpr_kernarg_preload_offset 0
		.amdhsa_user_sgpr_private_segment_size 0
		.amdhsa_wavefront_size32 1
		.amdhsa_uses_dynamic_stack 0
		.amdhsa_enable_private_segment 0
		.amdhsa_system_sgpr_workgroup_id_x 1
		.amdhsa_system_sgpr_workgroup_id_y 0
		.amdhsa_system_sgpr_workgroup_id_z 0
		.amdhsa_system_sgpr_workgroup_info 0
		.amdhsa_system_vgpr_workitem_id 0
		.amdhsa_next_free_vgpr 1
		.amdhsa_next_free_sgpr 1
		.amdhsa_named_barrier_count 0
		.amdhsa_reserve_vcc 0
		.amdhsa_float_round_mode_32 0
		.amdhsa_float_round_mode_16_64 0
		.amdhsa_float_denorm_mode_32 3
		.amdhsa_float_denorm_mode_16_64 3
		.amdhsa_fp16_overflow 0
		.amdhsa_memory_ordered 1
		.amdhsa_forward_progress 1
		.amdhsa_inst_pref_size 0
		.amdhsa_round_robin_scheduling 0
		.amdhsa_exception_fp_ieee_invalid_op 0
		.amdhsa_exception_fp_denorm_src 0
		.amdhsa_exception_fp_ieee_div_zero 0
		.amdhsa_exception_fp_ieee_overflow 0
		.amdhsa_exception_fp_ieee_underflow 0
		.amdhsa_exception_fp_ieee_inexact 0
		.amdhsa_exception_int_div_zero 0
	.end_amdhsa_kernel
	.section	.text._ZN7rocprim17ROCPRIM_400000_NS6detail17trampoline_kernelINS0_14default_configENS1_21merge_config_selectorINS0_5tupleIJyyEEENS0_10empty_typeEEEZNS1_10merge_implIS3_NS0_12zip_iteratorINS5_IJN6thrust23THRUST_200600_302600_NS6detail15normal_iteratorINSC_10device_ptrIKyEEEESI_EEEEESK_NSA_INS5_IJNSE_INSF_IyEEEESM_EEEEEPS7_SP_SP_NSC_11hip_rocprim7__merge17predicate_wrapperIyyNSC_4lessIyEEEEEE10hipError_tPvRmT0_T1_T2_T3_T4_T5_mmT6_P12ihipStream_tbEUlT_E0_NS1_11comp_targetILNS1_3genE3ELNS1_11target_archE908ELNS1_3gpuE7ELNS1_3repE0EEENS1_30default_config_static_selectorELNS0_4arch9wavefront6targetE0EEEvS10_,"axG",@progbits,_ZN7rocprim17ROCPRIM_400000_NS6detail17trampoline_kernelINS0_14default_configENS1_21merge_config_selectorINS0_5tupleIJyyEEENS0_10empty_typeEEEZNS1_10merge_implIS3_NS0_12zip_iteratorINS5_IJN6thrust23THRUST_200600_302600_NS6detail15normal_iteratorINSC_10device_ptrIKyEEEESI_EEEEESK_NSA_INS5_IJNSE_INSF_IyEEEESM_EEEEEPS7_SP_SP_NSC_11hip_rocprim7__merge17predicate_wrapperIyyNSC_4lessIyEEEEEE10hipError_tPvRmT0_T1_T2_T3_T4_T5_mmT6_P12ihipStream_tbEUlT_E0_NS1_11comp_targetILNS1_3genE3ELNS1_11target_archE908ELNS1_3gpuE7ELNS1_3repE0EEENS1_30default_config_static_selectorELNS0_4arch9wavefront6targetE0EEEvS10_,comdat
.Lfunc_end108:
	.size	_ZN7rocprim17ROCPRIM_400000_NS6detail17trampoline_kernelINS0_14default_configENS1_21merge_config_selectorINS0_5tupleIJyyEEENS0_10empty_typeEEEZNS1_10merge_implIS3_NS0_12zip_iteratorINS5_IJN6thrust23THRUST_200600_302600_NS6detail15normal_iteratorINSC_10device_ptrIKyEEEESI_EEEEESK_NSA_INS5_IJNSE_INSF_IyEEEESM_EEEEEPS7_SP_SP_NSC_11hip_rocprim7__merge17predicate_wrapperIyyNSC_4lessIyEEEEEE10hipError_tPvRmT0_T1_T2_T3_T4_T5_mmT6_P12ihipStream_tbEUlT_E0_NS1_11comp_targetILNS1_3genE3ELNS1_11target_archE908ELNS1_3gpuE7ELNS1_3repE0EEENS1_30default_config_static_selectorELNS0_4arch9wavefront6targetE0EEEvS10_, .Lfunc_end108-_ZN7rocprim17ROCPRIM_400000_NS6detail17trampoline_kernelINS0_14default_configENS1_21merge_config_selectorINS0_5tupleIJyyEEENS0_10empty_typeEEEZNS1_10merge_implIS3_NS0_12zip_iteratorINS5_IJN6thrust23THRUST_200600_302600_NS6detail15normal_iteratorINSC_10device_ptrIKyEEEESI_EEEEESK_NSA_INS5_IJNSE_INSF_IyEEEESM_EEEEEPS7_SP_SP_NSC_11hip_rocprim7__merge17predicate_wrapperIyyNSC_4lessIyEEEEEE10hipError_tPvRmT0_T1_T2_T3_T4_T5_mmT6_P12ihipStream_tbEUlT_E0_NS1_11comp_targetILNS1_3genE3ELNS1_11target_archE908ELNS1_3gpuE7ELNS1_3repE0EEENS1_30default_config_static_selectorELNS0_4arch9wavefront6targetE0EEEvS10_
                                        ; -- End function
	.set _ZN7rocprim17ROCPRIM_400000_NS6detail17trampoline_kernelINS0_14default_configENS1_21merge_config_selectorINS0_5tupleIJyyEEENS0_10empty_typeEEEZNS1_10merge_implIS3_NS0_12zip_iteratorINS5_IJN6thrust23THRUST_200600_302600_NS6detail15normal_iteratorINSC_10device_ptrIKyEEEESI_EEEEESK_NSA_INS5_IJNSE_INSF_IyEEEESM_EEEEEPS7_SP_SP_NSC_11hip_rocprim7__merge17predicate_wrapperIyyNSC_4lessIyEEEEEE10hipError_tPvRmT0_T1_T2_T3_T4_T5_mmT6_P12ihipStream_tbEUlT_E0_NS1_11comp_targetILNS1_3genE3ELNS1_11target_archE908ELNS1_3gpuE7ELNS1_3repE0EEENS1_30default_config_static_selectorELNS0_4arch9wavefront6targetE0EEEvS10_.num_vgpr, 0
	.set _ZN7rocprim17ROCPRIM_400000_NS6detail17trampoline_kernelINS0_14default_configENS1_21merge_config_selectorINS0_5tupleIJyyEEENS0_10empty_typeEEEZNS1_10merge_implIS3_NS0_12zip_iteratorINS5_IJN6thrust23THRUST_200600_302600_NS6detail15normal_iteratorINSC_10device_ptrIKyEEEESI_EEEEESK_NSA_INS5_IJNSE_INSF_IyEEEESM_EEEEEPS7_SP_SP_NSC_11hip_rocprim7__merge17predicate_wrapperIyyNSC_4lessIyEEEEEE10hipError_tPvRmT0_T1_T2_T3_T4_T5_mmT6_P12ihipStream_tbEUlT_E0_NS1_11comp_targetILNS1_3genE3ELNS1_11target_archE908ELNS1_3gpuE7ELNS1_3repE0EEENS1_30default_config_static_selectorELNS0_4arch9wavefront6targetE0EEEvS10_.num_agpr, 0
	.set _ZN7rocprim17ROCPRIM_400000_NS6detail17trampoline_kernelINS0_14default_configENS1_21merge_config_selectorINS0_5tupleIJyyEEENS0_10empty_typeEEEZNS1_10merge_implIS3_NS0_12zip_iteratorINS5_IJN6thrust23THRUST_200600_302600_NS6detail15normal_iteratorINSC_10device_ptrIKyEEEESI_EEEEESK_NSA_INS5_IJNSE_INSF_IyEEEESM_EEEEEPS7_SP_SP_NSC_11hip_rocprim7__merge17predicate_wrapperIyyNSC_4lessIyEEEEEE10hipError_tPvRmT0_T1_T2_T3_T4_T5_mmT6_P12ihipStream_tbEUlT_E0_NS1_11comp_targetILNS1_3genE3ELNS1_11target_archE908ELNS1_3gpuE7ELNS1_3repE0EEENS1_30default_config_static_selectorELNS0_4arch9wavefront6targetE0EEEvS10_.numbered_sgpr, 0
	.set _ZN7rocprim17ROCPRIM_400000_NS6detail17trampoline_kernelINS0_14default_configENS1_21merge_config_selectorINS0_5tupleIJyyEEENS0_10empty_typeEEEZNS1_10merge_implIS3_NS0_12zip_iteratorINS5_IJN6thrust23THRUST_200600_302600_NS6detail15normal_iteratorINSC_10device_ptrIKyEEEESI_EEEEESK_NSA_INS5_IJNSE_INSF_IyEEEESM_EEEEEPS7_SP_SP_NSC_11hip_rocprim7__merge17predicate_wrapperIyyNSC_4lessIyEEEEEE10hipError_tPvRmT0_T1_T2_T3_T4_T5_mmT6_P12ihipStream_tbEUlT_E0_NS1_11comp_targetILNS1_3genE3ELNS1_11target_archE908ELNS1_3gpuE7ELNS1_3repE0EEENS1_30default_config_static_selectorELNS0_4arch9wavefront6targetE0EEEvS10_.num_named_barrier, 0
	.set _ZN7rocprim17ROCPRIM_400000_NS6detail17trampoline_kernelINS0_14default_configENS1_21merge_config_selectorINS0_5tupleIJyyEEENS0_10empty_typeEEEZNS1_10merge_implIS3_NS0_12zip_iteratorINS5_IJN6thrust23THRUST_200600_302600_NS6detail15normal_iteratorINSC_10device_ptrIKyEEEESI_EEEEESK_NSA_INS5_IJNSE_INSF_IyEEEESM_EEEEEPS7_SP_SP_NSC_11hip_rocprim7__merge17predicate_wrapperIyyNSC_4lessIyEEEEEE10hipError_tPvRmT0_T1_T2_T3_T4_T5_mmT6_P12ihipStream_tbEUlT_E0_NS1_11comp_targetILNS1_3genE3ELNS1_11target_archE908ELNS1_3gpuE7ELNS1_3repE0EEENS1_30default_config_static_selectorELNS0_4arch9wavefront6targetE0EEEvS10_.private_seg_size, 0
	.set _ZN7rocprim17ROCPRIM_400000_NS6detail17trampoline_kernelINS0_14default_configENS1_21merge_config_selectorINS0_5tupleIJyyEEENS0_10empty_typeEEEZNS1_10merge_implIS3_NS0_12zip_iteratorINS5_IJN6thrust23THRUST_200600_302600_NS6detail15normal_iteratorINSC_10device_ptrIKyEEEESI_EEEEESK_NSA_INS5_IJNSE_INSF_IyEEEESM_EEEEEPS7_SP_SP_NSC_11hip_rocprim7__merge17predicate_wrapperIyyNSC_4lessIyEEEEEE10hipError_tPvRmT0_T1_T2_T3_T4_T5_mmT6_P12ihipStream_tbEUlT_E0_NS1_11comp_targetILNS1_3genE3ELNS1_11target_archE908ELNS1_3gpuE7ELNS1_3repE0EEENS1_30default_config_static_selectorELNS0_4arch9wavefront6targetE0EEEvS10_.uses_vcc, 0
	.set _ZN7rocprim17ROCPRIM_400000_NS6detail17trampoline_kernelINS0_14default_configENS1_21merge_config_selectorINS0_5tupleIJyyEEENS0_10empty_typeEEEZNS1_10merge_implIS3_NS0_12zip_iteratorINS5_IJN6thrust23THRUST_200600_302600_NS6detail15normal_iteratorINSC_10device_ptrIKyEEEESI_EEEEESK_NSA_INS5_IJNSE_INSF_IyEEEESM_EEEEEPS7_SP_SP_NSC_11hip_rocprim7__merge17predicate_wrapperIyyNSC_4lessIyEEEEEE10hipError_tPvRmT0_T1_T2_T3_T4_T5_mmT6_P12ihipStream_tbEUlT_E0_NS1_11comp_targetILNS1_3genE3ELNS1_11target_archE908ELNS1_3gpuE7ELNS1_3repE0EEENS1_30default_config_static_selectorELNS0_4arch9wavefront6targetE0EEEvS10_.uses_flat_scratch, 0
	.set _ZN7rocprim17ROCPRIM_400000_NS6detail17trampoline_kernelINS0_14default_configENS1_21merge_config_selectorINS0_5tupleIJyyEEENS0_10empty_typeEEEZNS1_10merge_implIS3_NS0_12zip_iteratorINS5_IJN6thrust23THRUST_200600_302600_NS6detail15normal_iteratorINSC_10device_ptrIKyEEEESI_EEEEESK_NSA_INS5_IJNSE_INSF_IyEEEESM_EEEEEPS7_SP_SP_NSC_11hip_rocprim7__merge17predicate_wrapperIyyNSC_4lessIyEEEEEE10hipError_tPvRmT0_T1_T2_T3_T4_T5_mmT6_P12ihipStream_tbEUlT_E0_NS1_11comp_targetILNS1_3genE3ELNS1_11target_archE908ELNS1_3gpuE7ELNS1_3repE0EEENS1_30default_config_static_selectorELNS0_4arch9wavefront6targetE0EEEvS10_.has_dyn_sized_stack, 0
	.set _ZN7rocprim17ROCPRIM_400000_NS6detail17trampoline_kernelINS0_14default_configENS1_21merge_config_selectorINS0_5tupleIJyyEEENS0_10empty_typeEEEZNS1_10merge_implIS3_NS0_12zip_iteratorINS5_IJN6thrust23THRUST_200600_302600_NS6detail15normal_iteratorINSC_10device_ptrIKyEEEESI_EEEEESK_NSA_INS5_IJNSE_INSF_IyEEEESM_EEEEEPS7_SP_SP_NSC_11hip_rocprim7__merge17predicate_wrapperIyyNSC_4lessIyEEEEEE10hipError_tPvRmT0_T1_T2_T3_T4_T5_mmT6_P12ihipStream_tbEUlT_E0_NS1_11comp_targetILNS1_3genE3ELNS1_11target_archE908ELNS1_3gpuE7ELNS1_3repE0EEENS1_30default_config_static_selectorELNS0_4arch9wavefront6targetE0EEEvS10_.has_recursion, 0
	.set _ZN7rocprim17ROCPRIM_400000_NS6detail17trampoline_kernelINS0_14default_configENS1_21merge_config_selectorINS0_5tupleIJyyEEENS0_10empty_typeEEEZNS1_10merge_implIS3_NS0_12zip_iteratorINS5_IJN6thrust23THRUST_200600_302600_NS6detail15normal_iteratorINSC_10device_ptrIKyEEEESI_EEEEESK_NSA_INS5_IJNSE_INSF_IyEEEESM_EEEEEPS7_SP_SP_NSC_11hip_rocprim7__merge17predicate_wrapperIyyNSC_4lessIyEEEEEE10hipError_tPvRmT0_T1_T2_T3_T4_T5_mmT6_P12ihipStream_tbEUlT_E0_NS1_11comp_targetILNS1_3genE3ELNS1_11target_archE908ELNS1_3gpuE7ELNS1_3repE0EEENS1_30default_config_static_selectorELNS0_4arch9wavefront6targetE0EEEvS10_.has_indirect_call, 0
	.section	.AMDGPU.csdata,"",@progbits
; Kernel info:
; codeLenInByte = 0
; TotalNumSgprs: 0
; NumVgprs: 0
; ScratchSize: 0
; MemoryBound: 0
; FloatMode: 240
; IeeeMode: 1
; LDSByteSize: 0 bytes/workgroup (compile time only)
; SGPRBlocks: 0
; VGPRBlocks: 0
; NumSGPRsForWavesPerEU: 1
; NumVGPRsForWavesPerEU: 1
; NamedBarCnt: 0
; Occupancy: 16
; WaveLimiterHint : 0
; COMPUTE_PGM_RSRC2:SCRATCH_EN: 0
; COMPUTE_PGM_RSRC2:USER_SGPR: 2
; COMPUTE_PGM_RSRC2:TRAP_HANDLER: 0
; COMPUTE_PGM_RSRC2:TGID_X_EN: 1
; COMPUTE_PGM_RSRC2:TGID_Y_EN: 0
; COMPUTE_PGM_RSRC2:TGID_Z_EN: 0
; COMPUTE_PGM_RSRC2:TIDIG_COMP_CNT: 0
	.section	.text._ZN7rocprim17ROCPRIM_400000_NS6detail17trampoline_kernelINS0_14default_configENS1_21merge_config_selectorINS0_5tupleIJyyEEENS0_10empty_typeEEEZNS1_10merge_implIS3_NS0_12zip_iteratorINS5_IJN6thrust23THRUST_200600_302600_NS6detail15normal_iteratorINSC_10device_ptrIKyEEEESI_EEEEESK_NSA_INS5_IJNSE_INSF_IyEEEESM_EEEEEPS7_SP_SP_NSC_11hip_rocprim7__merge17predicate_wrapperIyyNSC_4lessIyEEEEEE10hipError_tPvRmT0_T1_T2_T3_T4_T5_mmT6_P12ihipStream_tbEUlT_E0_NS1_11comp_targetILNS1_3genE2ELNS1_11target_archE906ELNS1_3gpuE6ELNS1_3repE0EEENS1_30default_config_static_selectorELNS0_4arch9wavefront6targetE0EEEvS10_,"axG",@progbits,_ZN7rocprim17ROCPRIM_400000_NS6detail17trampoline_kernelINS0_14default_configENS1_21merge_config_selectorINS0_5tupleIJyyEEENS0_10empty_typeEEEZNS1_10merge_implIS3_NS0_12zip_iteratorINS5_IJN6thrust23THRUST_200600_302600_NS6detail15normal_iteratorINSC_10device_ptrIKyEEEESI_EEEEESK_NSA_INS5_IJNSE_INSF_IyEEEESM_EEEEEPS7_SP_SP_NSC_11hip_rocprim7__merge17predicate_wrapperIyyNSC_4lessIyEEEEEE10hipError_tPvRmT0_T1_T2_T3_T4_T5_mmT6_P12ihipStream_tbEUlT_E0_NS1_11comp_targetILNS1_3genE2ELNS1_11target_archE906ELNS1_3gpuE6ELNS1_3repE0EEENS1_30default_config_static_selectorELNS0_4arch9wavefront6targetE0EEEvS10_,comdat
	.protected	_ZN7rocprim17ROCPRIM_400000_NS6detail17trampoline_kernelINS0_14default_configENS1_21merge_config_selectorINS0_5tupleIJyyEEENS0_10empty_typeEEEZNS1_10merge_implIS3_NS0_12zip_iteratorINS5_IJN6thrust23THRUST_200600_302600_NS6detail15normal_iteratorINSC_10device_ptrIKyEEEESI_EEEEESK_NSA_INS5_IJNSE_INSF_IyEEEESM_EEEEEPS7_SP_SP_NSC_11hip_rocprim7__merge17predicate_wrapperIyyNSC_4lessIyEEEEEE10hipError_tPvRmT0_T1_T2_T3_T4_T5_mmT6_P12ihipStream_tbEUlT_E0_NS1_11comp_targetILNS1_3genE2ELNS1_11target_archE906ELNS1_3gpuE6ELNS1_3repE0EEENS1_30default_config_static_selectorELNS0_4arch9wavefront6targetE0EEEvS10_ ; -- Begin function _ZN7rocprim17ROCPRIM_400000_NS6detail17trampoline_kernelINS0_14default_configENS1_21merge_config_selectorINS0_5tupleIJyyEEENS0_10empty_typeEEEZNS1_10merge_implIS3_NS0_12zip_iteratorINS5_IJN6thrust23THRUST_200600_302600_NS6detail15normal_iteratorINSC_10device_ptrIKyEEEESI_EEEEESK_NSA_INS5_IJNSE_INSF_IyEEEESM_EEEEEPS7_SP_SP_NSC_11hip_rocprim7__merge17predicate_wrapperIyyNSC_4lessIyEEEEEE10hipError_tPvRmT0_T1_T2_T3_T4_T5_mmT6_P12ihipStream_tbEUlT_E0_NS1_11comp_targetILNS1_3genE2ELNS1_11target_archE906ELNS1_3gpuE6ELNS1_3repE0EEENS1_30default_config_static_selectorELNS0_4arch9wavefront6targetE0EEEvS10_
	.globl	_ZN7rocprim17ROCPRIM_400000_NS6detail17trampoline_kernelINS0_14default_configENS1_21merge_config_selectorINS0_5tupleIJyyEEENS0_10empty_typeEEEZNS1_10merge_implIS3_NS0_12zip_iteratorINS5_IJN6thrust23THRUST_200600_302600_NS6detail15normal_iteratorINSC_10device_ptrIKyEEEESI_EEEEESK_NSA_INS5_IJNSE_INSF_IyEEEESM_EEEEEPS7_SP_SP_NSC_11hip_rocprim7__merge17predicate_wrapperIyyNSC_4lessIyEEEEEE10hipError_tPvRmT0_T1_T2_T3_T4_T5_mmT6_P12ihipStream_tbEUlT_E0_NS1_11comp_targetILNS1_3genE2ELNS1_11target_archE906ELNS1_3gpuE6ELNS1_3repE0EEENS1_30default_config_static_selectorELNS0_4arch9wavefront6targetE0EEEvS10_
	.p2align	8
	.type	_ZN7rocprim17ROCPRIM_400000_NS6detail17trampoline_kernelINS0_14default_configENS1_21merge_config_selectorINS0_5tupleIJyyEEENS0_10empty_typeEEEZNS1_10merge_implIS3_NS0_12zip_iteratorINS5_IJN6thrust23THRUST_200600_302600_NS6detail15normal_iteratorINSC_10device_ptrIKyEEEESI_EEEEESK_NSA_INS5_IJNSE_INSF_IyEEEESM_EEEEEPS7_SP_SP_NSC_11hip_rocprim7__merge17predicate_wrapperIyyNSC_4lessIyEEEEEE10hipError_tPvRmT0_T1_T2_T3_T4_T5_mmT6_P12ihipStream_tbEUlT_E0_NS1_11comp_targetILNS1_3genE2ELNS1_11target_archE906ELNS1_3gpuE6ELNS1_3repE0EEENS1_30default_config_static_selectorELNS0_4arch9wavefront6targetE0EEEvS10_,@function
_ZN7rocprim17ROCPRIM_400000_NS6detail17trampoline_kernelINS0_14default_configENS1_21merge_config_selectorINS0_5tupleIJyyEEENS0_10empty_typeEEEZNS1_10merge_implIS3_NS0_12zip_iteratorINS5_IJN6thrust23THRUST_200600_302600_NS6detail15normal_iteratorINSC_10device_ptrIKyEEEESI_EEEEESK_NSA_INS5_IJNSE_INSF_IyEEEESM_EEEEEPS7_SP_SP_NSC_11hip_rocprim7__merge17predicate_wrapperIyyNSC_4lessIyEEEEEE10hipError_tPvRmT0_T1_T2_T3_T4_T5_mmT6_P12ihipStream_tbEUlT_E0_NS1_11comp_targetILNS1_3genE2ELNS1_11target_archE906ELNS1_3gpuE6ELNS1_3repE0EEENS1_30default_config_static_selectorELNS0_4arch9wavefront6targetE0EEEvS10_: ; @_ZN7rocprim17ROCPRIM_400000_NS6detail17trampoline_kernelINS0_14default_configENS1_21merge_config_selectorINS0_5tupleIJyyEEENS0_10empty_typeEEEZNS1_10merge_implIS3_NS0_12zip_iteratorINS5_IJN6thrust23THRUST_200600_302600_NS6detail15normal_iteratorINSC_10device_ptrIKyEEEESI_EEEEESK_NSA_INS5_IJNSE_INSF_IyEEEESM_EEEEEPS7_SP_SP_NSC_11hip_rocprim7__merge17predicate_wrapperIyyNSC_4lessIyEEEEEE10hipError_tPvRmT0_T1_T2_T3_T4_T5_mmT6_P12ihipStream_tbEUlT_E0_NS1_11comp_targetILNS1_3genE2ELNS1_11target_archE906ELNS1_3gpuE6ELNS1_3repE0EEENS1_30default_config_static_selectorELNS0_4arch9wavefront6targetE0EEEvS10_
; %bb.0:
	.section	.rodata,"a",@progbits
	.p2align	6, 0x0
	.amdhsa_kernel _ZN7rocprim17ROCPRIM_400000_NS6detail17trampoline_kernelINS0_14default_configENS1_21merge_config_selectorINS0_5tupleIJyyEEENS0_10empty_typeEEEZNS1_10merge_implIS3_NS0_12zip_iteratorINS5_IJN6thrust23THRUST_200600_302600_NS6detail15normal_iteratorINSC_10device_ptrIKyEEEESI_EEEEESK_NSA_INS5_IJNSE_INSF_IyEEEESM_EEEEEPS7_SP_SP_NSC_11hip_rocprim7__merge17predicate_wrapperIyyNSC_4lessIyEEEEEE10hipError_tPvRmT0_T1_T2_T3_T4_T5_mmT6_P12ihipStream_tbEUlT_E0_NS1_11comp_targetILNS1_3genE2ELNS1_11target_archE906ELNS1_3gpuE6ELNS1_3repE0EEENS1_30default_config_static_selectorELNS0_4arch9wavefront6targetE0EEEvS10_
		.amdhsa_group_segment_fixed_size 0
		.amdhsa_private_segment_fixed_size 0
		.amdhsa_kernarg_size 112
		.amdhsa_user_sgpr_count 2
		.amdhsa_user_sgpr_dispatch_ptr 0
		.amdhsa_user_sgpr_queue_ptr 0
		.amdhsa_user_sgpr_kernarg_segment_ptr 1
		.amdhsa_user_sgpr_dispatch_id 0
		.amdhsa_user_sgpr_kernarg_preload_length 0
		.amdhsa_user_sgpr_kernarg_preload_offset 0
		.amdhsa_user_sgpr_private_segment_size 0
		.amdhsa_wavefront_size32 1
		.amdhsa_uses_dynamic_stack 0
		.amdhsa_enable_private_segment 0
		.amdhsa_system_sgpr_workgroup_id_x 1
		.amdhsa_system_sgpr_workgroup_id_y 0
		.amdhsa_system_sgpr_workgroup_id_z 0
		.amdhsa_system_sgpr_workgroup_info 0
		.amdhsa_system_vgpr_workitem_id 0
		.amdhsa_next_free_vgpr 1
		.amdhsa_next_free_sgpr 1
		.amdhsa_named_barrier_count 0
		.amdhsa_reserve_vcc 0
		.amdhsa_float_round_mode_32 0
		.amdhsa_float_round_mode_16_64 0
		.amdhsa_float_denorm_mode_32 3
		.amdhsa_float_denorm_mode_16_64 3
		.amdhsa_fp16_overflow 0
		.amdhsa_memory_ordered 1
		.amdhsa_forward_progress 1
		.amdhsa_inst_pref_size 0
		.amdhsa_round_robin_scheduling 0
		.amdhsa_exception_fp_ieee_invalid_op 0
		.amdhsa_exception_fp_denorm_src 0
		.amdhsa_exception_fp_ieee_div_zero 0
		.amdhsa_exception_fp_ieee_overflow 0
		.amdhsa_exception_fp_ieee_underflow 0
		.amdhsa_exception_fp_ieee_inexact 0
		.amdhsa_exception_int_div_zero 0
	.end_amdhsa_kernel
	.section	.text._ZN7rocprim17ROCPRIM_400000_NS6detail17trampoline_kernelINS0_14default_configENS1_21merge_config_selectorINS0_5tupleIJyyEEENS0_10empty_typeEEEZNS1_10merge_implIS3_NS0_12zip_iteratorINS5_IJN6thrust23THRUST_200600_302600_NS6detail15normal_iteratorINSC_10device_ptrIKyEEEESI_EEEEESK_NSA_INS5_IJNSE_INSF_IyEEEESM_EEEEEPS7_SP_SP_NSC_11hip_rocprim7__merge17predicate_wrapperIyyNSC_4lessIyEEEEEE10hipError_tPvRmT0_T1_T2_T3_T4_T5_mmT6_P12ihipStream_tbEUlT_E0_NS1_11comp_targetILNS1_3genE2ELNS1_11target_archE906ELNS1_3gpuE6ELNS1_3repE0EEENS1_30default_config_static_selectorELNS0_4arch9wavefront6targetE0EEEvS10_,"axG",@progbits,_ZN7rocprim17ROCPRIM_400000_NS6detail17trampoline_kernelINS0_14default_configENS1_21merge_config_selectorINS0_5tupleIJyyEEENS0_10empty_typeEEEZNS1_10merge_implIS3_NS0_12zip_iteratorINS5_IJN6thrust23THRUST_200600_302600_NS6detail15normal_iteratorINSC_10device_ptrIKyEEEESI_EEEEESK_NSA_INS5_IJNSE_INSF_IyEEEESM_EEEEEPS7_SP_SP_NSC_11hip_rocprim7__merge17predicate_wrapperIyyNSC_4lessIyEEEEEE10hipError_tPvRmT0_T1_T2_T3_T4_T5_mmT6_P12ihipStream_tbEUlT_E0_NS1_11comp_targetILNS1_3genE2ELNS1_11target_archE906ELNS1_3gpuE6ELNS1_3repE0EEENS1_30default_config_static_selectorELNS0_4arch9wavefront6targetE0EEEvS10_,comdat
.Lfunc_end109:
	.size	_ZN7rocprim17ROCPRIM_400000_NS6detail17trampoline_kernelINS0_14default_configENS1_21merge_config_selectorINS0_5tupleIJyyEEENS0_10empty_typeEEEZNS1_10merge_implIS3_NS0_12zip_iteratorINS5_IJN6thrust23THRUST_200600_302600_NS6detail15normal_iteratorINSC_10device_ptrIKyEEEESI_EEEEESK_NSA_INS5_IJNSE_INSF_IyEEEESM_EEEEEPS7_SP_SP_NSC_11hip_rocprim7__merge17predicate_wrapperIyyNSC_4lessIyEEEEEE10hipError_tPvRmT0_T1_T2_T3_T4_T5_mmT6_P12ihipStream_tbEUlT_E0_NS1_11comp_targetILNS1_3genE2ELNS1_11target_archE906ELNS1_3gpuE6ELNS1_3repE0EEENS1_30default_config_static_selectorELNS0_4arch9wavefront6targetE0EEEvS10_, .Lfunc_end109-_ZN7rocprim17ROCPRIM_400000_NS6detail17trampoline_kernelINS0_14default_configENS1_21merge_config_selectorINS0_5tupleIJyyEEENS0_10empty_typeEEEZNS1_10merge_implIS3_NS0_12zip_iteratorINS5_IJN6thrust23THRUST_200600_302600_NS6detail15normal_iteratorINSC_10device_ptrIKyEEEESI_EEEEESK_NSA_INS5_IJNSE_INSF_IyEEEESM_EEEEEPS7_SP_SP_NSC_11hip_rocprim7__merge17predicate_wrapperIyyNSC_4lessIyEEEEEE10hipError_tPvRmT0_T1_T2_T3_T4_T5_mmT6_P12ihipStream_tbEUlT_E0_NS1_11comp_targetILNS1_3genE2ELNS1_11target_archE906ELNS1_3gpuE6ELNS1_3repE0EEENS1_30default_config_static_selectorELNS0_4arch9wavefront6targetE0EEEvS10_
                                        ; -- End function
	.set _ZN7rocprim17ROCPRIM_400000_NS6detail17trampoline_kernelINS0_14default_configENS1_21merge_config_selectorINS0_5tupleIJyyEEENS0_10empty_typeEEEZNS1_10merge_implIS3_NS0_12zip_iteratorINS5_IJN6thrust23THRUST_200600_302600_NS6detail15normal_iteratorINSC_10device_ptrIKyEEEESI_EEEEESK_NSA_INS5_IJNSE_INSF_IyEEEESM_EEEEEPS7_SP_SP_NSC_11hip_rocprim7__merge17predicate_wrapperIyyNSC_4lessIyEEEEEE10hipError_tPvRmT0_T1_T2_T3_T4_T5_mmT6_P12ihipStream_tbEUlT_E0_NS1_11comp_targetILNS1_3genE2ELNS1_11target_archE906ELNS1_3gpuE6ELNS1_3repE0EEENS1_30default_config_static_selectorELNS0_4arch9wavefront6targetE0EEEvS10_.num_vgpr, 0
	.set _ZN7rocprim17ROCPRIM_400000_NS6detail17trampoline_kernelINS0_14default_configENS1_21merge_config_selectorINS0_5tupleIJyyEEENS0_10empty_typeEEEZNS1_10merge_implIS3_NS0_12zip_iteratorINS5_IJN6thrust23THRUST_200600_302600_NS6detail15normal_iteratorINSC_10device_ptrIKyEEEESI_EEEEESK_NSA_INS5_IJNSE_INSF_IyEEEESM_EEEEEPS7_SP_SP_NSC_11hip_rocprim7__merge17predicate_wrapperIyyNSC_4lessIyEEEEEE10hipError_tPvRmT0_T1_T2_T3_T4_T5_mmT6_P12ihipStream_tbEUlT_E0_NS1_11comp_targetILNS1_3genE2ELNS1_11target_archE906ELNS1_3gpuE6ELNS1_3repE0EEENS1_30default_config_static_selectorELNS0_4arch9wavefront6targetE0EEEvS10_.num_agpr, 0
	.set _ZN7rocprim17ROCPRIM_400000_NS6detail17trampoline_kernelINS0_14default_configENS1_21merge_config_selectorINS0_5tupleIJyyEEENS0_10empty_typeEEEZNS1_10merge_implIS3_NS0_12zip_iteratorINS5_IJN6thrust23THRUST_200600_302600_NS6detail15normal_iteratorINSC_10device_ptrIKyEEEESI_EEEEESK_NSA_INS5_IJNSE_INSF_IyEEEESM_EEEEEPS7_SP_SP_NSC_11hip_rocprim7__merge17predicate_wrapperIyyNSC_4lessIyEEEEEE10hipError_tPvRmT0_T1_T2_T3_T4_T5_mmT6_P12ihipStream_tbEUlT_E0_NS1_11comp_targetILNS1_3genE2ELNS1_11target_archE906ELNS1_3gpuE6ELNS1_3repE0EEENS1_30default_config_static_selectorELNS0_4arch9wavefront6targetE0EEEvS10_.numbered_sgpr, 0
	.set _ZN7rocprim17ROCPRIM_400000_NS6detail17trampoline_kernelINS0_14default_configENS1_21merge_config_selectorINS0_5tupleIJyyEEENS0_10empty_typeEEEZNS1_10merge_implIS3_NS0_12zip_iteratorINS5_IJN6thrust23THRUST_200600_302600_NS6detail15normal_iteratorINSC_10device_ptrIKyEEEESI_EEEEESK_NSA_INS5_IJNSE_INSF_IyEEEESM_EEEEEPS7_SP_SP_NSC_11hip_rocprim7__merge17predicate_wrapperIyyNSC_4lessIyEEEEEE10hipError_tPvRmT0_T1_T2_T3_T4_T5_mmT6_P12ihipStream_tbEUlT_E0_NS1_11comp_targetILNS1_3genE2ELNS1_11target_archE906ELNS1_3gpuE6ELNS1_3repE0EEENS1_30default_config_static_selectorELNS0_4arch9wavefront6targetE0EEEvS10_.num_named_barrier, 0
	.set _ZN7rocprim17ROCPRIM_400000_NS6detail17trampoline_kernelINS0_14default_configENS1_21merge_config_selectorINS0_5tupleIJyyEEENS0_10empty_typeEEEZNS1_10merge_implIS3_NS0_12zip_iteratorINS5_IJN6thrust23THRUST_200600_302600_NS6detail15normal_iteratorINSC_10device_ptrIKyEEEESI_EEEEESK_NSA_INS5_IJNSE_INSF_IyEEEESM_EEEEEPS7_SP_SP_NSC_11hip_rocprim7__merge17predicate_wrapperIyyNSC_4lessIyEEEEEE10hipError_tPvRmT0_T1_T2_T3_T4_T5_mmT6_P12ihipStream_tbEUlT_E0_NS1_11comp_targetILNS1_3genE2ELNS1_11target_archE906ELNS1_3gpuE6ELNS1_3repE0EEENS1_30default_config_static_selectorELNS0_4arch9wavefront6targetE0EEEvS10_.private_seg_size, 0
	.set _ZN7rocprim17ROCPRIM_400000_NS6detail17trampoline_kernelINS0_14default_configENS1_21merge_config_selectorINS0_5tupleIJyyEEENS0_10empty_typeEEEZNS1_10merge_implIS3_NS0_12zip_iteratorINS5_IJN6thrust23THRUST_200600_302600_NS6detail15normal_iteratorINSC_10device_ptrIKyEEEESI_EEEEESK_NSA_INS5_IJNSE_INSF_IyEEEESM_EEEEEPS7_SP_SP_NSC_11hip_rocprim7__merge17predicate_wrapperIyyNSC_4lessIyEEEEEE10hipError_tPvRmT0_T1_T2_T3_T4_T5_mmT6_P12ihipStream_tbEUlT_E0_NS1_11comp_targetILNS1_3genE2ELNS1_11target_archE906ELNS1_3gpuE6ELNS1_3repE0EEENS1_30default_config_static_selectorELNS0_4arch9wavefront6targetE0EEEvS10_.uses_vcc, 0
	.set _ZN7rocprim17ROCPRIM_400000_NS6detail17trampoline_kernelINS0_14default_configENS1_21merge_config_selectorINS0_5tupleIJyyEEENS0_10empty_typeEEEZNS1_10merge_implIS3_NS0_12zip_iteratorINS5_IJN6thrust23THRUST_200600_302600_NS6detail15normal_iteratorINSC_10device_ptrIKyEEEESI_EEEEESK_NSA_INS5_IJNSE_INSF_IyEEEESM_EEEEEPS7_SP_SP_NSC_11hip_rocprim7__merge17predicate_wrapperIyyNSC_4lessIyEEEEEE10hipError_tPvRmT0_T1_T2_T3_T4_T5_mmT6_P12ihipStream_tbEUlT_E0_NS1_11comp_targetILNS1_3genE2ELNS1_11target_archE906ELNS1_3gpuE6ELNS1_3repE0EEENS1_30default_config_static_selectorELNS0_4arch9wavefront6targetE0EEEvS10_.uses_flat_scratch, 0
	.set _ZN7rocprim17ROCPRIM_400000_NS6detail17trampoline_kernelINS0_14default_configENS1_21merge_config_selectorINS0_5tupleIJyyEEENS0_10empty_typeEEEZNS1_10merge_implIS3_NS0_12zip_iteratorINS5_IJN6thrust23THRUST_200600_302600_NS6detail15normal_iteratorINSC_10device_ptrIKyEEEESI_EEEEESK_NSA_INS5_IJNSE_INSF_IyEEEESM_EEEEEPS7_SP_SP_NSC_11hip_rocprim7__merge17predicate_wrapperIyyNSC_4lessIyEEEEEE10hipError_tPvRmT0_T1_T2_T3_T4_T5_mmT6_P12ihipStream_tbEUlT_E0_NS1_11comp_targetILNS1_3genE2ELNS1_11target_archE906ELNS1_3gpuE6ELNS1_3repE0EEENS1_30default_config_static_selectorELNS0_4arch9wavefront6targetE0EEEvS10_.has_dyn_sized_stack, 0
	.set _ZN7rocprim17ROCPRIM_400000_NS6detail17trampoline_kernelINS0_14default_configENS1_21merge_config_selectorINS0_5tupleIJyyEEENS0_10empty_typeEEEZNS1_10merge_implIS3_NS0_12zip_iteratorINS5_IJN6thrust23THRUST_200600_302600_NS6detail15normal_iteratorINSC_10device_ptrIKyEEEESI_EEEEESK_NSA_INS5_IJNSE_INSF_IyEEEESM_EEEEEPS7_SP_SP_NSC_11hip_rocprim7__merge17predicate_wrapperIyyNSC_4lessIyEEEEEE10hipError_tPvRmT0_T1_T2_T3_T4_T5_mmT6_P12ihipStream_tbEUlT_E0_NS1_11comp_targetILNS1_3genE2ELNS1_11target_archE906ELNS1_3gpuE6ELNS1_3repE0EEENS1_30default_config_static_selectorELNS0_4arch9wavefront6targetE0EEEvS10_.has_recursion, 0
	.set _ZN7rocprim17ROCPRIM_400000_NS6detail17trampoline_kernelINS0_14default_configENS1_21merge_config_selectorINS0_5tupleIJyyEEENS0_10empty_typeEEEZNS1_10merge_implIS3_NS0_12zip_iteratorINS5_IJN6thrust23THRUST_200600_302600_NS6detail15normal_iteratorINSC_10device_ptrIKyEEEESI_EEEEESK_NSA_INS5_IJNSE_INSF_IyEEEESM_EEEEEPS7_SP_SP_NSC_11hip_rocprim7__merge17predicate_wrapperIyyNSC_4lessIyEEEEEE10hipError_tPvRmT0_T1_T2_T3_T4_T5_mmT6_P12ihipStream_tbEUlT_E0_NS1_11comp_targetILNS1_3genE2ELNS1_11target_archE906ELNS1_3gpuE6ELNS1_3repE0EEENS1_30default_config_static_selectorELNS0_4arch9wavefront6targetE0EEEvS10_.has_indirect_call, 0
	.section	.AMDGPU.csdata,"",@progbits
; Kernel info:
; codeLenInByte = 0
; TotalNumSgprs: 0
; NumVgprs: 0
; ScratchSize: 0
; MemoryBound: 0
; FloatMode: 240
; IeeeMode: 1
; LDSByteSize: 0 bytes/workgroup (compile time only)
; SGPRBlocks: 0
; VGPRBlocks: 0
; NumSGPRsForWavesPerEU: 1
; NumVGPRsForWavesPerEU: 1
; NamedBarCnt: 0
; Occupancy: 16
; WaveLimiterHint : 0
; COMPUTE_PGM_RSRC2:SCRATCH_EN: 0
; COMPUTE_PGM_RSRC2:USER_SGPR: 2
; COMPUTE_PGM_RSRC2:TRAP_HANDLER: 0
; COMPUTE_PGM_RSRC2:TGID_X_EN: 1
; COMPUTE_PGM_RSRC2:TGID_Y_EN: 0
; COMPUTE_PGM_RSRC2:TGID_Z_EN: 0
; COMPUTE_PGM_RSRC2:TIDIG_COMP_CNT: 0
	.section	.text._ZN7rocprim17ROCPRIM_400000_NS6detail17trampoline_kernelINS0_14default_configENS1_21merge_config_selectorINS0_5tupleIJyyEEENS0_10empty_typeEEEZNS1_10merge_implIS3_NS0_12zip_iteratorINS5_IJN6thrust23THRUST_200600_302600_NS6detail15normal_iteratorINSC_10device_ptrIKyEEEESI_EEEEESK_NSA_INS5_IJNSE_INSF_IyEEEESM_EEEEEPS7_SP_SP_NSC_11hip_rocprim7__merge17predicate_wrapperIyyNSC_4lessIyEEEEEE10hipError_tPvRmT0_T1_T2_T3_T4_T5_mmT6_P12ihipStream_tbEUlT_E0_NS1_11comp_targetILNS1_3genE10ELNS1_11target_archE1201ELNS1_3gpuE5ELNS1_3repE0EEENS1_30default_config_static_selectorELNS0_4arch9wavefront6targetE0EEEvS10_,"axG",@progbits,_ZN7rocprim17ROCPRIM_400000_NS6detail17trampoline_kernelINS0_14default_configENS1_21merge_config_selectorINS0_5tupleIJyyEEENS0_10empty_typeEEEZNS1_10merge_implIS3_NS0_12zip_iteratorINS5_IJN6thrust23THRUST_200600_302600_NS6detail15normal_iteratorINSC_10device_ptrIKyEEEESI_EEEEESK_NSA_INS5_IJNSE_INSF_IyEEEESM_EEEEEPS7_SP_SP_NSC_11hip_rocprim7__merge17predicate_wrapperIyyNSC_4lessIyEEEEEE10hipError_tPvRmT0_T1_T2_T3_T4_T5_mmT6_P12ihipStream_tbEUlT_E0_NS1_11comp_targetILNS1_3genE10ELNS1_11target_archE1201ELNS1_3gpuE5ELNS1_3repE0EEENS1_30default_config_static_selectorELNS0_4arch9wavefront6targetE0EEEvS10_,comdat
	.protected	_ZN7rocprim17ROCPRIM_400000_NS6detail17trampoline_kernelINS0_14default_configENS1_21merge_config_selectorINS0_5tupleIJyyEEENS0_10empty_typeEEEZNS1_10merge_implIS3_NS0_12zip_iteratorINS5_IJN6thrust23THRUST_200600_302600_NS6detail15normal_iteratorINSC_10device_ptrIKyEEEESI_EEEEESK_NSA_INS5_IJNSE_INSF_IyEEEESM_EEEEEPS7_SP_SP_NSC_11hip_rocprim7__merge17predicate_wrapperIyyNSC_4lessIyEEEEEE10hipError_tPvRmT0_T1_T2_T3_T4_T5_mmT6_P12ihipStream_tbEUlT_E0_NS1_11comp_targetILNS1_3genE10ELNS1_11target_archE1201ELNS1_3gpuE5ELNS1_3repE0EEENS1_30default_config_static_selectorELNS0_4arch9wavefront6targetE0EEEvS10_ ; -- Begin function _ZN7rocprim17ROCPRIM_400000_NS6detail17trampoline_kernelINS0_14default_configENS1_21merge_config_selectorINS0_5tupleIJyyEEENS0_10empty_typeEEEZNS1_10merge_implIS3_NS0_12zip_iteratorINS5_IJN6thrust23THRUST_200600_302600_NS6detail15normal_iteratorINSC_10device_ptrIKyEEEESI_EEEEESK_NSA_INS5_IJNSE_INSF_IyEEEESM_EEEEEPS7_SP_SP_NSC_11hip_rocprim7__merge17predicate_wrapperIyyNSC_4lessIyEEEEEE10hipError_tPvRmT0_T1_T2_T3_T4_T5_mmT6_P12ihipStream_tbEUlT_E0_NS1_11comp_targetILNS1_3genE10ELNS1_11target_archE1201ELNS1_3gpuE5ELNS1_3repE0EEENS1_30default_config_static_selectorELNS0_4arch9wavefront6targetE0EEEvS10_
	.globl	_ZN7rocprim17ROCPRIM_400000_NS6detail17trampoline_kernelINS0_14default_configENS1_21merge_config_selectorINS0_5tupleIJyyEEENS0_10empty_typeEEEZNS1_10merge_implIS3_NS0_12zip_iteratorINS5_IJN6thrust23THRUST_200600_302600_NS6detail15normal_iteratorINSC_10device_ptrIKyEEEESI_EEEEESK_NSA_INS5_IJNSE_INSF_IyEEEESM_EEEEEPS7_SP_SP_NSC_11hip_rocprim7__merge17predicate_wrapperIyyNSC_4lessIyEEEEEE10hipError_tPvRmT0_T1_T2_T3_T4_T5_mmT6_P12ihipStream_tbEUlT_E0_NS1_11comp_targetILNS1_3genE10ELNS1_11target_archE1201ELNS1_3gpuE5ELNS1_3repE0EEENS1_30default_config_static_selectorELNS0_4arch9wavefront6targetE0EEEvS10_
	.p2align	8
	.type	_ZN7rocprim17ROCPRIM_400000_NS6detail17trampoline_kernelINS0_14default_configENS1_21merge_config_selectorINS0_5tupleIJyyEEENS0_10empty_typeEEEZNS1_10merge_implIS3_NS0_12zip_iteratorINS5_IJN6thrust23THRUST_200600_302600_NS6detail15normal_iteratorINSC_10device_ptrIKyEEEESI_EEEEESK_NSA_INS5_IJNSE_INSF_IyEEEESM_EEEEEPS7_SP_SP_NSC_11hip_rocprim7__merge17predicate_wrapperIyyNSC_4lessIyEEEEEE10hipError_tPvRmT0_T1_T2_T3_T4_T5_mmT6_P12ihipStream_tbEUlT_E0_NS1_11comp_targetILNS1_3genE10ELNS1_11target_archE1201ELNS1_3gpuE5ELNS1_3repE0EEENS1_30default_config_static_selectorELNS0_4arch9wavefront6targetE0EEEvS10_,@function
_ZN7rocprim17ROCPRIM_400000_NS6detail17trampoline_kernelINS0_14default_configENS1_21merge_config_selectorINS0_5tupleIJyyEEENS0_10empty_typeEEEZNS1_10merge_implIS3_NS0_12zip_iteratorINS5_IJN6thrust23THRUST_200600_302600_NS6detail15normal_iteratorINSC_10device_ptrIKyEEEESI_EEEEESK_NSA_INS5_IJNSE_INSF_IyEEEESM_EEEEEPS7_SP_SP_NSC_11hip_rocprim7__merge17predicate_wrapperIyyNSC_4lessIyEEEEEE10hipError_tPvRmT0_T1_T2_T3_T4_T5_mmT6_P12ihipStream_tbEUlT_E0_NS1_11comp_targetILNS1_3genE10ELNS1_11target_archE1201ELNS1_3gpuE5ELNS1_3repE0EEENS1_30default_config_static_selectorELNS0_4arch9wavefront6targetE0EEEvS10_: ; @_ZN7rocprim17ROCPRIM_400000_NS6detail17trampoline_kernelINS0_14default_configENS1_21merge_config_selectorINS0_5tupleIJyyEEENS0_10empty_typeEEEZNS1_10merge_implIS3_NS0_12zip_iteratorINS5_IJN6thrust23THRUST_200600_302600_NS6detail15normal_iteratorINSC_10device_ptrIKyEEEESI_EEEEESK_NSA_INS5_IJNSE_INSF_IyEEEESM_EEEEEPS7_SP_SP_NSC_11hip_rocprim7__merge17predicate_wrapperIyyNSC_4lessIyEEEEEE10hipError_tPvRmT0_T1_T2_T3_T4_T5_mmT6_P12ihipStream_tbEUlT_E0_NS1_11comp_targetILNS1_3genE10ELNS1_11target_archE1201ELNS1_3gpuE5ELNS1_3repE0EEENS1_30default_config_static_selectorELNS0_4arch9wavefront6targetE0EEEvS10_
; %bb.0:
	.section	.rodata,"a",@progbits
	.p2align	6, 0x0
	.amdhsa_kernel _ZN7rocprim17ROCPRIM_400000_NS6detail17trampoline_kernelINS0_14default_configENS1_21merge_config_selectorINS0_5tupleIJyyEEENS0_10empty_typeEEEZNS1_10merge_implIS3_NS0_12zip_iteratorINS5_IJN6thrust23THRUST_200600_302600_NS6detail15normal_iteratorINSC_10device_ptrIKyEEEESI_EEEEESK_NSA_INS5_IJNSE_INSF_IyEEEESM_EEEEEPS7_SP_SP_NSC_11hip_rocprim7__merge17predicate_wrapperIyyNSC_4lessIyEEEEEE10hipError_tPvRmT0_T1_T2_T3_T4_T5_mmT6_P12ihipStream_tbEUlT_E0_NS1_11comp_targetILNS1_3genE10ELNS1_11target_archE1201ELNS1_3gpuE5ELNS1_3repE0EEENS1_30default_config_static_selectorELNS0_4arch9wavefront6targetE0EEEvS10_
		.amdhsa_group_segment_fixed_size 0
		.amdhsa_private_segment_fixed_size 0
		.amdhsa_kernarg_size 112
		.amdhsa_user_sgpr_count 2
		.amdhsa_user_sgpr_dispatch_ptr 0
		.amdhsa_user_sgpr_queue_ptr 0
		.amdhsa_user_sgpr_kernarg_segment_ptr 1
		.amdhsa_user_sgpr_dispatch_id 0
		.amdhsa_user_sgpr_kernarg_preload_length 0
		.amdhsa_user_sgpr_kernarg_preload_offset 0
		.amdhsa_user_sgpr_private_segment_size 0
		.amdhsa_wavefront_size32 1
		.amdhsa_uses_dynamic_stack 0
		.amdhsa_enable_private_segment 0
		.amdhsa_system_sgpr_workgroup_id_x 1
		.amdhsa_system_sgpr_workgroup_id_y 0
		.amdhsa_system_sgpr_workgroup_id_z 0
		.amdhsa_system_sgpr_workgroup_info 0
		.amdhsa_system_vgpr_workitem_id 0
		.amdhsa_next_free_vgpr 1
		.amdhsa_next_free_sgpr 1
		.amdhsa_named_barrier_count 0
		.amdhsa_reserve_vcc 0
		.amdhsa_float_round_mode_32 0
		.amdhsa_float_round_mode_16_64 0
		.amdhsa_float_denorm_mode_32 3
		.amdhsa_float_denorm_mode_16_64 3
		.amdhsa_fp16_overflow 0
		.amdhsa_memory_ordered 1
		.amdhsa_forward_progress 1
		.amdhsa_inst_pref_size 0
		.amdhsa_round_robin_scheduling 0
		.amdhsa_exception_fp_ieee_invalid_op 0
		.amdhsa_exception_fp_denorm_src 0
		.amdhsa_exception_fp_ieee_div_zero 0
		.amdhsa_exception_fp_ieee_overflow 0
		.amdhsa_exception_fp_ieee_underflow 0
		.amdhsa_exception_fp_ieee_inexact 0
		.amdhsa_exception_int_div_zero 0
	.end_amdhsa_kernel
	.section	.text._ZN7rocprim17ROCPRIM_400000_NS6detail17trampoline_kernelINS0_14default_configENS1_21merge_config_selectorINS0_5tupleIJyyEEENS0_10empty_typeEEEZNS1_10merge_implIS3_NS0_12zip_iteratorINS5_IJN6thrust23THRUST_200600_302600_NS6detail15normal_iteratorINSC_10device_ptrIKyEEEESI_EEEEESK_NSA_INS5_IJNSE_INSF_IyEEEESM_EEEEEPS7_SP_SP_NSC_11hip_rocprim7__merge17predicate_wrapperIyyNSC_4lessIyEEEEEE10hipError_tPvRmT0_T1_T2_T3_T4_T5_mmT6_P12ihipStream_tbEUlT_E0_NS1_11comp_targetILNS1_3genE10ELNS1_11target_archE1201ELNS1_3gpuE5ELNS1_3repE0EEENS1_30default_config_static_selectorELNS0_4arch9wavefront6targetE0EEEvS10_,"axG",@progbits,_ZN7rocprim17ROCPRIM_400000_NS6detail17trampoline_kernelINS0_14default_configENS1_21merge_config_selectorINS0_5tupleIJyyEEENS0_10empty_typeEEEZNS1_10merge_implIS3_NS0_12zip_iteratorINS5_IJN6thrust23THRUST_200600_302600_NS6detail15normal_iteratorINSC_10device_ptrIKyEEEESI_EEEEESK_NSA_INS5_IJNSE_INSF_IyEEEESM_EEEEEPS7_SP_SP_NSC_11hip_rocprim7__merge17predicate_wrapperIyyNSC_4lessIyEEEEEE10hipError_tPvRmT0_T1_T2_T3_T4_T5_mmT6_P12ihipStream_tbEUlT_E0_NS1_11comp_targetILNS1_3genE10ELNS1_11target_archE1201ELNS1_3gpuE5ELNS1_3repE0EEENS1_30default_config_static_selectorELNS0_4arch9wavefront6targetE0EEEvS10_,comdat
.Lfunc_end110:
	.size	_ZN7rocprim17ROCPRIM_400000_NS6detail17trampoline_kernelINS0_14default_configENS1_21merge_config_selectorINS0_5tupleIJyyEEENS0_10empty_typeEEEZNS1_10merge_implIS3_NS0_12zip_iteratorINS5_IJN6thrust23THRUST_200600_302600_NS6detail15normal_iteratorINSC_10device_ptrIKyEEEESI_EEEEESK_NSA_INS5_IJNSE_INSF_IyEEEESM_EEEEEPS7_SP_SP_NSC_11hip_rocprim7__merge17predicate_wrapperIyyNSC_4lessIyEEEEEE10hipError_tPvRmT0_T1_T2_T3_T4_T5_mmT6_P12ihipStream_tbEUlT_E0_NS1_11comp_targetILNS1_3genE10ELNS1_11target_archE1201ELNS1_3gpuE5ELNS1_3repE0EEENS1_30default_config_static_selectorELNS0_4arch9wavefront6targetE0EEEvS10_, .Lfunc_end110-_ZN7rocprim17ROCPRIM_400000_NS6detail17trampoline_kernelINS0_14default_configENS1_21merge_config_selectorINS0_5tupleIJyyEEENS0_10empty_typeEEEZNS1_10merge_implIS3_NS0_12zip_iteratorINS5_IJN6thrust23THRUST_200600_302600_NS6detail15normal_iteratorINSC_10device_ptrIKyEEEESI_EEEEESK_NSA_INS5_IJNSE_INSF_IyEEEESM_EEEEEPS7_SP_SP_NSC_11hip_rocprim7__merge17predicate_wrapperIyyNSC_4lessIyEEEEEE10hipError_tPvRmT0_T1_T2_T3_T4_T5_mmT6_P12ihipStream_tbEUlT_E0_NS1_11comp_targetILNS1_3genE10ELNS1_11target_archE1201ELNS1_3gpuE5ELNS1_3repE0EEENS1_30default_config_static_selectorELNS0_4arch9wavefront6targetE0EEEvS10_
                                        ; -- End function
	.set _ZN7rocprim17ROCPRIM_400000_NS6detail17trampoline_kernelINS0_14default_configENS1_21merge_config_selectorINS0_5tupleIJyyEEENS0_10empty_typeEEEZNS1_10merge_implIS3_NS0_12zip_iteratorINS5_IJN6thrust23THRUST_200600_302600_NS6detail15normal_iteratorINSC_10device_ptrIKyEEEESI_EEEEESK_NSA_INS5_IJNSE_INSF_IyEEEESM_EEEEEPS7_SP_SP_NSC_11hip_rocprim7__merge17predicate_wrapperIyyNSC_4lessIyEEEEEE10hipError_tPvRmT0_T1_T2_T3_T4_T5_mmT6_P12ihipStream_tbEUlT_E0_NS1_11comp_targetILNS1_3genE10ELNS1_11target_archE1201ELNS1_3gpuE5ELNS1_3repE0EEENS1_30default_config_static_selectorELNS0_4arch9wavefront6targetE0EEEvS10_.num_vgpr, 0
	.set _ZN7rocprim17ROCPRIM_400000_NS6detail17trampoline_kernelINS0_14default_configENS1_21merge_config_selectorINS0_5tupleIJyyEEENS0_10empty_typeEEEZNS1_10merge_implIS3_NS0_12zip_iteratorINS5_IJN6thrust23THRUST_200600_302600_NS6detail15normal_iteratorINSC_10device_ptrIKyEEEESI_EEEEESK_NSA_INS5_IJNSE_INSF_IyEEEESM_EEEEEPS7_SP_SP_NSC_11hip_rocprim7__merge17predicate_wrapperIyyNSC_4lessIyEEEEEE10hipError_tPvRmT0_T1_T2_T3_T4_T5_mmT6_P12ihipStream_tbEUlT_E0_NS1_11comp_targetILNS1_3genE10ELNS1_11target_archE1201ELNS1_3gpuE5ELNS1_3repE0EEENS1_30default_config_static_selectorELNS0_4arch9wavefront6targetE0EEEvS10_.num_agpr, 0
	.set _ZN7rocprim17ROCPRIM_400000_NS6detail17trampoline_kernelINS0_14default_configENS1_21merge_config_selectorINS0_5tupleIJyyEEENS0_10empty_typeEEEZNS1_10merge_implIS3_NS0_12zip_iteratorINS5_IJN6thrust23THRUST_200600_302600_NS6detail15normal_iteratorINSC_10device_ptrIKyEEEESI_EEEEESK_NSA_INS5_IJNSE_INSF_IyEEEESM_EEEEEPS7_SP_SP_NSC_11hip_rocprim7__merge17predicate_wrapperIyyNSC_4lessIyEEEEEE10hipError_tPvRmT0_T1_T2_T3_T4_T5_mmT6_P12ihipStream_tbEUlT_E0_NS1_11comp_targetILNS1_3genE10ELNS1_11target_archE1201ELNS1_3gpuE5ELNS1_3repE0EEENS1_30default_config_static_selectorELNS0_4arch9wavefront6targetE0EEEvS10_.numbered_sgpr, 0
	.set _ZN7rocprim17ROCPRIM_400000_NS6detail17trampoline_kernelINS0_14default_configENS1_21merge_config_selectorINS0_5tupleIJyyEEENS0_10empty_typeEEEZNS1_10merge_implIS3_NS0_12zip_iteratorINS5_IJN6thrust23THRUST_200600_302600_NS6detail15normal_iteratorINSC_10device_ptrIKyEEEESI_EEEEESK_NSA_INS5_IJNSE_INSF_IyEEEESM_EEEEEPS7_SP_SP_NSC_11hip_rocprim7__merge17predicate_wrapperIyyNSC_4lessIyEEEEEE10hipError_tPvRmT0_T1_T2_T3_T4_T5_mmT6_P12ihipStream_tbEUlT_E0_NS1_11comp_targetILNS1_3genE10ELNS1_11target_archE1201ELNS1_3gpuE5ELNS1_3repE0EEENS1_30default_config_static_selectorELNS0_4arch9wavefront6targetE0EEEvS10_.num_named_barrier, 0
	.set _ZN7rocprim17ROCPRIM_400000_NS6detail17trampoline_kernelINS0_14default_configENS1_21merge_config_selectorINS0_5tupleIJyyEEENS0_10empty_typeEEEZNS1_10merge_implIS3_NS0_12zip_iteratorINS5_IJN6thrust23THRUST_200600_302600_NS6detail15normal_iteratorINSC_10device_ptrIKyEEEESI_EEEEESK_NSA_INS5_IJNSE_INSF_IyEEEESM_EEEEEPS7_SP_SP_NSC_11hip_rocprim7__merge17predicate_wrapperIyyNSC_4lessIyEEEEEE10hipError_tPvRmT0_T1_T2_T3_T4_T5_mmT6_P12ihipStream_tbEUlT_E0_NS1_11comp_targetILNS1_3genE10ELNS1_11target_archE1201ELNS1_3gpuE5ELNS1_3repE0EEENS1_30default_config_static_selectorELNS0_4arch9wavefront6targetE0EEEvS10_.private_seg_size, 0
	.set _ZN7rocprim17ROCPRIM_400000_NS6detail17trampoline_kernelINS0_14default_configENS1_21merge_config_selectorINS0_5tupleIJyyEEENS0_10empty_typeEEEZNS1_10merge_implIS3_NS0_12zip_iteratorINS5_IJN6thrust23THRUST_200600_302600_NS6detail15normal_iteratorINSC_10device_ptrIKyEEEESI_EEEEESK_NSA_INS5_IJNSE_INSF_IyEEEESM_EEEEEPS7_SP_SP_NSC_11hip_rocprim7__merge17predicate_wrapperIyyNSC_4lessIyEEEEEE10hipError_tPvRmT0_T1_T2_T3_T4_T5_mmT6_P12ihipStream_tbEUlT_E0_NS1_11comp_targetILNS1_3genE10ELNS1_11target_archE1201ELNS1_3gpuE5ELNS1_3repE0EEENS1_30default_config_static_selectorELNS0_4arch9wavefront6targetE0EEEvS10_.uses_vcc, 0
	.set _ZN7rocprim17ROCPRIM_400000_NS6detail17trampoline_kernelINS0_14default_configENS1_21merge_config_selectorINS0_5tupleIJyyEEENS0_10empty_typeEEEZNS1_10merge_implIS3_NS0_12zip_iteratorINS5_IJN6thrust23THRUST_200600_302600_NS6detail15normal_iteratorINSC_10device_ptrIKyEEEESI_EEEEESK_NSA_INS5_IJNSE_INSF_IyEEEESM_EEEEEPS7_SP_SP_NSC_11hip_rocprim7__merge17predicate_wrapperIyyNSC_4lessIyEEEEEE10hipError_tPvRmT0_T1_T2_T3_T4_T5_mmT6_P12ihipStream_tbEUlT_E0_NS1_11comp_targetILNS1_3genE10ELNS1_11target_archE1201ELNS1_3gpuE5ELNS1_3repE0EEENS1_30default_config_static_selectorELNS0_4arch9wavefront6targetE0EEEvS10_.uses_flat_scratch, 0
	.set _ZN7rocprim17ROCPRIM_400000_NS6detail17trampoline_kernelINS0_14default_configENS1_21merge_config_selectorINS0_5tupleIJyyEEENS0_10empty_typeEEEZNS1_10merge_implIS3_NS0_12zip_iteratorINS5_IJN6thrust23THRUST_200600_302600_NS6detail15normal_iteratorINSC_10device_ptrIKyEEEESI_EEEEESK_NSA_INS5_IJNSE_INSF_IyEEEESM_EEEEEPS7_SP_SP_NSC_11hip_rocprim7__merge17predicate_wrapperIyyNSC_4lessIyEEEEEE10hipError_tPvRmT0_T1_T2_T3_T4_T5_mmT6_P12ihipStream_tbEUlT_E0_NS1_11comp_targetILNS1_3genE10ELNS1_11target_archE1201ELNS1_3gpuE5ELNS1_3repE0EEENS1_30default_config_static_selectorELNS0_4arch9wavefront6targetE0EEEvS10_.has_dyn_sized_stack, 0
	.set _ZN7rocprim17ROCPRIM_400000_NS6detail17trampoline_kernelINS0_14default_configENS1_21merge_config_selectorINS0_5tupleIJyyEEENS0_10empty_typeEEEZNS1_10merge_implIS3_NS0_12zip_iteratorINS5_IJN6thrust23THRUST_200600_302600_NS6detail15normal_iteratorINSC_10device_ptrIKyEEEESI_EEEEESK_NSA_INS5_IJNSE_INSF_IyEEEESM_EEEEEPS7_SP_SP_NSC_11hip_rocprim7__merge17predicate_wrapperIyyNSC_4lessIyEEEEEE10hipError_tPvRmT0_T1_T2_T3_T4_T5_mmT6_P12ihipStream_tbEUlT_E0_NS1_11comp_targetILNS1_3genE10ELNS1_11target_archE1201ELNS1_3gpuE5ELNS1_3repE0EEENS1_30default_config_static_selectorELNS0_4arch9wavefront6targetE0EEEvS10_.has_recursion, 0
	.set _ZN7rocprim17ROCPRIM_400000_NS6detail17trampoline_kernelINS0_14default_configENS1_21merge_config_selectorINS0_5tupleIJyyEEENS0_10empty_typeEEEZNS1_10merge_implIS3_NS0_12zip_iteratorINS5_IJN6thrust23THRUST_200600_302600_NS6detail15normal_iteratorINSC_10device_ptrIKyEEEESI_EEEEESK_NSA_INS5_IJNSE_INSF_IyEEEESM_EEEEEPS7_SP_SP_NSC_11hip_rocprim7__merge17predicate_wrapperIyyNSC_4lessIyEEEEEE10hipError_tPvRmT0_T1_T2_T3_T4_T5_mmT6_P12ihipStream_tbEUlT_E0_NS1_11comp_targetILNS1_3genE10ELNS1_11target_archE1201ELNS1_3gpuE5ELNS1_3repE0EEENS1_30default_config_static_selectorELNS0_4arch9wavefront6targetE0EEEvS10_.has_indirect_call, 0
	.section	.AMDGPU.csdata,"",@progbits
; Kernel info:
; codeLenInByte = 0
; TotalNumSgprs: 0
; NumVgprs: 0
; ScratchSize: 0
; MemoryBound: 0
; FloatMode: 240
; IeeeMode: 1
; LDSByteSize: 0 bytes/workgroup (compile time only)
; SGPRBlocks: 0
; VGPRBlocks: 0
; NumSGPRsForWavesPerEU: 1
; NumVGPRsForWavesPerEU: 1
; NamedBarCnt: 0
; Occupancy: 16
; WaveLimiterHint : 0
; COMPUTE_PGM_RSRC2:SCRATCH_EN: 0
; COMPUTE_PGM_RSRC2:USER_SGPR: 2
; COMPUTE_PGM_RSRC2:TRAP_HANDLER: 0
; COMPUTE_PGM_RSRC2:TGID_X_EN: 1
; COMPUTE_PGM_RSRC2:TGID_Y_EN: 0
; COMPUTE_PGM_RSRC2:TGID_Z_EN: 0
; COMPUTE_PGM_RSRC2:TIDIG_COMP_CNT: 0
	.section	.text._ZN7rocprim17ROCPRIM_400000_NS6detail17trampoline_kernelINS0_14default_configENS1_21merge_config_selectorINS0_5tupleIJyyEEENS0_10empty_typeEEEZNS1_10merge_implIS3_NS0_12zip_iteratorINS5_IJN6thrust23THRUST_200600_302600_NS6detail15normal_iteratorINSC_10device_ptrIKyEEEESI_EEEEESK_NSA_INS5_IJNSE_INSF_IyEEEESM_EEEEEPS7_SP_SP_NSC_11hip_rocprim7__merge17predicate_wrapperIyyNSC_4lessIyEEEEEE10hipError_tPvRmT0_T1_T2_T3_T4_T5_mmT6_P12ihipStream_tbEUlT_E0_NS1_11comp_targetILNS1_3genE10ELNS1_11target_archE1200ELNS1_3gpuE4ELNS1_3repE0EEENS1_30default_config_static_selectorELNS0_4arch9wavefront6targetE0EEEvS10_,"axG",@progbits,_ZN7rocprim17ROCPRIM_400000_NS6detail17trampoline_kernelINS0_14default_configENS1_21merge_config_selectorINS0_5tupleIJyyEEENS0_10empty_typeEEEZNS1_10merge_implIS3_NS0_12zip_iteratorINS5_IJN6thrust23THRUST_200600_302600_NS6detail15normal_iteratorINSC_10device_ptrIKyEEEESI_EEEEESK_NSA_INS5_IJNSE_INSF_IyEEEESM_EEEEEPS7_SP_SP_NSC_11hip_rocprim7__merge17predicate_wrapperIyyNSC_4lessIyEEEEEE10hipError_tPvRmT0_T1_T2_T3_T4_T5_mmT6_P12ihipStream_tbEUlT_E0_NS1_11comp_targetILNS1_3genE10ELNS1_11target_archE1200ELNS1_3gpuE4ELNS1_3repE0EEENS1_30default_config_static_selectorELNS0_4arch9wavefront6targetE0EEEvS10_,comdat
	.protected	_ZN7rocprim17ROCPRIM_400000_NS6detail17trampoline_kernelINS0_14default_configENS1_21merge_config_selectorINS0_5tupleIJyyEEENS0_10empty_typeEEEZNS1_10merge_implIS3_NS0_12zip_iteratorINS5_IJN6thrust23THRUST_200600_302600_NS6detail15normal_iteratorINSC_10device_ptrIKyEEEESI_EEEEESK_NSA_INS5_IJNSE_INSF_IyEEEESM_EEEEEPS7_SP_SP_NSC_11hip_rocprim7__merge17predicate_wrapperIyyNSC_4lessIyEEEEEE10hipError_tPvRmT0_T1_T2_T3_T4_T5_mmT6_P12ihipStream_tbEUlT_E0_NS1_11comp_targetILNS1_3genE10ELNS1_11target_archE1200ELNS1_3gpuE4ELNS1_3repE0EEENS1_30default_config_static_selectorELNS0_4arch9wavefront6targetE0EEEvS10_ ; -- Begin function _ZN7rocprim17ROCPRIM_400000_NS6detail17trampoline_kernelINS0_14default_configENS1_21merge_config_selectorINS0_5tupleIJyyEEENS0_10empty_typeEEEZNS1_10merge_implIS3_NS0_12zip_iteratorINS5_IJN6thrust23THRUST_200600_302600_NS6detail15normal_iteratorINSC_10device_ptrIKyEEEESI_EEEEESK_NSA_INS5_IJNSE_INSF_IyEEEESM_EEEEEPS7_SP_SP_NSC_11hip_rocprim7__merge17predicate_wrapperIyyNSC_4lessIyEEEEEE10hipError_tPvRmT0_T1_T2_T3_T4_T5_mmT6_P12ihipStream_tbEUlT_E0_NS1_11comp_targetILNS1_3genE10ELNS1_11target_archE1200ELNS1_3gpuE4ELNS1_3repE0EEENS1_30default_config_static_selectorELNS0_4arch9wavefront6targetE0EEEvS10_
	.globl	_ZN7rocprim17ROCPRIM_400000_NS6detail17trampoline_kernelINS0_14default_configENS1_21merge_config_selectorINS0_5tupleIJyyEEENS0_10empty_typeEEEZNS1_10merge_implIS3_NS0_12zip_iteratorINS5_IJN6thrust23THRUST_200600_302600_NS6detail15normal_iteratorINSC_10device_ptrIKyEEEESI_EEEEESK_NSA_INS5_IJNSE_INSF_IyEEEESM_EEEEEPS7_SP_SP_NSC_11hip_rocprim7__merge17predicate_wrapperIyyNSC_4lessIyEEEEEE10hipError_tPvRmT0_T1_T2_T3_T4_T5_mmT6_P12ihipStream_tbEUlT_E0_NS1_11comp_targetILNS1_3genE10ELNS1_11target_archE1200ELNS1_3gpuE4ELNS1_3repE0EEENS1_30default_config_static_selectorELNS0_4arch9wavefront6targetE0EEEvS10_
	.p2align	8
	.type	_ZN7rocprim17ROCPRIM_400000_NS6detail17trampoline_kernelINS0_14default_configENS1_21merge_config_selectorINS0_5tupleIJyyEEENS0_10empty_typeEEEZNS1_10merge_implIS3_NS0_12zip_iteratorINS5_IJN6thrust23THRUST_200600_302600_NS6detail15normal_iteratorINSC_10device_ptrIKyEEEESI_EEEEESK_NSA_INS5_IJNSE_INSF_IyEEEESM_EEEEEPS7_SP_SP_NSC_11hip_rocprim7__merge17predicate_wrapperIyyNSC_4lessIyEEEEEE10hipError_tPvRmT0_T1_T2_T3_T4_T5_mmT6_P12ihipStream_tbEUlT_E0_NS1_11comp_targetILNS1_3genE10ELNS1_11target_archE1200ELNS1_3gpuE4ELNS1_3repE0EEENS1_30default_config_static_selectorELNS0_4arch9wavefront6targetE0EEEvS10_,@function
_ZN7rocprim17ROCPRIM_400000_NS6detail17trampoline_kernelINS0_14default_configENS1_21merge_config_selectorINS0_5tupleIJyyEEENS0_10empty_typeEEEZNS1_10merge_implIS3_NS0_12zip_iteratorINS5_IJN6thrust23THRUST_200600_302600_NS6detail15normal_iteratorINSC_10device_ptrIKyEEEESI_EEEEESK_NSA_INS5_IJNSE_INSF_IyEEEESM_EEEEEPS7_SP_SP_NSC_11hip_rocprim7__merge17predicate_wrapperIyyNSC_4lessIyEEEEEE10hipError_tPvRmT0_T1_T2_T3_T4_T5_mmT6_P12ihipStream_tbEUlT_E0_NS1_11comp_targetILNS1_3genE10ELNS1_11target_archE1200ELNS1_3gpuE4ELNS1_3repE0EEENS1_30default_config_static_selectorELNS0_4arch9wavefront6targetE0EEEvS10_: ; @_ZN7rocprim17ROCPRIM_400000_NS6detail17trampoline_kernelINS0_14default_configENS1_21merge_config_selectorINS0_5tupleIJyyEEENS0_10empty_typeEEEZNS1_10merge_implIS3_NS0_12zip_iteratorINS5_IJN6thrust23THRUST_200600_302600_NS6detail15normal_iteratorINSC_10device_ptrIKyEEEESI_EEEEESK_NSA_INS5_IJNSE_INSF_IyEEEESM_EEEEEPS7_SP_SP_NSC_11hip_rocprim7__merge17predicate_wrapperIyyNSC_4lessIyEEEEEE10hipError_tPvRmT0_T1_T2_T3_T4_T5_mmT6_P12ihipStream_tbEUlT_E0_NS1_11comp_targetILNS1_3genE10ELNS1_11target_archE1200ELNS1_3gpuE4ELNS1_3repE0EEENS1_30default_config_static_selectorELNS0_4arch9wavefront6targetE0EEEvS10_
; %bb.0:
	.section	.rodata,"a",@progbits
	.p2align	6, 0x0
	.amdhsa_kernel _ZN7rocprim17ROCPRIM_400000_NS6detail17trampoline_kernelINS0_14default_configENS1_21merge_config_selectorINS0_5tupleIJyyEEENS0_10empty_typeEEEZNS1_10merge_implIS3_NS0_12zip_iteratorINS5_IJN6thrust23THRUST_200600_302600_NS6detail15normal_iteratorINSC_10device_ptrIKyEEEESI_EEEEESK_NSA_INS5_IJNSE_INSF_IyEEEESM_EEEEEPS7_SP_SP_NSC_11hip_rocprim7__merge17predicate_wrapperIyyNSC_4lessIyEEEEEE10hipError_tPvRmT0_T1_T2_T3_T4_T5_mmT6_P12ihipStream_tbEUlT_E0_NS1_11comp_targetILNS1_3genE10ELNS1_11target_archE1200ELNS1_3gpuE4ELNS1_3repE0EEENS1_30default_config_static_selectorELNS0_4arch9wavefront6targetE0EEEvS10_
		.amdhsa_group_segment_fixed_size 0
		.amdhsa_private_segment_fixed_size 0
		.amdhsa_kernarg_size 112
		.amdhsa_user_sgpr_count 2
		.amdhsa_user_sgpr_dispatch_ptr 0
		.amdhsa_user_sgpr_queue_ptr 0
		.amdhsa_user_sgpr_kernarg_segment_ptr 1
		.amdhsa_user_sgpr_dispatch_id 0
		.amdhsa_user_sgpr_kernarg_preload_length 0
		.amdhsa_user_sgpr_kernarg_preload_offset 0
		.amdhsa_user_sgpr_private_segment_size 0
		.amdhsa_wavefront_size32 1
		.amdhsa_uses_dynamic_stack 0
		.amdhsa_enable_private_segment 0
		.amdhsa_system_sgpr_workgroup_id_x 1
		.amdhsa_system_sgpr_workgroup_id_y 0
		.amdhsa_system_sgpr_workgroup_id_z 0
		.amdhsa_system_sgpr_workgroup_info 0
		.amdhsa_system_vgpr_workitem_id 0
		.amdhsa_next_free_vgpr 1
		.amdhsa_next_free_sgpr 1
		.amdhsa_named_barrier_count 0
		.amdhsa_reserve_vcc 0
		.amdhsa_float_round_mode_32 0
		.amdhsa_float_round_mode_16_64 0
		.amdhsa_float_denorm_mode_32 3
		.amdhsa_float_denorm_mode_16_64 3
		.amdhsa_fp16_overflow 0
		.amdhsa_memory_ordered 1
		.amdhsa_forward_progress 1
		.amdhsa_inst_pref_size 0
		.amdhsa_round_robin_scheduling 0
		.amdhsa_exception_fp_ieee_invalid_op 0
		.amdhsa_exception_fp_denorm_src 0
		.amdhsa_exception_fp_ieee_div_zero 0
		.amdhsa_exception_fp_ieee_overflow 0
		.amdhsa_exception_fp_ieee_underflow 0
		.amdhsa_exception_fp_ieee_inexact 0
		.amdhsa_exception_int_div_zero 0
	.end_amdhsa_kernel
	.section	.text._ZN7rocprim17ROCPRIM_400000_NS6detail17trampoline_kernelINS0_14default_configENS1_21merge_config_selectorINS0_5tupleIJyyEEENS0_10empty_typeEEEZNS1_10merge_implIS3_NS0_12zip_iteratorINS5_IJN6thrust23THRUST_200600_302600_NS6detail15normal_iteratorINSC_10device_ptrIKyEEEESI_EEEEESK_NSA_INS5_IJNSE_INSF_IyEEEESM_EEEEEPS7_SP_SP_NSC_11hip_rocprim7__merge17predicate_wrapperIyyNSC_4lessIyEEEEEE10hipError_tPvRmT0_T1_T2_T3_T4_T5_mmT6_P12ihipStream_tbEUlT_E0_NS1_11comp_targetILNS1_3genE10ELNS1_11target_archE1200ELNS1_3gpuE4ELNS1_3repE0EEENS1_30default_config_static_selectorELNS0_4arch9wavefront6targetE0EEEvS10_,"axG",@progbits,_ZN7rocprim17ROCPRIM_400000_NS6detail17trampoline_kernelINS0_14default_configENS1_21merge_config_selectorINS0_5tupleIJyyEEENS0_10empty_typeEEEZNS1_10merge_implIS3_NS0_12zip_iteratorINS5_IJN6thrust23THRUST_200600_302600_NS6detail15normal_iteratorINSC_10device_ptrIKyEEEESI_EEEEESK_NSA_INS5_IJNSE_INSF_IyEEEESM_EEEEEPS7_SP_SP_NSC_11hip_rocprim7__merge17predicate_wrapperIyyNSC_4lessIyEEEEEE10hipError_tPvRmT0_T1_T2_T3_T4_T5_mmT6_P12ihipStream_tbEUlT_E0_NS1_11comp_targetILNS1_3genE10ELNS1_11target_archE1200ELNS1_3gpuE4ELNS1_3repE0EEENS1_30default_config_static_selectorELNS0_4arch9wavefront6targetE0EEEvS10_,comdat
.Lfunc_end111:
	.size	_ZN7rocprim17ROCPRIM_400000_NS6detail17trampoline_kernelINS0_14default_configENS1_21merge_config_selectorINS0_5tupleIJyyEEENS0_10empty_typeEEEZNS1_10merge_implIS3_NS0_12zip_iteratorINS5_IJN6thrust23THRUST_200600_302600_NS6detail15normal_iteratorINSC_10device_ptrIKyEEEESI_EEEEESK_NSA_INS5_IJNSE_INSF_IyEEEESM_EEEEEPS7_SP_SP_NSC_11hip_rocprim7__merge17predicate_wrapperIyyNSC_4lessIyEEEEEE10hipError_tPvRmT0_T1_T2_T3_T4_T5_mmT6_P12ihipStream_tbEUlT_E0_NS1_11comp_targetILNS1_3genE10ELNS1_11target_archE1200ELNS1_3gpuE4ELNS1_3repE0EEENS1_30default_config_static_selectorELNS0_4arch9wavefront6targetE0EEEvS10_, .Lfunc_end111-_ZN7rocprim17ROCPRIM_400000_NS6detail17trampoline_kernelINS0_14default_configENS1_21merge_config_selectorINS0_5tupleIJyyEEENS0_10empty_typeEEEZNS1_10merge_implIS3_NS0_12zip_iteratorINS5_IJN6thrust23THRUST_200600_302600_NS6detail15normal_iteratorINSC_10device_ptrIKyEEEESI_EEEEESK_NSA_INS5_IJNSE_INSF_IyEEEESM_EEEEEPS7_SP_SP_NSC_11hip_rocprim7__merge17predicate_wrapperIyyNSC_4lessIyEEEEEE10hipError_tPvRmT0_T1_T2_T3_T4_T5_mmT6_P12ihipStream_tbEUlT_E0_NS1_11comp_targetILNS1_3genE10ELNS1_11target_archE1200ELNS1_3gpuE4ELNS1_3repE0EEENS1_30default_config_static_selectorELNS0_4arch9wavefront6targetE0EEEvS10_
                                        ; -- End function
	.set _ZN7rocprim17ROCPRIM_400000_NS6detail17trampoline_kernelINS0_14default_configENS1_21merge_config_selectorINS0_5tupleIJyyEEENS0_10empty_typeEEEZNS1_10merge_implIS3_NS0_12zip_iteratorINS5_IJN6thrust23THRUST_200600_302600_NS6detail15normal_iteratorINSC_10device_ptrIKyEEEESI_EEEEESK_NSA_INS5_IJNSE_INSF_IyEEEESM_EEEEEPS7_SP_SP_NSC_11hip_rocprim7__merge17predicate_wrapperIyyNSC_4lessIyEEEEEE10hipError_tPvRmT0_T1_T2_T3_T4_T5_mmT6_P12ihipStream_tbEUlT_E0_NS1_11comp_targetILNS1_3genE10ELNS1_11target_archE1200ELNS1_3gpuE4ELNS1_3repE0EEENS1_30default_config_static_selectorELNS0_4arch9wavefront6targetE0EEEvS10_.num_vgpr, 0
	.set _ZN7rocprim17ROCPRIM_400000_NS6detail17trampoline_kernelINS0_14default_configENS1_21merge_config_selectorINS0_5tupleIJyyEEENS0_10empty_typeEEEZNS1_10merge_implIS3_NS0_12zip_iteratorINS5_IJN6thrust23THRUST_200600_302600_NS6detail15normal_iteratorINSC_10device_ptrIKyEEEESI_EEEEESK_NSA_INS5_IJNSE_INSF_IyEEEESM_EEEEEPS7_SP_SP_NSC_11hip_rocprim7__merge17predicate_wrapperIyyNSC_4lessIyEEEEEE10hipError_tPvRmT0_T1_T2_T3_T4_T5_mmT6_P12ihipStream_tbEUlT_E0_NS1_11comp_targetILNS1_3genE10ELNS1_11target_archE1200ELNS1_3gpuE4ELNS1_3repE0EEENS1_30default_config_static_selectorELNS0_4arch9wavefront6targetE0EEEvS10_.num_agpr, 0
	.set _ZN7rocprim17ROCPRIM_400000_NS6detail17trampoline_kernelINS0_14default_configENS1_21merge_config_selectorINS0_5tupleIJyyEEENS0_10empty_typeEEEZNS1_10merge_implIS3_NS0_12zip_iteratorINS5_IJN6thrust23THRUST_200600_302600_NS6detail15normal_iteratorINSC_10device_ptrIKyEEEESI_EEEEESK_NSA_INS5_IJNSE_INSF_IyEEEESM_EEEEEPS7_SP_SP_NSC_11hip_rocprim7__merge17predicate_wrapperIyyNSC_4lessIyEEEEEE10hipError_tPvRmT0_T1_T2_T3_T4_T5_mmT6_P12ihipStream_tbEUlT_E0_NS1_11comp_targetILNS1_3genE10ELNS1_11target_archE1200ELNS1_3gpuE4ELNS1_3repE0EEENS1_30default_config_static_selectorELNS0_4arch9wavefront6targetE0EEEvS10_.numbered_sgpr, 0
	.set _ZN7rocprim17ROCPRIM_400000_NS6detail17trampoline_kernelINS0_14default_configENS1_21merge_config_selectorINS0_5tupleIJyyEEENS0_10empty_typeEEEZNS1_10merge_implIS3_NS0_12zip_iteratorINS5_IJN6thrust23THRUST_200600_302600_NS6detail15normal_iteratorINSC_10device_ptrIKyEEEESI_EEEEESK_NSA_INS5_IJNSE_INSF_IyEEEESM_EEEEEPS7_SP_SP_NSC_11hip_rocprim7__merge17predicate_wrapperIyyNSC_4lessIyEEEEEE10hipError_tPvRmT0_T1_T2_T3_T4_T5_mmT6_P12ihipStream_tbEUlT_E0_NS1_11comp_targetILNS1_3genE10ELNS1_11target_archE1200ELNS1_3gpuE4ELNS1_3repE0EEENS1_30default_config_static_selectorELNS0_4arch9wavefront6targetE0EEEvS10_.num_named_barrier, 0
	.set _ZN7rocprim17ROCPRIM_400000_NS6detail17trampoline_kernelINS0_14default_configENS1_21merge_config_selectorINS0_5tupleIJyyEEENS0_10empty_typeEEEZNS1_10merge_implIS3_NS0_12zip_iteratorINS5_IJN6thrust23THRUST_200600_302600_NS6detail15normal_iteratorINSC_10device_ptrIKyEEEESI_EEEEESK_NSA_INS5_IJNSE_INSF_IyEEEESM_EEEEEPS7_SP_SP_NSC_11hip_rocprim7__merge17predicate_wrapperIyyNSC_4lessIyEEEEEE10hipError_tPvRmT0_T1_T2_T3_T4_T5_mmT6_P12ihipStream_tbEUlT_E0_NS1_11comp_targetILNS1_3genE10ELNS1_11target_archE1200ELNS1_3gpuE4ELNS1_3repE0EEENS1_30default_config_static_selectorELNS0_4arch9wavefront6targetE0EEEvS10_.private_seg_size, 0
	.set _ZN7rocprim17ROCPRIM_400000_NS6detail17trampoline_kernelINS0_14default_configENS1_21merge_config_selectorINS0_5tupleIJyyEEENS0_10empty_typeEEEZNS1_10merge_implIS3_NS0_12zip_iteratorINS5_IJN6thrust23THRUST_200600_302600_NS6detail15normal_iteratorINSC_10device_ptrIKyEEEESI_EEEEESK_NSA_INS5_IJNSE_INSF_IyEEEESM_EEEEEPS7_SP_SP_NSC_11hip_rocprim7__merge17predicate_wrapperIyyNSC_4lessIyEEEEEE10hipError_tPvRmT0_T1_T2_T3_T4_T5_mmT6_P12ihipStream_tbEUlT_E0_NS1_11comp_targetILNS1_3genE10ELNS1_11target_archE1200ELNS1_3gpuE4ELNS1_3repE0EEENS1_30default_config_static_selectorELNS0_4arch9wavefront6targetE0EEEvS10_.uses_vcc, 0
	.set _ZN7rocprim17ROCPRIM_400000_NS6detail17trampoline_kernelINS0_14default_configENS1_21merge_config_selectorINS0_5tupleIJyyEEENS0_10empty_typeEEEZNS1_10merge_implIS3_NS0_12zip_iteratorINS5_IJN6thrust23THRUST_200600_302600_NS6detail15normal_iteratorINSC_10device_ptrIKyEEEESI_EEEEESK_NSA_INS5_IJNSE_INSF_IyEEEESM_EEEEEPS7_SP_SP_NSC_11hip_rocprim7__merge17predicate_wrapperIyyNSC_4lessIyEEEEEE10hipError_tPvRmT0_T1_T2_T3_T4_T5_mmT6_P12ihipStream_tbEUlT_E0_NS1_11comp_targetILNS1_3genE10ELNS1_11target_archE1200ELNS1_3gpuE4ELNS1_3repE0EEENS1_30default_config_static_selectorELNS0_4arch9wavefront6targetE0EEEvS10_.uses_flat_scratch, 0
	.set _ZN7rocprim17ROCPRIM_400000_NS6detail17trampoline_kernelINS0_14default_configENS1_21merge_config_selectorINS0_5tupleIJyyEEENS0_10empty_typeEEEZNS1_10merge_implIS3_NS0_12zip_iteratorINS5_IJN6thrust23THRUST_200600_302600_NS6detail15normal_iteratorINSC_10device_ptrIKyEEEESI_EEEEESK_NSA_INS5_IJNSE_INSF_IyEEEESM_EEEEEPS7_SP_SP_NSC_11hip_rocprim7__merge17predicate_wrapperIyyNSC_4lessIyEEEEEE10hipError_tPvRmT0_T1_T2_T3_T4_T5_mmT6_P12ihipStream_tbEUlT_E0_NS1_11comp_targetILNS1_3genE10ELNS1_11target_archE1200ELNS1_3gpuE4ELNS1_3repE0EEENS1_30default_config_static_selectorELNS0_4arch9wavefront6targetE0EEEvS10_.has_dyn_sized_stack, 0
	.set _ZN7rocprim17ROCPRIM_400000_NS6detail17trampoline_kernelINS0_14default_configENS1_21merge_config_selectorINS0_5tupleIJyyEEENS0_10empty_typeEEEZNS1_10merge_implIS3_NS0_12zip_iteratorINS5_IJN6thrust23THRUST_200600_302600_NS6detail15normal_iteratorINSC_10device_ptrIKyEEEESI_EEEEESK_NSA_INS5_IJNSE_INSF_IyEEEESM_EEEEEPS7_SP_SP_NSC_11hip_rocprim7__merge17predicate_wrapperIyyNSC_4lessIyEEEEEE10hipError_tPvRmT0_T1_T2_T3_T4_T5_mmT6_P12ihipStream_tbEUlT_E0_NS1_11comp_targetILNS1_3genE10ELNS1_11target_archE1200ELNS1_3gpuE4ELNS1_3repE0EEENS1_30default_config_static_selectorELNS0_4arch9wavefront6targetE0EEEvS10_.has_recursion, 0
	.set _ZN7rocprim17ROCPRIM_400000_NS6detail17trampoline_kernelINS0_14default_configENS1_21merge_config_selectorINS0_5tupleIJyyEEENS0_10empty_typeEEEZNS1_10merge_implIS3_NS0_12zip_iteratorINS5_IJN6thrust23THRUST_200600_302600_NS6detail15normal_iteratorINSC_10device_ptrIKyEEEESI_EEEEESK_NSA_INS5_IJNSE_INSF_IyEEEESM_EEEEEPS7_SP_SP_NSC_11hip_rocprim7__merge17predicate_wrapperIyyNSC_4lessIyEEEEEE10hipError_tPvRmT0_T1_T2_T3_T4_T5_mmT6_P12ihipStream_tbEUlT_E0_NS1_11comp_targetILNS1_3genE10ELNS1_11target_archE1200ELNS1_3gpuE4ELNS1_3repE0EEENS1_30default_config_static_selectorELNS0_4arch9wavefront6targetE0EEEvS10_.has_indirect_call, 0
	.section	.AMDGPU.csdata,"",@progbits
; Kernel info:
; codeLenInByte = 0
; TotalNumSgprs: 0
; NumVgprs: 0
; ScratchSize: 0
; MemoryBound: 0
; FloatMode: 240
; IeeeMode: 1
; LDSByteSize: 0 bytes/workgroup (compile time only)
; SGPRBlocks: 0
; VGPRBlocks: 0
; NumSGPRsForWavesPerEU: 1
; NumVGPRsForWavesPerEU: 1
; NamedBarCnt: 0
; Occupancy: 16
; WaveLimiterHint : 0
; COMPUTE_PGM_RSRC2:SCRATCH_EN: 0
; COMPUTE_PGM_RSRC2:USER_SGPR: 2
; COMPUTE_PGM_RSRC2:TRAP_HANDLER: 0
; COMPUTE_PGM_RSRC2:TGID_X_EN: 1
; COMPUTE_PGM_RSRC2:TGID_Y_EN: 0
; COMPUTE_PGM_RSRC2:TGID_Z_EN: 0
; COMPUTE_PGM_RSRC2:TIDIG_COMP_CNT: 0
	.section	.text._ZN7rocprim17ROCPRIM_400000_NS6detail17trampoline_kernelINS0_14default_configENS1_21merge_config_selectorINS0_5tupleIJyyEEENS0_10empty_typeEEEZNS1_10merge_implIS3_NS0_12zip_iteratorINS5_IJN6thrust23THRUST_200600_302600_NS6detail15normal_iteratorINSC_10device_ptrIKyEEEESI_EEEEESK_NSA_INS5_IJNSE_INSF_IyEEEESM_EEEEEPS7_SP_SP_NSC_11hip_rocprim7__merge17predicate_wrapperIyyNSC_4lessIyEEEEEE10hipError_tPvRmT0_T1_T2_T3_T4_T5_mmT6_P12ihipStream_tbEUlT_E0_NS1_11comp_targetILNS1_3genE9ELNS1_11target_archE1100ELNS1_3gpuE3ELNS1_3repE0EEENS1_30default_config_static_selectorELNS0_4arch9wavefront6targetE0EEEvS10_,"axG",@progbits,_ZN7rocprim17ROCPRIM_400000_NS6detail17trampoline_kernelINS0_14default_configENS1_21merge_config_selectorINS0_5tupleIJyyEEENS0_10empty_typeEEEZNS1_10merge_implIS3_NS0_12zip_iteratorINS5_IJN6thrust23THRUST_200600_302600_NS6detail15normal_iteratorINSC_10device_ptrIKyEEEESI_EEEEESK_NSA_INS5_IJNSE_INSF_IyEEEESM_EEEEEPS7_SP_SP_NSC_11hip_rocprim7__merge17predicate_wrapperIyyNSC_4lessIyEEEEEE10hipError_tPvRmT0_T1_T2_T3_T4_T5_mmT6_P12ihipStream_tbEUlT_E0_NS1_11comp_targetILNS1_3genE9ELNS1_11target_archE1100ELNS1_3gpuE3ELNS1_3repE0EEENS1_30default_config_static_selectorELNS0_4arch9wavefront6targetE0EEEvS10_,comdat
	.protected	_ZN7rocprim17ROCPRIM_400000_NS6detail17trampoline_kernelINS0_14default_configENS1_21merge_config_selectorINS0_5tupleIJyyEEENS0_10empty_typeEEEZNS1_10merge_implIS3_NS0_12zip_iteratorINS5_IJN6thrust23THRUST_200600_302600_NS6detail15normal_iteratorINSC_10device_ptrIKyEEEESI_EEEEESK_NSA_INS5_IJNSE_INSF_IyEEEESM_EEEEEPS7_SP_SP_NSC_11hip_rocprim7__merge17predicate_wrapperIyyNSC_4lessIyEEEEEE10hipError_tPvRmT0_T1_T2_T3_T4_T5_mmT6_P12ihipStream_tbEUlT_E0_NS1_11comp_targetILNS1_3genE9ELNS1_11target_archE1100ELNS1_3gpuE3ELNS1_3repE0EEENS1_30default_config_static_selectorELNS0_4arch9wavefront6targetE0EEEvS10_ ; -- Begin function _ZN7rocprim17ROCPRIM_400000_NS6detail17trampoline_kernelINS0_14default_configENS1_21merge_config_selectorINS0_5tupleIJyyEEENS0_10empty_typeEEEZNS1_10merge_implIS3_NS0_12zip_iteratorINS5_IJN6thrust23THRUST_200600_302600_NS6detail15normal_iteratorINSC_10device_ptrIKyEEEESI_EEEEESK_NSA_INS5_IJNSE_INSF_IyEEEESM_EEEEEPS7_SP_SP_NSC_11hip_rocprim7__merge17predicate_wrapperIyyNSC_4lessIyEEEEEE10hipError_tPvRmT0_T1_T2_T3_T4_T5_mmT6_P12ihipStream_tbEUlT_E0_NS1_11comp_targetILNS1_3genE9ELNS1_11target_archE1100ELNS1_3gpuE3ELNS1_3repE0EEENS1_30default_config_static_selectorELNS0_4arch9wavefront6targetE0EEEvS10_
	.globl	_ZN7rocprim17ROCPRIM_400000_NS6detail17trampoline_kernelINS0_14default_configENS1_21merge_config_selectorINS0_5tupleIJyyEEENS0_10empty_typeEEEZNS1_10merge_implIS3_NS0_12zip_iteratorINS5_IJN6thrust23THRUST_200600_302600_NS6detail15normal_iteratorINSC_10device_ptrIKyEEEESI_EEEEESK_NSA_INS5_IJNSE_INSF_IyEEEESM_EEEEEPS7_SP_SP_NSC_11hip_rocprim7__merge17predicate_wrapperIyyNSC_4lessIyEEEEEE10hipError_tPvRmT0_T1_T2_T3_T4_T5_mmT6_P12ihipStream_tbEUlT_E0_NS1_11comp_targetILNS1_3genE9ELNS1_11target_archE1100ELNS1_3gpuE3ELNS1_3repE0EEENS1_30default_config_static_selectorELNS0_4arch9wavefront6targetE0EEEvS10_
	.p2align	8
	.type	_ZN7rocprim17ROCPRIM_400000_NS6detail17trampoline_kernelINS0_14default_configENS1_21merge_config_selectorINS0_5tupleIJyyEEENS0_10empty_typeEEEZNS1_10merge_implIS3_NS0_12zip_iteratorINS5_IJN6thrust23THRUST_200600_302600_NS6detail15normal_iteratorINSC_10device_ptrIKyEEEESI_EEEEESK_NSA_INS5_IJNSE_INSF_IyEEEESM_EEEEEPS7_SP_SP_NSC_11hip_rocprim7__merge17predicate_wrapperIyyNSC_4lessIyEEEEEE10hipError_tPvRmT0_T1_T2_T3_T4_T5_mmT6_P12ihipStream_tbEUlT_E0_NS1_11comp_targetILNS1_3genE9ELNS1_11target_archE1100ELNS1_3gpuE3ELNS1_3repE0EEENS1_30default_config_static_selectorELNS0_4arch9wavefront6targetE0EEEvS10_,@function
_ZN7rocprim17ROCPRIM_400000_NS6detail17trampoline_kernelINS0_14default_configENS1_21merge_config_selectorINS0_5tupleIJyyEEENS0_10empty_typeEEEZNS1_10merge_implIS3_NS0_12zip_iteratorINS5_IJN6thrust23THRUST_200600_302600_NS6detail15normal_iteratorINSC_10device_ptrIKyEEEESI_EEEEESK_NSA_INS5_IJNSE_INSF_IyEEEESM_EEEEEPS7_SP_SP_NSC_11hip_rocprim7__merge17predicate_wrapperIyyNSC_4lessIyEEEEEE10hipError_tPvRmT0_T1_T2_T3_T4_T5_mmT6_P12ihipStream_tbEUlT_E0_NS1_11comp_targetILNS1_3genE9ELNS1_11target_archE1100ELNS1_3gpuE3ELNS1_3repE0EEENS1_30default_config_static_selectorELNS0_4arch9wavefront6targetE0EEEvS10_: ; @_ZN7rocprim17ROCPRIM_400000_NS6detail17trampoline_kernelINS0_14default_configENS1_21merge_config_selectorINS0_5tupleIJyyEEENS0_10empty_typeEEEZNS1_10merge_implIS3_NS0_12zip_iteratorINS5_IJN6thrust23THRUST_200600_302600_NS6detail15normal_iteratorINSC_10device_ptrIKyEEEESI_EEEEESK_NSA_INS5_IJNSE_INSF_IyEEEESM_EEEEEPS7_SP_SP_NSC_11hip_rocprim7__merge17predicate_wrapperIyyNSC_4lessIyEEEEEE10hipError_tPvRmT0_T1_T2_T3_T4_T5_mmT6_P12ihipStream_tbEUlT_E0_NS1_11comp_targetILNS1_3genE9ELNS1_11target_archE1100ELNS1_3gpuE3ELNS1_3repE0EEENS1_30default_config_static_selectorELNS0_4arch9wavefront6targetE0EEEvS10_
; %bb.0:
	.section	.rodata,"a",@progbits
	.p2align	6, 0x0
	.amdhsa_kernel _ZN7rocprim17ROCPRIM_400000_NS6detail17trampoline_kernelINS0_14default_configENS1_21merge_config_selectorINS0_5tupleIJyyEEENS0_10empty_typeEEEZNS1_10merge_implIS3_NS0_12zip_iteratorINS5_IJN6thrust23THRUST_200600_302600_NS6detail15normal_iteratorINSC_10device_ptrIKyEEEESI_EEEEESK_NSA_INS5_IJNSE_INSF_IyEEEESM_EEEEEPS7_SP_SP_NSC_11hip_rocprim7__merge17predicate_wrapperIyyNSC_4lessIyEEEEEE10hipError_tPvRmT0_T1_T2_T3_T4_T5_mmT6_P12ihipStream_tbEUlT_E0_NS1_11comp_targetILNS1_3genE9ELNS1_11target_archE1100ELNS1_3gpuE3ELNS1_3repE0EEENS1_30default_config_static_selectorELNS0_4arch9wavefront6targetE0EEEvS10_
		.amdhsa_group_segment_fixed_size 0
		.amdhsa_private_segment_fixed_size 0
		.amdhsa_kernarg_size 112
		.amdhsa_user_sgpr_count 2
		.amdhsa_user_sgpr_dispatch_ptr 0
		.amdhsa_user_sgpr_queue_ptr 0
		.amdhsa_user_sgpr_kernarg_segment_ptr 1
		.amdhsa_user_sgpr_dispatch_id 0
		.amdhsa_user_sgpr_kernarg_preload_length 0
		.amdhsa_user_sgpr_kernarg_preload_offset 0
		.amdhsa_user_sgpr_private_segment_size 0
		.amdhsa_wavefront_size32 1
		.amdhsa_uses_dynamic_stack 0
		.amdhsa_enable_private_segment 0
		.amdhsa_system_sgpr_workgroup_id_x 1
		.amdhsa_system_sgpr_workgroup_id_y 0
		.amdhsa_system_sgpr_workgroup_id_z 0
		.amdhsa_system_sgpr_workgroup_info 0
		.amdhsa_system_vgpr_workitem_id 0
		.amdhsa_next_free_vgpr 1
		.amdhsa_next_free_sgpr 1
		.amdhsa_named_barrier_count 0
		.amdhsa_reserve_vcc 0
		.amdhsa_float_round_mode_32 0
		.amdhsa_float_round_mode_16_64 0
		.amdhsa_float_denorm_mode_32 3
		.amdhsa_float_denorm_mode_16_64 3
		.amdhsa_fp16_overflow 0
		.amdhsa_memory_ordered 1
		.amdhsa_forward_progress 1
		.amdhsa_inst_pref_size 0
		.amdhsa_round_robin_scheduling 0
		.amdhsa_exception_fp_ieee_invalid_op 0
		.amdhsa_exception_fp_denorm_src 0
		.amdhsa_exception_fp_ieee_div_zero 0
		.amdhsa_exception_fp_ieee_overflow 0
		.amdhsa_exception_fp_ieee_underflow 0
		.amdhsa_exception_fp_ieee_inexact 0
		.amdhsa_exception_int_div_zero 0
	.end_amdhsa_kernel
	.section	.text._ZN7rocprim17ROCPRIM_400000_NS6detail17trampoline_kernelINS0_14default_configENS1_21merge_config_selectorINS0_5tupleIJyyEEENS0_10empty_typeEEEZNS1_10merge_implIS3_NS0_12zip_iteratorINS5_IJN6thrust23THRUST_200600_302600_NS6detail15normal_iteratorINSC_10device_ptrIKyEEEESI_EEEEESK_NSA_INS5_IJNSE_INSF_IyEEEESM_EEEEEPS7_SP_SP_NSC_11hip_rocprim7__merge17predicate_wrapperIyyNSC_4lessIyEEEEEE10hipError_tPvRmT0_T1_T2_T3_T4_T5_mmT6_P12ihipStream_tbEUlT_E0_NS1_11comp_targetILNS1_3genE9ELNS1_11target_archE1100ELNS1_3gpuE3ELNS1_3repE0EEENS1_30default_config_static_selectorELNS0_4arch9wavefront6targetE0EEEvS10_,"axG",@progbits,_ZN7rocprim17ROCPRIM_400000_NS6detail17trampoline_kernelINS0_14default_configENS1_21merge_config_selectorINS0_5tupleIJyyEEENS0_10empty_typeEEEZNS1_10merge_implIS3_NS0_12zip_iteratorINS5_IJN6thrust23THRUST_200600_302600_NS6detail15normal_iteratorINSC_10device_ptrIKyEEEESI_EEEEESK_NSA_INS5_IJNSE_INSF_IyEEEESM_EEEEEPS7_SP_SP_NSC_11hip_rocprim7__merge17predicate_wrapperIyyNSC_4lessIyEEEEEE10hipError_tPvRmT0_T1_T2_T3_T4_T5_mmT6_P12ihipStream_tbEUlT_E0_NS1_11comp_targetILNS1_3genE9ELNS1_11target_archE1100ELNS1_3gpuE3ELNS1_3repE0EEENS1_30default_config_static_selectorELNS0_4arch9wavefront6targetE0EEEvS10_,comdat
.Lfunc_end112:
	.size	_ZN7rocprim17ROCPRIM_400000_NS6detail17trampoline_kernelINS0_14default_configENS1_21merge_config_selectorINS0_5tupleIJyyEEENS0_10empty_typeEEEZNS1_10merge_implIS3_NS0_12zip_iteratorINS5_IJN6thrust23THRUST_200600_302600_NS6detail15normal_iteratorINSC_10device_ptrIKyEEEESI_EEEEESK_NSA_INS5_IJNSE_INSF_IyEEEESM_EEEEEPS7_SP_SP_NSC_11hip_rocprim7__merge17predicate_wrapperIyyNSC_4lessIyEEEEEE10hipError_tPvRmT0_T1_T2_T3_T4_T5_mmT6_P12ihipStream_tbEUlT_E0_NS1_11comp_targetILNS1_3genE9ELNS1_11target_archE1100ELNS1_3gpuE3ELNS1_3repE0EEENS1_30default_config_static_selectorELNS0_4arch9wavefront6targetE0EEEvS10_, .Lfunc_end112-_ZN7rocprim17ROCPRIM_400000_NS6detail17trampoline_kernelINS0_14default_configENS1_21merge_config_selectorINS0_5tupleIJyyEEENS0_10empty_typeEEEZNS1_10merge_implIS3_NS0_12zip_iteratorINS5_IJN6thrust23THRUST_200600_302600_NS6detail15normal_iteratorINSC_10device_ptrIKyEEEESI_EEEEESK_NSA_INS5_IJNSE_INSF_IyEEEESM_EEEEEPS7_SP_SP_NSC_11hip_rocprim7__merge17predicate_wrapperIyyNSC_4lessIyEEEEEE10hipError_tPvRmT0_T1_T2_T3_T4_T5_mmT6_P12ihipStream_tbEUlT_E0_NS1_11comp_targetILNS1_3genE9ELNS1_11target_archE1100ELNS1_3gpuE3ELNS1_3repE0EEENS1_30default_config_static_selectorELNS0_4arch9wavefront6targetE0EEEvS10_
                                        ; -- End function
	.set _ZN7rocprim17ROCPRIM_400000_NS6detail17trampoline_kernelINS0_14default_configENS1_21merge_config_selectorINS0_5tupleIJyyEEENS0_10empty_typeEEEZNS1_10merge_implIS3_NS0_12zip_iteratorINS5_IJN6thrust23THRUST_200600_302600_NS6detail15normal_iteratorINSC_10device_ptrIKyEEEESI_EEEEESK_NSA_INS5_IJNSE_INSF_IyEEEESM_EEEEEPS7_SP_SP_NSC_11hip_rocprim7__merge17predicate_wrapperIyyNSC_4lessIyEEEEEE10hipError_tPvRmT0_T1_T2_T3_T4_T5_mmT6_P12ihipStream_tbEUlT_E0_NS1_11comp_targetILNS1_3genE9ELNS1_11target_archE1100ELNS1_3gpuE3ELNS1_3repE0EEENS1_30default_config_static_selectorELNS0_4arch9wavefront6targetE0EEEvS10_.num_vgpr, 0
	.set _ZN7rocprim17ROCPRIM_400000_NS6detail17trampoline_kernelINS0_14default_configENS1_21merge_config_selectorINS0_5tupleIJyyEEENS0_10empty_typeEEEZNS1_10merge_implIS3_NS0_12zip_iteratorINS5_IJN6thrust23THRUST_200600_302600_NS6detail15normal_iteratorINSC_10device_ptrIKyEEEESI_EEEEESK_NSA_INS5_IJNSE_INSF_IyEEEESM_EEEEEPS7_SP_SP_NSC_11hip_rocprim7__merge17predicate_wrapperIyyNSC_4lessIyEEEEEE10hipError_tPvRmT0_T1_T2_T3_T4_T5_mmT6_P12ihipStream_tbEUlT_E0_NS1_11comp_targetILNS1_3genE9ELNS1_11target_archE1100ELNS1_3gpuE3ELNS1_3repE0EEENS1_30default_config_static_selectorELNS0_4arch9wavefront6targetE0EEEvS10_.num_agpr, 0
	.set _ZN7rocprim17ROCPRIM_400000_NS6detail17trampoline_kernelINS0_14default_configENS1_21merge_config_selectorINS0_5tupleIJyyEEENS0_10empty_typeEEEZNS1_10merge_implIS3_NS0_12zip_iteratorINS5_IJN6thrust23THRUST_200600_302600_NS6detail15normal_iteratorINSC_10device_ptrIKyEEEESI_EEEEESK_NSA_INS5_IJNSE_INSF_IyEEEESM_EEEEEPS7_SP_SP_NSC_11hip_rocprim7__merge17predicate_wrapperIyyNSC_4lessIyEEEEEE10hipError_tPvRmT0_T1_T2_T3_T4_T5_mmT6_P12ihipStream_tbEUlT_E0_NS1_11comp_targetILNS1_3genE9ELNS1_11target_archE1100ELNS1_3gpuE3ELNS1_3repE0EEENS1_30default_config_static_selectorELNS0_4arch9wavefront6targetE0EEEvS10_.numbered_sgpr, 0
	.set _ZN7rocprim17ROCPRIM_400000_NS6detail17trampoline_kernelINS0_14default_configENS1_21merge_config_selectorINS0_5tupleIJyyEEENS0_10empty_typeEEEZNS1_10merge_implIS3_NS0_12zip_iteratorINS5_IJN6thrust23THRUST_200600_302600_NS6detail15normal_iteratorINSC_10device_ptrIKyEEEESI_EEEEESK_NSA_INS5_IJNSE_INSF_IyEEEESM_EEEEEPS7_SP_SP_NSC_11hip_rocprim7__merge17predicate_wrapperIyyNSC_4lessIyEEEEEE10hipError_tPvRmT0_T1_T2_T3_T4_T5_mmT6_P12ihipStream_tbEUlT_E0_NS1_11comp_targetILNS1_3genE9ELNS1_11target_archE1100ELNS1_3gpuE3ELNS1_3repE0EEENS1_30default_config_static_selectorELNS0_4arch9wavefront6targetE0EEEvS10_.num_named_barrier, 0
	.set _ZN7rocprim17ROCPRIM_400000_NS6detail17trampoline_kernelINS0_14default_configENS1_21merge_config_selectorINS0_5tupleIJyyEEENS0_10empty_typeEEEZNS1_10merge_implIS3_NS0_12zip_iteratorINS5_IJN6thrust23THRUST_200600_302600_NS6detail15normal_iteratorINSC_10device_ptrIKyEEEESI_EEEEESK_NSA_INS5_IJNSE_INSF_IyEEEESM_EEEEEPS7_SP_SP_NSC_11hip_rocprim7__merge17predicate_wrapperIyyNSC_4lessIyEEEEEE10hipError_tPvRmT0_T1_T2_T3_T4_T5_mmT6_P12ihipStream_tbEUlT_E0_NS1_11comp_targetILNS1_3genE9ELNS1_11target_archE1100ELNS1_3gpuE3ELNS1_3repE0EEENS1_30default_config_static_selectorELNS0_4arch9wavefront6targetE0EEEvS10_.private_seg_size, 0
	.set _ZN7rocprim17ROCPRIM_400000_NS6detail17trampoline_kernelINS0_14default_configENS1_21merge_config_selectorINS0_5tupleIJyyEEENS0_10empty_typeEEEZNS1_10merge_implIS3_NS0_12zip_iteratorINS5_IJN6thrust23THRUST_200600_302600_NS6detail15normal_iteratorINSC_10device_ptrIKyEEEESI_EEEEESK_NSA_INS5_IJNSE_INSF_IyEEEESM_EEEEEPS7_SP_SP_NSC_11hip_rocprim7__merge17predicate_wrapperIyyNSC_4lessIyEEEEEE10hipError_tPvRmT0_T1_T2_T3_T4_T5_mmT6_P12ihipStream_tbEUlT_E0_NS1_11comp_targetILNS1_3genE9ELNS1_11target_archE1100ELNS1_3gpuE3ELNS1_3repE0EEENS1_30default_config_static_selectorELNS0_4arch9wavefront6targetE0EEEvS10_.uses_vcc, 0
	.set _ZN7rocprim17ROCPRIM_400000_NS6detail17trampoline_kernelINS0_14default_configENS1_21merge_config_selectorINS0_5tupleIJyyEEENS0_10empty_typeEEEZNS1_10merge_implIS3_NS0_12zip_iteratorINS5_IJN6thrust23THRUST_200600_302600_NS6detail15normal_iteratorINSC_10device_ptrIKyEEEESI_EEEEESK_NSA_INS5_IJNSE_INSF_IyEEEESM_EEEEEPS7_SP_SP_NSC_11hip_rocprim7__merge17predicate_wrapperIyyNSC_4lessIyEEEEEE10hipError_tPvRmT0_T1_T2_T3_T4_T5_mmT6_P12ihipStream_tbEUlT_E0_NS1_11comp_targetILNS1_3genE9ELNS1_11target_archE1100ELNS1_3gpuE3ELNS1_3repE0EEENS1_30default_config_static_selectorELNS0_4arch9wavefront6targetE0EEEvS10_.uses_flat_scratch, 0
	.set _ZN7rocprim17ROCPRIM_400000_NS6detail17trampoline_kernelINS0_14default_configENS1_21merge_config_selectorINS0_5tupleIJyyEEENS0_10empty_typeEEEZNS1_10merge_implIS3_NS0_12zip_iteratorINS5_IJN6thrust23THRUST_200600_302600_NS6detail15normal_iteratorINSC_10device_ptrIKyEEEESI_EEEEESK_NSA_INS5_IJNSE_INSF_IyEEEESM_EEEEEPS7_SP_SP_NSC_11hip_rocprim7__merge17predicate_wrapperIyyNSC_4lessIyEEEEEE10hipError_tPvRmT0_T1_T2_T3_T4_T5_mmT6_P12ihipStream_tbEUlT_E0_NS1_11comp_targetILNS1_3genE9ELNS1_11target_archE1100ELNS1_3gpuE3ELNS1_3repE0EEENS1_30default_config_static_selectorELNS0_4arch9wavefront6targetE0EEEvS10_.has_dyn_sized_stack, 0
	.set _ZN7rocprim17ROCPRIM_400000_NS6detail17trampoline_kernelINS0_14default_configENS1_21merge_config_selectorINS0_5tupleIJyyEEENS0_10empty_typeEEEZNS1_10merge_implIS3_NS0_12zip_iteratorINS5_IJN6thrust23THRUST_200600_302600_NS6detail15normal_iteratorINSC_10device_ptrIKyEEEESI_EEEEESK_NSA_INS5_IJNSE_INSF_IyEEEESM_EEEEEPS7_SP_SP_NSC_11hip_rocprim7__merge17predicate_wrapperIyyNSC_4lessIyEEEEEE10hipError_tPvRmT0_T1_T2_T3_T4_T5_mmT6_P12ihipStream_tbEUlT_E0_NS1_11comp_targetILNS1_3genE9ELNS1_11target_archE1100ELNS1_3gpuE3ELNS1_3repE0EEENS1_30default_config_static_selectorELNS0_4arch9wavefront6targetE0EEEvS10_.has_recursion, 0
	.set _ZN7rocprim17ROCPRIM_400000_NS6detail17trampoline_kernelINS0_14default_configENS1_21merge_config_selectorINS0_5tupleIJyyEEENS0_10empty_typeEEEZNS1_10merge_implIS3_NS0_12zip_iteratorINS5_IJN6thrust23THRUST_200600_302600_NS6detail15normal_iteratorINSC_10device_ptrIKyEEEESI_EEEEESK_NSA_INS5_IJNSE_INSF_IyEEEESM_EEEEEPS7_SP_SP_NSC_11hip_rocprim7__merge17predicate_wrapperIyyNSC_4lessIyEEEEEE10hipError_tPvRmT0_T1_T2_T3_T4_T5_mmT6_P12ihipStream_tbEUlT_E0_NS1_11comp_targetILNS1_3genE9ELNS1_11target_archE1100ELNS1_3gpuE3ELNS1_3repE0EEENS1_30default_config_static_selectorELNS0_4arch9wavefront6targetE0EEEvS10_.has_indirect_call, 0
	.section	.AMDGPU.csdata,"",@progbits
; Kernel info:
; codeLenInByte = 0
; TotalNumSgprs: 0
; NumVgprs: 0
; ScratchSize: 0
; MemoryBound: 0
; FloatMode: 240
; IeeeMode: 1
; LDSByteSize: 0 bytes/workgroup (compile time only)
; SGPRBlocks: 0
; VGPRBlocks: 0
; NumSGPRsForWavesPerEU: 1
; NumVGPRsForWavesPerEU: 1
; NamedBarCnt: 0
; Occupancy: 16
; WaveLimiterHint : 0
; COMPUTE_PGM_RSRC2:SCRATCH_EN: 0
; COMPUTE_PGM_RSRC2:USER_SGPR: 2
; COMPUTE_PGM_RSRC2:TRAP_HANDLER: 0
; COMPUTE_PGM_RSRC2:TGID_X_EN: 1
; COMPUTE_PGM_RSRC2:TGID_Y_EN: 0
; COMPUTE_PGM_RSRC2:TGID_Z_EN: 0
; COMPUTE_PGM_RSRC2:TIDIG_COMP_CNT: 0
	.section	.text._ZN7rocprim17ROCPRIM_400000_NS6detail17trampoline_kernelINS0_14default_configENS1_21merge_config_selectorINS0_5tupleIJyyEEENS0_10empty_typeEEEZNS1_10merge_implIS3_NS0_12zip_iteratorINS5_IJN6thrust23THRUST_200600_302600_NS6detail15normal_iteratorINSC_10device_ptrIKyEEEESI_EEEEESK_NSA_INS5_IJNSE_INSF_IyEEEESM_EEEEEPS7_SP_SP_NSC_11hip_rocprim7__merge17predicate_wrapperIyyNSC_4lessIyEEEEEE10hipError_tPvRmT0_T1_T2_T3_T4_T5_mmT6_P12ihipStream_tbEUlT_E0_NS1_11comp_targetILNS1_3genE8ELNS1_11target_archE1030ELNS1_3gpuE2ELNS1_3repE0EEENS1_30default_config_static_selectorELNS0_4arch9wavefront6targetE0EEEvS10_,"axG",@progbits,_ZN7rocprim17ROCPRIM_400000_NS6detail17trampoline_kernelINS0_14default_configENS1_21merge_config_selectorINS0_5tupleIJyyEEENS0_10empty_typeEEEZNS1_10merge_implIS3_NS0_12zip_iteratorINS5_IJN6thrust23THRUST_200600_302600_NS6detail15normal_iteratorINSC_10device_ptrIKyEEEESI_EEEEESK_NSA_INS5_IJNSE_INSF_IyEEEESM_EEEEEPS7_SP_SP_NSC_11hip_rocprim7__merge17predicate_wrapperIyyNSC_4lessIyEEEEEE10hipError_tPvRmT0_T1_T2_T3_T4_T5_mmT6_P12ihipStream_tbEUlT_E0_NS1_11comp_targetILNS1_3genE8ELNS1_11target_archE1030ELNS1_3gpuE2ELNS1_3repE0EEENS1_30default_config_static_selectorELNS0_4arch9wavefront6targetE0EEEvS10_,comdat
	.protected	_ZN7rocprim17ROCPRIM_400000_NS6detail17trampoline_kernelINS0_14default_configENS1_21merge_config_selectorINS0_5tupleIJyyEEENS0_10empty_typeEEEZNS1_10merge_implIS3_NS0_12zip_iteratorINS5_IJN6thrust23THRUST_200600_302600_NS6detail15normal_iteratorINSC_10device_ptrIKyEEEESI_EEEEESK_NSA_INS5_IJNSE_INSF_IyEEEESM_EEEEEPS7_SP_SP_NSC_11hip_rocprim7__merge17predicate_wrapperIyyNSC_4lessIyEEEEEE10hipError_tPvRmT0_T1_T2_T3_T4_T5_mmT6_P12ihipStream_tbEUlT_E0_NS1_11comp_targetILNS1_3genE8ELNS1_11target_archE1030ELNS1_3gpuE2ELNS1_3repE0EEENS1_30default_config_static_selectorELNS0_4arch9wavefront6targetE0EEEvS10_ ; -- Begin function _ZN7rocprim17ROCPRIM_400000_NS6detail17trampoline_kernelINS0_14default_configENS1_21merge_config_selectorINS0_5tupleIJyyEEENS0_10empty_typeEEEZNS1_10merge_implIS3_NS0_12zip_iteratorINS5_IJN6thrust23THRUST_200600_302600_NS6detail15normal_iteratorINSC_10device_ptrIKyEEEESI_EEEEESK_NSA_INS5_IJNSE_INSF_IyEEEESM_EEEEEPS7_SP_SP_NSC_11hip_rocprim7__merge17predicate_wrapperIyyNSC_4lessIyEEEEEE10hipError_tPvRmT0_T1_T2_T3_T4_T5_mmT6_P12ihipStream_tbEUlT_E0_NS1_11comp_targetILNS1_3genE8ELNS1_11target_archE1030ELNS1_3gpuE2ELNS1_3repE0EEENS1_30default_config_static_selectorELNS0_4arch9wavefront6targetE0EEEvS10_
	.globl	_ZN7rocprim17ROCPRIM_400000_NS6detail17trampoline_kernelINS0_14default_configENS1_21merge_config_selectorINS0_5tupleIJyyEEENS0_10empty_typeEEEZNS1_10merge_implIS3_NS0_12zip_iteratorINS5_IJN6thrust23THRUST_200600_302600_NS6detail15normal_iteratorINSC_10device_ptrIKyEEEESI_EEEEESK_NSA_INS5_IJNSE_INSF_IyEEEESM_EEEEEPS7_SP_SP_NSC_11hip_rocprim7__merge17predicate_wrapperIyyNSC_4lessIyEEEEEE10hipError_tPvRmT0_T1_T2_T3_T4_T5_mmT6_P12ihipStream_tbEUlT_E0_NS1_11comp_targetILNS1_3genE8ELNS1_11target_archE1030ELNS1_3gpuE2ELNS1_3repE0EEENS1_30default_config_static_selectorELNS0_4arch9wavefront6targetE0EEEvS10_
	.p2align	8
	.type	_ZN7rocprim17ROCPRIM_400000_NS6detail17trampoline_kernelINS0_14default_configENS1_21merge_config_selectorINS0_5tupleIJyyEEENS0_10empty_typeEEEZNS1_10merge_implIS3_NS0_12zip_iteratorINS5_IJN6thrust23THRUST_200600_302600_NS6detail15normal_iteratorINSC_10device_ptrIKyEEEESI_EEEEESK_NSA_INS5_IJNSE_INSF_IyEEEESM_EEEEEPS7_SP_SP_NSC_11hip_rocprim7__merge17predicate_wrapperIyyNSC_4lessIyEEEEEE10hipError_tPvRmT0_T1_T2_T3_T4_T5_mmT6_P12ihipStream_tbEUlT_E0_NS1_11comp_targetILNS1_3genE8ELNS1_11target_archE1030ELNS1_3gpuE2ELNS1_3repE0EEENS1_30default_config_static_selectorELNS0_4arch9wavefront6targetE0EEEvS10_,@function
_ZN7rocprim17ROCPRIM_400000_NS6detail17trampoline_kernelINS0_14default_configENS1_21merge_config_selectorINS0_5tupleIJyyEEENS0_10empty_typeEEEZNS1_10merge_implIS3_NS0_12zip_iteratorINS5_IJN6thrust23THRUST_200600_302600_NS6detail15normal_iteratorINSC_10device_ptrIKyEEEESI_EEEEESK_NSA_INS5_IJNSE_INSF_IyEEEESM_EEEEEPS7_SP_SP_NSC_11hip_rocprim7__merge17predicate_wrapperIyyNSC_4lessIyEEEEEE10hipError_tPvRmT0_T1_T2_T3_T4_T5_mmT6_P12ihipStream_tbEUlT_E0_NS1_11comp_targetILNS1_3genE8ELNS1_11target_archE1030ELNS1_3gpuE2ELNS1_3repE0EEENS1_30default_config_static_selectorELNS0_4arch9wavefront6targetE0EEEvS10_: ; @_ZN7rocprim17ROCPRIM_400000_NS6detail17trampoline_kernelINS0_14default_configENS1_21merge_config_selectorINS0_5tupleIJyyEEENS0_10empty_typeEEEZNS1_10merge_implIS3_NS0_12zip_iteratorINS5_IJN6thrust23THRUST_200600_302600_NS6detail15normal_iteratorINSC_10device_ptrIKyEEEESI_EEEEESK_NSA_INS5_IJNSE_INSF_IyEEEESM_EEEEEPS7_SP_SP_NSC_11hip_rocprim7__merge17predicate_wrapperIyyNSC_4lessIyEEEEEE10hipError_tPvRmT0_T1_T2_T3_T4_T5_mmT6_P12ihipStream_tbEUlT_E0_NS1_11comp_targetILNS1_3genE8ELNS1_11target_archE1030ELNS1_3gpuE2ELNS1_3repE0EEENS1_30default_config_static_selectorELNS0_4arch9wavefront6targetE0EEEvS10_
; %bb.0:
	.section	.rodata,"a",@progbits
	.p2align	6, 0x0
	.amdhsa_kernel _ZN7rocprim17ROCPRIM_400000_NS6detail17trampoline_kernelINS0_14default_configENS1_21merge_config_selectorINS0_5tupleIJyyEEENS0_10empty_typeEEEZNS1_10merge_implIS3_NS0_12zip_iteratorINS5_IJN6thrust23THRUST_200600_302600_NS6detail15normal_iteratorINSC_10device_ptrIKyEEEESI_EEEEESK_NSA_INS5_IJNSE_INSF_IyEEEESM_EEEEEPS7_SP_SP_NSC_11hip_rocprim7__merge17predicate_wrapperIyyNSC_4lessIyEEEEEE10hipError_tPvRmT0_T1_T2_T3_T4_T5_mmT6_P12ihipStream_tbEUlT_E0_NS1_11comp_targetILNS1_3genE8ELNS1_11target_archE1030ELNS1_3gpuE2ELNS1_3repE0EEENS1_30default_config_static_selectorELNS0_4arch9wavefront6targetE0EEEvS10_
		.amdhsa_group_segment_fixed_size 0
		.amdhsa_private_segment_fixed_size 0
		.amdhsa_kernarg_size 112
		.amdhsa_user_sgpr_count 2
		.amdhsa_user_sgpr_dispatch_ptr 0
		.amdhsa_user_sgpr_queue_ptr 0
		.amdhsa_user_sgpr_kernarg_segment_ptr 1
		.amdhsa_user_sgpr_dispatch_id 0
		.amdhsa_user_sgpr_kernarg_preload_length 0
		.amdhsa_user_sgpr_kernarg_preload_offset 0
		.amdhsa_user_sgpr_private_segment_size 0
		.amdhsa_wavefront_size32 1
		.amdhsa_uses_dynamic_stack 0
		.amdhsa_enable_private_segment 0
		.amdhsa_system_sgpr_workgroup_id_x 1
		.amdhsa_system_sgpr_workgroup_id_y 0
		.amdhsa_system_sgpr_workgroup_id_z 0
		.amdhsa_system_sgpr_workgroup_info 0
		.amdhsa_system_vgpr_workitem_id 0
		.amdhsa_next_free_vgpr 1
		.amdhsa_next_free_sgpr 1
		.amdhsa_named_barrier_count 0
		.amdhsa_reserve_vcc 0
		.amdhsa_float_round_mode_32 0
		.amdhsa_float_round_mode_16_64 0
		.amdhsa_float_denorm_mode_32 3
		.amdhsa_float_denorm_mode_16_64 3
		.amdhsa_fp16_overflow 0
		.amdhsa_memory_ordered 1
		.amdhsa_forward_progress 1
		.amdhsa_inst_pref_size 0
		.amdhsa_round_robin_scheduling 0
		.amdhsa_exception_fp_ieee_invalid_op 0
		.amdhsa_exception_fp_denorm_src 0
		.amdhsa_exception_fp_ieee_div_zero 0
		.amdhsa_exception_fp_ieee_overflow 0
		.amdhsa_exception_fp_ieee_underflow 0
		.amdhsa_exception_fp_ieee_inexact 0
		.amdhsa_exception_int_div_zero 0
	.end_amdhsa_kernel
	.section	.text._ZN7rocprim17ROCPRIM_400000_NS6detail17trampoline_kernelINS0_14default_configENS1_21merge_config_selectorINS0_5tupleIJyyEEENS0_10empty_typeEEEZNS1_10merge_implIS3_NS0_12zip_iteratorINS5_IJN6thrust23THRUST_200600_302600_NS6detail15normal_iteratorINSC_10device_ptrIKyEEEESI_EEEEESK_NSA_INS5_IJNSE_INSF_IyEEEESM_EEEEEPS7_SP_SP_NSC_11hip_rocprim7__merge17predicate_wrapperIyyNSC_4lessIyEEEEEE10hipError_tPvRmT0_T1_T2_T3_T4_T5_mmT6_P12ihipStream_tbEUlT_E0_NS1_11comp_targetILNS1_3genE8ELNS1_11target_archE1030ELNS1_3gpuE2ELNS1_3repE0EEENS1_30default_config_static_selectorELNS0_4arch9wavefront6targetE0EEEvS10_,"axG",@progbits,_ZN7rocprim17ROCPRIM_400000_NS6detail17trampoline_kernelINS0_14default_configENS1_21merge_config_selectorINS0_5tupleIJyyEEENS0_10empty_typeEEEZNS1_10merge_implIS3_NS0_12zip_iteratorINS5_IJN6thrust23THRUST_200600_302600_NS6detail15normal_iteratorINSC_10device_ptrIKyEEEESI_EEEEESK_NSA_INS5_IJNSE_INSF_IyEEEESM_EEEEEPS7_SP_SP_NSC_11hip_rocprim7__merge17predicate_wrapperIyyNSC_4lessIyEEEEEE10hipError_tPvRmT0_T1_T2_T3_T4_T5_mmT6_P12ihipStream_tbEUlT_E0_NS1_11comp_targetILNS1_3genE8ELNS1_11target_archE1030ELNS1_3gpuE2ELNS1_3repE0EEENS1_30default_config_static_selectorELNS0_4arch9wavefront6targetE0EEEvS10_,comdat
.Lfunc_end113:
	.size	_ZN7rocprim17ROCPRIM_400000_NS6detail17trampoline_kernelINS0_14default_configENS1_21merge_config_selectorINS0_5tupleIJyyEEENS0_10empty_typeEEEZNS1_10merge_implIS3_NS0_12zip_iteratorINS5_IJN6thrust23THRUST_200600_302600_NS6detail15normal_iteratorINSC_10device_ptrIKyEEEESI_EEEEESK_NSA_INS5_IJNSE_INSF_IyEEEESM_EEEEEPS7_SP_SP_NSC_11hip_rocprim7__merge17predicate_wrapperIyyNSC_4lessIyEEEEEE10hipError_tPvRmT0_T1_T2_T3_T4_T5_mmT6_P12ihipStream_tbEUlT_E0_NS1_11comp_targetILNS1_3genE8ELNS1_11target_archE1030ELNS1_3gpuE2ELNS1_3repE0EEENS1_30default_config_static_selectorELNS0_4arch9wavefront6targetE0EEEvS10_, .Lfunc_end113-_ZN7rocprim17ROCPRIM_400000_NS6detail17trampoline_kernelINS0_14default_configENS1_21merge_config_selectorINS0_5tupleIJyyEEENS0_10empty_typeEEEZNS1_10merge_implIS3_NS0_12zip_iteratorINS5_IJN6thrust23THRUST_200600_302600_NS6detail15normal_iteratorINSC_10device_ptrIKyEEEESI_EEEEESK_NSA_INS5_IJNSE_INSF_IyEEEESM_EEEEEPS7_SP_SP_NSC_11hip_rocprim7__merge17predicate_wrapperIyyNSC_4lessIyEEEEEE10hipError_tPvRmT0_T1_T2_T3_T4_T5_mmT6_P12ihipStream_tbEUlT_E0_NS1_11comp_targetILNS1_3genE8ELNS1_11target_archE1030ELNS1_3gpuE2ELNS1_3repE0EEENS1_30default_config_static_selectorELNS0_4arch9wavefront6targetE0EEEvS10_
                                        ; -- End function
	.set _ZN7rocprim17ROCPRIM_400000_NS6detail17trampoline_kernelINS0_14default_configENS1_21merge_config_selectorINS0_5tupleIJyyEEENS0_10empty_typeEEEZNS1_10merge_implIS3_NS0_12zip_iteratorINS5_IJN6thrust23THRUST_200600_302600_NS6detail15normal_iteratorINSC_10device_ptrIKyEEEESI_EEEEESK_NSA_INS5_IJNSE_INSF_IyEEEESM_EEEEEPS7_SP_SP_NSC_11hip_rocprim7__merge17predicate_wrapperIyyNSC_4lessIyEEEEEE10hipError_tPvRmT0_T1_T2_T3_T4_T5_mmT6_P12ihipStream_tbEUlT_E0_NS1_11comp_targetILNS1_3genE8ELNS1_11target_archE1030ELNS1_3gpuE2ELNS1_3repE0EEENS1_30default_config_static_selectorELNS0_4arch9wavefront6targetE0EEEvS10_.num_vgpr, 0
	.set _ZN7rocprim17ROCPRIM_400000_NS6detail17trampoline_kernelINS0_14default_configENS1_21merge_config_selectorINS0_5tupleIJyyEEENS0_10empty_typeEEEZNS1_10merge_implIS3_NS0_12zip_iteratorINS5_IJN6thrust23THRUST_200600_302600_NS6detail15normal_iteratorINSC_10device_ptrIKyEEEESI_EEEEESK_NSA_INS5_IJNSE_INSF_IyEEEESM_EEEEEPS7_SP_SP_NSC_11hip_rocprim7__merge17predicate_wrapperIyyNSC_4lessIyEEEEEE10hipError_tPvRmT0_T1_T2_T3_T4_T5_mmT6_P12ihipStream_tbEUlT_E0_NS1_11comp_targetILNS1_3genE8ELNS1_11target_archE1030ELNS1_3gpuE2ELNS1_3repE0EEENS1_30default_config_static_selectorELNS0_4arch9wavefront6targetE0EEEvS10_.num_agpr, 0
	.set _ZN7rocprim17ROCPRIM_400000_NS6detail17trampoline_kernelINS0_14default_configENS1_21merge_config_selectorINS0_5tupleIJyyEEENS0_10empty_typeEEEZNS1_10merge_implIS3_NS0_12zip_iteratorINS5_IJN6thrust23THRUST_200600_302600_NS6detail15normal_iteratorINSC_10device_ptrIKyEEEESI_EEEEESK_NSA_INS5_IJNSE_INSF_IyEEEESM_EEEEEPS7_SP_SP_NSC_11hip_rocprim7__merge17predicate_wrapperIyyNSC_4lessIyEEEEEE10hipError_tPvRmT0_T1_T2_T3_T4_T5_mmT6_P12ihipStream_tbEUlT_E0_NS1_11comp_targetILNS1_3genE8ELNS1_11target_archE1030ELNS1_3gpuE2ELNS1_3repE0EEENS1_30default_config_static_selectorELNS0_4arch9wavefront6targetE0EEEvS10_.numbered_sgpr, 0
	.set _ZN7rocprim17ROCPRIM_400000_NS6detail17trampoline_kernelINS0_14default_configENS1_21merge_config_selectorINS0_5tupleIJyyEEENS0_10empty_typeEEEZNS1_10merge_implIS3_NS0_12zip_iteratorINS5_IJN6thrust23THRUST_200600_302600_NS6detail15normal_iteratorINSC_10device_ptrIKyEEEESI_EEEEESK_NSA_INS5_IJNSE_INSF_IyEEEESM_EEEEEPS7_SP_SP_NSC_11hip_rocprim7__merge17predicate_wrapperIyyNSC_4lessIyEEEEEE10hipError_tPvRmT0_T1_T2_T3_T4_T5_mmT6_P12ihipStream_tbEUlT_E0_NS1_11comp_targetILNS1_3genE8ELNS1_11target_archE1030ELNS1_3gpuE2ELNS1_3repE0EEENS1_30default_config_static_selectorELNS0_4arch9wavefront6targetE0EEEvS10_.num_named_barrier, 0
	.set _ZN7rocprim17ROCPRIM_400000_NS6detail17trampoline_kernelINS0_14default_configENS1_21merge_config_selectorINS0_5tupleIJyyEEENS0_10empty_typeEEEZNS1_10merge_implIS3_NS0_12zip_iteratorINS5_IJN6thrust23THRUST_200600_302600_NS6detail15normal_iteratorINSC_10device_ptrIKyEEEESI_EEEEESK_NSA_INS5_IJNSE_INSF_IyEEEESM_EEEEEPS7_SP_SP_NSC_11hip_rocprim7__merge17predicate_wrapperIyyNSC_4lessIyEEEEEE10hipError_tPvRmT0_T1_T2_T3_T4_T5_mmT6_P12ihipStream_tbEUlT_E0_NS1_11comp_targetILNS1_3genE8ELNS1_11target_archE1030ELNS1_3gpuE2ELNS1_3repE0EEENS1_30default_config_static_selectorELNS0_4arch9wavefront6targetE0EEEvS10_.private_seg_size, 0
	.set _ZN7rocprim17ROCPRIM_400000_NS6detail17trampoline_kernelINS0_14default_configENS1_21merge_config_selectorINS0_5tupleIJyyEEENS0_10empty_typeEEEZNS1_10merge_implIS3_NS0_12zip_iteratorINS5_IJN6thrust23THRUST_200600_302600_NS6detail15normal_iteratorINSC_10device_ptrIKyEEEESI_EEEEESK_NSA_INS5_IJNSE_INSF_IyEEEESM_EEEEEPS7_SP_SP_NSC_11hip_rocprim7__merge17predicate_wrapperIyyNSC_4lessIyEEEEEE10hipError_tPvRmT0_T1_T2_T3_T4_T5_mmT6_P12ihipStream_tbEUlT_E0_NS1_11comp_targetILNS1_3genE8ELNS1_11target_archE1030ELNS1_3gpuE2ELNS1_3repE0EEENS1_30default_config_static_selectorELNS0_4arch9wavefront6targetE0EEEvS10_.uses_vcc, 0
	.set _ZN7rocprim17ROCPRIM_400000_NS6detail17trampoline_kernelINS0_14default_configENS1_21merge_config_selectorINS0_5tupleIJyyEEENS0_10empty_typeEEEZNS1_10merge_implIS3_NS0_12zip_iteratorINS5_IJN6thrust23THRUST_200600_302600_NS6detail15normal_iteratorINSC_10device_ptrIKyEEEESI_EEEEESK_NSA_INS5_IJNSE_INSF_IyEEEESM_EEEEEPS7_SP_SP_NSC_11hip_rocprim7__merge17predicate_wrapperIyyNSC_4lessIyEEEEEE10hipError_tPvRmT0_T1_T2_T3_T4_T5_mmT6_P12ihipStream_tbEUlT_E0_NS1_11comp_targetILNS1_3genE8ELNS1_11target_archE1030ELNS1_3gpuE2ELNS1_3repE0EEENS1_30default_config_static_selectorELNS0_4arch9wavefront6targetE0EEEvS10_.uses_flat_scratch, 0
	.set _ZN7rocprim17ROCPRIM_400000_NS6detail17trampoline_kernelINS0_14default_configENS1_21merge_config_selectorINS0_5tupleIJyyEEENS0_10empty_typeEEEZNS1_10merge_implIS3_NS0_12zip_iteratorINS5_IJN6thrust23THRUST_200600_302600_NS6detail15normal_iteratorINSC_10device_ptrIKyEEEESI_EEEEESK_NSA_INS5_IJNSE_INSF_IyEEEESM_EEEEEPS7_SP_SP_NSC_11hip_rocprim7__merge17predicate_wrapperIyyNSC_4lessIyEEEEEE10hipError_tPvRmT0_T1_T2_T3_T4_T5_mmT6_P12ihipStream_tbEUlT_E0_NS1_11comp_targetILNS1_3genE8ELNS1_11target_archE1030ELNS1_3gpuE2ELNS1_3repE0EEENS1_30default_config_static_selectorELNS0_4arch9wavefront6targetE0EEEvS10_.has_dyn_sized_stack, 0
	.set _ZN7rocprim17ROCPRIM_400000_NS6detail17trampoline_kernelINS0_14default_configENS1_21merge_config_selectorINS0_5tupleIJyyEEENS0_10empty_typeEEEZNS1_10merge_implIS3_NS0_12zip_iteratorINS5_IJN6thrust23THRUST_200600_302600_NS6detail15normal_iteratorINSC_10device_ptrIKyEEEESI_EEEEESK_NSA_INS5_IJNSE_INSF_IyEEEESM_EEEEEPS7_SP_SP_NSC_11hip_rocprim7__merge17predicate_wrapperIyyNSC_4lessIyEEEEEE10hipError_tPvRmT0_T1_T2_T3_T4_T5_mmT6_P12ihipStream_tbEUlT_E0_NS1_11comp_targetILNS1_3genE8ELNS1_11target_archE1030ELNS1_3gpuE2ELNS1_3repE0EEENS1_30default_config_static_selectorELNS0_4arch9wavefront6targetE0EEEvS10_.has_recursion, 0
	.set _ZN7rocprim17ROCPRIM_400000_NS6detail17trampoline_kernelINS0_14default_configENS1_21merge_config_selectorINS0_5tupleIJyyEEENS0_10empty_typeEEEZNS1_10merge_implIS3_NS0_12zip_iteratorINS5_IJN6thrust23THRUST_200600_302600_NS6detail15normal_iteratorINSC_10device_ptrIKyEEEESI_EEEEESK_NSA_INS5_IJNSE_INSF_IyEEEESM_EEEEEPS7_SP_SP_NSC_11hip_rocprim7__merge17predicate_wrapperIyyNSC_4lessIyEEEEEE10hipError_tPvRmT0_T1_T2_T3_T4_T5_mmT6_P12ihipStream_tbEUlT_E0_NS1_11comp_targetILNS1_3genE8ELNS1_11target_archE1030ELNS1_3gpuE2ELNS1_3repE0EEENS1_30default_config_static_selectorELNS0_4arch9wavefront6targetE0EEEvS10_.has_indirect_call, 0
	.section	.AMDGPU.csdata,"",@progbits
; Kernel info:
; codeLenInByte = 0
; TotalNumSgprs: 0
; NumVgprs: 0
; ScratchSize: 0
; MemoryBound: 0
; FloatMode: 240
; IeeeMode: 1
; LDSByteSize: 0 bytes/workgroup (compile time only)
; SGPRBlocks: 0
; VGPRBlocks: 0
; NumSGPRsForWavesPerEU: 1
; NumVGPRsForWavesPerEU: 1
; NamedBarCnt: 0
; Occupancy: 16
; WaveLimiterHint : 0
; COMPUTE_PGM_RSRC2:SCRATCH_EN: 0
; COMPUTE_PGM_RSRC2:USER_SGPR: 2
; COMPUTE_PGM_RSRC2:TRAP_HANDLER: 0
; COMPUTE_PGM_RSRC2:TGID_X_EN: 1
; COMPUTE_PGM_RSRC2:TGID_Y_EN: 0
; COMPUTE_PGM_RSRC2:TGID_Z_EN: 0
; COMPUTE_PGM_RSRC2:TIDIG_COMP_CNT: 0
	.section	.text._ZN7rocprim17ROCPRIM_400000_NS6detail17trampoline_kernelINS0_14default_configENS1_22reduce_config_selectorIN6thrust23THRUST_200600_302600_NS5tupleIblNS6_9null_typeES8_S8_S8_S8_S8_S8_S8_EEEEZNS1_11reduce_implILb1ES3_NS6_12zip_iteratorINS7_INS6_11hip_rocprim26transform_input_iterator_tIbNSD_35transform_pair_of_input_iterators_tIbNS6_6detail15normal_iteratorINS6_10device_ptrIKyEEEESL_NS6_8equal_toIyEEEENSG_9not_fun_tINSD_8identityEEEEENSD_19counting_iterator_tIlEES8_S8_S8_S8_S8_S8_S8_S8_EEEEPS9_S9_NSD_9__find_if7functorIS9_EEEE10hipError_tPvRmT1_T2_T3_mT4_P12ihipStream_tbEUlT_E0_NS1_11comp_targetILNS1_3genE0ELNS1_11target_archE4294967295ELNS1_3gpuE0ELNS1_3repE0EEENS1_30default_config_static_selectorELNS0_4arch9wavefront6targetE0EEEvS14_,"axG",@progbits,_ZN7rocprim17ROCPRIM_400000_NS6detail17trampoline_kernelINS0_14default_configENS1_22reduce_config_selectorIN6thrust23THRUST_200600_302600_NS5tupleIblNS6_9null_typeES8_S8_S8_S8_S8_S8_S8_EEEEZNS1_11reduce_implILb1ES3_NS6_12zip_iteratorINS7_INS6_11hip_rocprim26transform_input_iterator_tIbNSD_35transform_pair_of_input_iterators_tIbNS6_6detail15normal_iteratorINS6_10device_ptrIKyEEEESL_NS6_8equal_toIyEEEENSG_9not_fun_tINSD_8identityEEEEENSD_19counting_iterator_tIlEES8_S8_S8_S8_S8_S8_S8_S8_EEEEPS9_S9_NSD_9__find_if7functorIS9_EEEE10hipError_tPvRmT1_T2_T3_mT4_P12ihipStream_tbEUlT_E0_NS1_11comp_targetILNS1_3genE0ELNS1_11target_archE4294967295ELNS1_3gpuE0ELNS1_3repE0EEENS1_30default_config_static_selectorELNS0_4arch9wavefront6targetE0EEEvS14_,comdat
	.protected	_ZN7rocprim17ROCPRIM_400000_NS6detail17trampoline_kernelINS0_14default_configENS1_22reduce_config_selectorIN6thrust23THRUST_200600_302600_NS5tupleIblNS6_9null_typeES8_S8_S8_S8_S8_S8_S8_EEEEZNS1_11reduce_implILb1ES3_NS6_12zip_iteratorINS7_INS6_11hip_rocprim26transform_input_iterator_tIbNSD_35transform_pair_of_input_iterators_tIbNS6_6detail15normal_iteratorINS6_10device_ptrIKyEEEESL_NS6_8equal_toIyEEEENSG_9not_fun_tINSD_8identityEEEEENSD_19counting_iterator_tIlEES8_S8_S8_S8_S8_S8_S8_S8_EEEEPS9_S9_NSD_9__find_if7functorIS9_EEEE10hipError_tPvRmT1_T2_T3_mT4_P12ihipStream_tbEUlT_E0_NS1_11comp_targetILNS1_3genE0ELNS1_11target_archE4294967295ELNS1_3gpuE0ELNS1_3repE0EEENS1_30default_config_static_selectorELNS0_4arch9wavefront6targetE0EEEvS14_ ; -- Begin function _ZN7rocprim17ROCPRIM_400000_NS6detail17trampoline_kernelINS0_14default_configENS1_22reduce_config_selectorIN6thrust23THRUST_200600_302600_NS5tupleIblNS6_9null_typeES8_S8_S8_S8_S8_S8_S8_EEEEZNS1_11reduce_implILb1ES3_NS6_12zip_iteratorINS7_INS6_11hip_rocprim26transform_input_iterator_tIbNSD_35transform_pair_of_input_iterators_tIbNS6_6detail15normal_iteratorINS6_10device_ptrIKyEEEESL_NS6_8equal_toIyEEEENSG_9not_fun_tINSD_8identityEEEEENSD_19counting_iterator_tIlEES8_S8_S8_S8_S8_S8_S8_S8_EEEEPS9_S9_NSD_9__find_if7functorIS9_EEEE10hipError_tPvRmT1_T2_T3_mT4_P12ihipStream_tbEUlT_E0_NS1_11comp_targetILNS1_3genE0ELNS1_11target_archE4294967295ELNS1_3gpuE0ELNS1_3repE0EEENS1_30default_config_static_selectorELNS0_4arch9wavefront6targetE0EEEvS14_
	.globl	_ZN7rocprim17ROCPRIM_400000_NS6detail17trampoline_kernelINS0_14default_configENS1_22reduce_config_selectorIN6thrust23THRUST_200600_302600_NS5tupleIblNS6_9null_typeES8_S8_S8_S8_S8_S8_S8_EEEEZNS1_11reduce_implILb1ES3_NS6_12zip_iteratorINS7_INS6_11hip_rocprim26transform_input_iterator_tIbNSD_35transform_pair_of_input_iterators_tIbNS6_6detail15normal_iteratorINS6_10device_ptrIKyEEEESL_NS6_8equal_toIyEEEENSG_9not_fun_tINSD_8identityEEEEENSD_19counting_iterator_tIlEES8_S8_S8_S8_S8_S8_S8_S8_EEEEPS9_S9_NSD_9__find_if7functorIS9_EEEE10hipError_tPvRmT1_T2_T3_mT4_P12ihipStream_tbEUlT_E0_NS1_11comp_targetILNS1_3genE0ELNS1_11target_archE4294967295ELNS1_3gpuE0ELNS1_3repE0EEENS1_30default_config_static_selectorELNS0_4arch9wavefront6targetE0EEEvS14_
	.p2align	8
	.type	_ZN7rocprim17ROCPRIM_400000_NS6detail17trampoline_kernelINS0_14default_configENS1_22reduce_config_selectorIN6thrust23THRUST_200600_302600_NS5tupleIblNS6_9null_typeES8_S8_S8_S8_S8_S8_S8_EEEEZNS1_11reduce_implILb1ES3_NS6_12zip_iteratorINS7_INS6_11hip_rocprim26transform_input_iterator_tIbNSD_35transform_pair_of_input_iterators_tIbNS6_6detail15normal_iteratorINS6_10device_ptrIKyEEEESL_NS6_8equal_toIyEEEENSG_9not_fun_tINSD_8identityEEEEENSD_19counting_iterator_tIlEES8_S8_S8_S8_S8_S8_S8_S8_EEEEPS9_S9_NSD_9__find_if7functorIS9_EEEE10hipError_tPvRmT1_T2_T3_mT4_P12ihipStream_tbEUlT_E0_NS1_11comp_targetILNS1_3genE0ELNS1_11target_archE4294967295ELNS1_3gpuE0ELNS1_3repE0EEENS1_30default_config_static_selectorELNS0_4arch9wavefront6targetE0EEEvS14_,@function
_ZN7rocprim17ROCPRIM_400000_NS6detail17trampoline_kernelINS0_14default_configENS1_22reduce_config_selectorIN6thrust23THRUST_200600_302600_NS5tupleIblNS6_9null_typeES8_S8_S8_S8_S8_S8_S8_EEEEZNS1_11reduce_implILb1ES3_NS6_12zip_iteratorINS7_INS6_11hip_rocprim26transform_input_iterator_tIbNSD_35transform_pair_of_input_iterators_tIbNS6_6detail15normal_iteratorINS6_10device_ptrIKyEEEESL_NS6_8equal_toIyEEEENSG_9not_fun_tINSD_8identityEEEEENSD_19counting_iterator_tIlEES8_S8_S8_S8_S8_S8_S8_S8_EEEEPS9_S9_NSD_9__find_if7functorIS9_EEEE10hipError_tPvRmT1_T2_T3_mT4_P12ihipStream_tbEUlT_E0_NS1_11comp_targetILNS1_3genE0ELNS1_11target_archE4294967295ELNS1_3gpuE0ELNS1_3repE0EEENS1_30default_config_static_selectorELNS0_4arch9wavefront6targetE0EEEvS14_: ; @_ZN7rocprim17ROCPRIM_400000_NS6detail17trampoline_kernelINS0_14default_configENS1_22reduce_config_selectorIN6thrust23THRUST_200600_302600_NS5tupleIblNS6_9null_typeES8_S8_S8_S8_S8_S8_S8_EEEEZNS1_11reduce_implILb1ES3_NS6_12zip_iteratorINS7_INS6_11hip_rocprim26transform_input_iterator_tIbNSD_35transform_pair_of_input_iterators_tIbNS6_6detail15normal_iteratorINS6_10device_ptrIKyEEEESL_NS6_8equal_toIyEEEENSG_9not_fun_tINSD_8identityEEEEENSD_19counting_iterator_tIlEES8_S8_S8_S8_S8_S8_S8_S8_EEEEPS9_S9_NSD_9__find_if7functorIS9_EEEE10hipError_tPvRmT1_T2_T3_mT4_P12ihipStream_tbEUlT_E0_NS1_11comp_targetILNS1_3genE0ELNS1_11target_archE4294967295ELNS1_3gpuE0ELNS1_3repE0EEENS1_30default_config_static_selectorELNS0_4arch9wavefront6targetE0EEEvS14_
; %bb.0:
	s_clause 0x2
	s_load_b256 s[4:11], s[0:1], 0x20
	s_load_b128 s[24:27], s[0:1], 0x0
	s_load_b128 s[12:15], s[0:1], 0x40
	s_bfe_u32 s3, ttmp6, 0x4000c
	s_and_b32 s2, ttmp6, 15
	s_add_co_i32 s3, s3, 1
	s_getreg_b32 s16, hwreg(HW_REG_IB_STS2, 6, 4)
	s_mul_i32 s3, ttmp9, s3
	s_mov_b32 s23, 0
	s_add_co_i32 s20, s2, s3
	v_mbcnt_lo_u32_b32 v8, -1, 0
	s_mov_b32 s17, s23
	s_wait_kmcnt 0x0
	s_lshl_b64 s[2:3], s[6:7], 3
	s_cmp_eq_u32 s16, 0
	s_add_nc_u64 s[18:19], s[24:25], s[2:3]
	s_cselect_b32 s16, ttmp9, s20
	s_add_nc_u64 s[2:3], s[26:27], s[2:3]
	s_lshl_b32 s22, s16, 8
	s_lshr_b64 s[20:21], s[8:9], 8
	s_lshl_b64 s[24:25], s[22:23], 3
	s_add_nc_u64 s[4:5], s[4:5], s[22:23]
	s_cmp_lg_u64 s[20:21], s[16:17]
	s_add_nc_u64 s[18:19], s[18:19], s[24:25]
	s_add_nc_u64 s[20:21], s[2:3], s[24:25]
	s_add_nc_u64 s[6:7], s[4:5], s[6:7]
	s_cbranch_scc0 .LBB114_10
; %bb.1:
	s_clause 0x3
	global_load_b64 v[2:3], v0, s[18:19] scale_offset
	global_load_b64 v[4:5], v0, s[20:21] scale_offset
	global_load_b64 v[6:7], v0, s[20:21] offset:1024 scale_offset
	global_load_b64 v[10:11], v0, s[18:19] offset:1024 scale_offset
	s_wait_loadcnt 0x2
	v_cmp_ne_u64_e32 vcc_lo, v[2:3], v[4:5]
	v_mov_b32_e32 v1, 0
	s_wait_loadcnt 0x0
	v_cmp_ne_u64_e64 s2, v[10:11], v[6:7]
	s_delay_alu instid0(VALU_DEP_2) | instskip(NEXT) | instid1(VALU_DEP_1)
	v_add_nc_u64_e32 v[12:13], s[6:7], v[0:1]
	v_add_nc_u64_e32 v[14:15], 0x80, v[12:13]
	s_delay_alu instid0(VALU_DEP_1) | instskip(SKIP_3) | instid1(VALU_DEP_2)
	v_dual_cndmask_b32 v3, v15, v13 :: v_dual_cndmask_b32 v2, v14, v12
	s_or_b32 vcc_lo, vcc_lo, s2
	s_mov_b32 s2, exec_lo
	v_cndmask_b32_e64 v9, 0, 1, vcc_lo
	v_mov_b32_dpp v5, v3 quad_perm:[1,0,3,2] row_mask:0xf bank_mask:0xf
	s_delay_alu instid0(VALU_DEP_2) | instskip(NEXT) | instid1(VALU_DEP_1)
	v_mov_b32_dpp v6, v9 quad_perm:[1,0,3,2] row_mask:0xf bank_mask:0xf
	v_and_b32_e32 v6, 1, v6
	v_mov_b32_dpp v4, v2 quad_perm:[1,0,3,2] row_mask:0xf bank_mask:0xf
	s_delay_alu instid0(VALU_DEP_1) | instskip(NEXT) | instid1(VALU_DEP_1)
	v_min_i64 v[12:13], v[2:3], v[4:5]
	v_dual_cndmask_b32 v4, v4, v12 :: v_dual_cndmask_b32 v5, v5, v13
	s_delay_alu instid0(VALU_DEP_4) | instskip(NEXT) | instid1(VALU_DEP_2)
	v_cmp_eq_u32_e32 vcc_lo, 1, v6
	v_dual_cndmask_b32 v3, v3, v5 :: v_dual_cndmask_b32 v2, v2, v4
	v_cndmask_b32_e64 v9, v9, 1, vcc_lo
	s_delay_alu instid0(VALU_DEP_2) | instskip(NEXT) | instid1(VALU_DEP_3)
	v_mov_b32_dpp v5, v3 quad_perm:[2,3,0,1] row_mask:0xf bank_mask:0xf
	v_mov_b32_dpp v4, v2 quad_perm:[2,3,0,1] row_mask:0xf bank_mask:0xf
	s_delay_alu instid0(VALU_DEP_3) | instskip(NEXT) | instid1(VALU_DEP_2)
	v_mov_b32_dpp v11, v9 quad_perm:[2,3,0,1] row_mask:0xf bank_mask:0xf
	v_min_i64 v[6:7], v[2:3], v[4:5]
	v_and_b32_e32 v10, 1, v9
	s_delay_alu instid0(VALU_DEP_1) | instskip(NEXT) | instid1(VALU_DEP_3)
	v_cmp_eq_u32_e32 vcc_lo, 1, v10
	v_dual_cndmask_b32 v4, v4, v6 :: v_dual_cndmask_b32 v5, v5, v7
	v_and_b32_e32 v10, 1, v11
	s_delay_alu instid0(VALU_DEP_1) | instskip(NEXT) | instid1(VALU_DEP_3)
	v_cmp_eq_u32_e32 vcc_lo, 1, v10
	v_dual_cndmask_b32 v2, v2, v4 :: v_dual_cndmask_b32 v3, v3, v5
	v_cndmask_b32_e64 v9, v9, 1, vcc_lo
	s_delay_alu instid0(VALU_DEP_2) | instskip(NEXT) | instid1(VALU_DEP_3)
	v_mov_b32_dpp v4, v2 row_ror:4 row_mask:0xf bank_mask:0xf
	v_mov_b32_dpp v5, v3 row_ror:4 row_mask:0xf bank_mask:0xf
	s_delay_alu instid0(VALU_DEP_3) | instskip(NEXT) | instid1(VALU_DEP_2)
	v_mov_b32_dpp v11, v9 row_ror:4 row_mask:0xf bank_mask:0xf
	v_min_i64 v[6:7], v[2:3], v[4:5]
	v_and_b32_e32 v10, 1, v9
	s_delay_alu instid0(VALU_DEP_1) | instskip(NEXT) | instid1(VALU_DEP_3)
	v_cmp_eq_u32_e32 vcc_lo, 1, v10
	v_dual_cndmask_b32 v4, v4, v6 :: v_dual_cndmask_b32 v5, v5, v7
	v_and_b32_e32 v10, 1, v11
	s_delay_alu instid0(VALU_DEP_1) | instskip(NEXT) | instid1(VALU_DEP_3)
	v_cmp_eq_u32_e32 vcc_lo, 1, v10
	v_dual_cndmask_b32 v2, v2, v4 :: v_dual_cndmask_b32 v3, v3, v5
	v_cndmask_b32_e64 v9, v9, 1, vcc_lo
	s_delay_alu instid0(VALU_DEP_2) | instskip(NEXT) | instid1(VALU_DEP_3)
	v_mov_b32_dpp v4, v2 row_ror:8 row_mask:0xf bank_mask:0xf
	v_mov_b32_dpp v5, v3 row_ror:8 row_mask:0xf bank_mask:0xf
	s_delay_alu instid0(VALU_DEP_3) | instskip(NEXT) | instid1(VALU_DEP_2)
	v_mov_b32_dpp v11, v9 row_ror:8 row_mask:0xf bank_mask:0xf
	v_min_i64 v[6:7], v[2:3], v[4:5]
	v_and_b32_e32 v10, 1, v9
	s_delay_alu instid0(VALU_DEP_1) | instskip(NEXT) | instid1(VALU_DEP_3)
	v_cmp_eq_u32_e32 vcc_lo, 1, v10
	v_dual_cndmask_b32 v4, v4, v6 :: v_dual_cndmask_b32 v5, v5, v7
	v_and_b32_e32 v10, 1, v11
	s_delay_alu instid0(VALU_DEP_1) | instskip(NEXT) | instid1(VALU_DEP_3)
	v_cmp_eq_u32_e32 vcc_lo, 1, v10
	v_dual_cndmask_b32 v2, v2, v4 :: v_dual_cndmask_b32 v3, v3, v5
	v_cndmask_b32_e64 v9, v9, 1, vcc_lo
	ds_swizzle_b32 v4, v2 offset:swizzle(BROADCAST,32,15)
	ds_swizzle_b32 v5, v3 offset:swizzle(BROADCAST,32,15)
	ds_swizzle_b32 v10, v9 offset:swizzle(BROADCAST,32,15)
	s_wait_dscnt 0x1
	v_min_i64 v[6:7], v[2:3], v[4:5]
	v_and_b32_e32 v11, 1, v9
	s_delay_alu instid0(VALU_DEP_1) | instskip(SKIP_1) | instid1(VALU_DEP_3)
	v_cmp_eq_u32_e32 vcc_lo, 1, v11
	s_wait_dscnt 0x0
	v_dual_cndmask_b32 v5, v5, v7, vcc_lo :: v_dual_bitop2_b32 v10, 1, v10 bitop3:0x40
	s_delay_alu instid0(VALU_DEP_4) | instskip(NEXT) | instid1(VALU_DEP_2)
	v_cndmask_b32_e32 v4, v4, v6, vcc_lo
	v_cmp_eq_u32_e32 vcc_lo, 1, v10
	s_delay_alu instid0(VALU_DEP_2)
	v_dual_cndmask_b32 v3, v3, v5 :: v_dual_cndmask_b32 v2, v2, v4
	v_cndmask_b32_e64 v5, v9, 1, vcc_lo
	ds_bpermute_b32 v3, v1, v3 offset:124
	ds_bpermute_b32 v2, v1, v2 offset:124
	;; [unrolled: 1-line block ×3, first 2 shown]
	v_cmpx_eq_u32_e32 0, v8
	s_cbranch_execz .LBB114_3
; %bb.2:
	v_lshrrev_b32_e32 v1, 1, v0
	s_delay_alu instid0(VALU_DEP_1)
	v_and_b32_e32 v1, 48, v1
	s_wait_dscnt 0x0
	ds_store_b8 v1, v6
	ds_store_b64 v1, v[2:3] offset:8
.LBB114_3:
	s_or_b32 exec_lo, exec_lo, s2
	s_delay_alu instid0(SALU_CYCLE_1)
	s_mov_b32 s2, exec_lo
	s_wait_dscnt 0x0
	s_barrier_signal -1
	s_barrier_wait -1
	v_cmpx_gt_u32_e32 32, v0
	s_cbranch_execz .LBB114_9
; %bb.4:
	v_and_b32_e32 v2, 3, v8
	s_delay_alu instid0(VALU_DEP_1) | instskip(SKIP_2) | instid1(VALU_DEP_1)
	v_cmp_ne_u32_e32 vcc_lo, 3, v2
	v_lshlrev_b32_e32 v3, 4, v2
	v_add_co_ci_u32_e64 v2, null, 0, v8, vcc_lo
	v_lshlrev_b32_e32 v2, 2, v2
	ds_load_u8 v1, v3
	ds_load_b64 v[4:5], v3 offset:8
	s_wait_dscnt 0x1
	v_and_b32_e32 v3, 0xff, v1
	s_wait_dscnt 0x0
	ds_bpermute_b32 v6, v2, v4
	ds_bpermute_b32 v7, v2, v5
	;; [unrolled: 1-line block ×3, first 2 shown]
	s_wait_dscnt 0x0
	v_and_b32_e32 v2, v1, v9
	s_delay_alu instid0(VALU_DEP_1) | instskip(NEXT) | instid1(VALU_DEP_1)
	v_and_b32_e32 v2, 1, v2
	v_cmp_eq_u32_e32 vcc_lo, 1, v2
                                        ; implicit-def: $vgpr2_vgpr3
	s_and_saveexec_b32 s3, vcc_lo
	s_delay_alu instid0(SALU_CYCLE_1)
	s_xor_b32 s3, exec_lo, s3
; %bb.5:
	v_min_i64 v[2:3], v[6:7], v[4:5]
                                        ; implicit-def: $vgpr1
                                        ; implicit-def: $vgpr6_vgpr7
                                        ; implicit-def: $vgpr4_vgpr5
                                        ; implicit-def: $vgpr9
; %bb.6:
	s_or_saveexec_b32 s3, s3
	v_dual_mov_b32 v11, 1 :: v_dual_lshlrev_b32 v10, 2, v8
	s_xor_b32 exec_lo, exec_lo, s3
; %bb.7:
	v_and_b32_e32 v1, 1, v1
	s_delay_alu instid0(VALU_DEP_1) | instskip(SKIP_2) | instid1(VALU_DEP_2)
	v_cmp_eq_u32_e32 vcc_lo, 1, v1
	v_and_b32_e32 v1, 0xff, v9
	v_dual_cndmask_b32 v3, v7, v5 :: v_dual_cndmask_b32 v2, v6, v4
	v_cndmask_b32_e64 v11, v1, 1, vcc_lo
; %bb.8:
	s_or_b32 exec_lo, exec_lo, s3
	s_delay_alu instid0(VALU_DEP_1) | instskip(NEXT) | instid1(VALU_DEP_1)
	v_and_b32_e32 v6, 1, v11
	v_cmp_eq_u32_e32 vcc_lo, 1, v6
	v_or_b32_e32 v1, 8, v10
	ds_bpermute_b32 v4, v1, v2
	ds_bpermute_b32 v5, v1, v3
	s_wait_dscnt 0x0
	v_min_i64 v[12:13], v[4:5], v[2:3]
	v_cndmask_b32_e32 v3, v5, v3, vcc_lo
	ds_bpermute_b32 v1, v1, v11
	v_cndmask_b32_e32 v2, v4, v2, vcc_lo
	s_wait_dscnt 0x0
	v_bitop3_b32 v6, v11, 1, v1 bitop3:0x80
	v_cndmask_b32_e64 v1, v1, 1, vcc_lo
	s_delay_alu instid0(VALU_DEP_2) | instskip(NEXT) | instid1(VALU_DEP_2)
	v_cmp_eq_u32_e32 vcc_lo, 0, v6
	v_dual_cndmask_b32 v6, 1, v1 :: v_dual_cndmask_b32 v3, v13, v3
	v_cndmask_b32_e32 v2, v12, v2, vcc_lo
.LBB114_9:
	s_or_b32 exec_lo, exec_lo, s2
	s_load_b64 s[4:5], s[0:1], 0x58
	s_branch .LBB114_34
.LBB114_10:
                                        ; implicit-def: $vgpr2_vgpr3
                                        ; implicit-def: $vgpr6
	s_load_b64 s[4:5], s[0:1], 0x58
	s_cbranch_execz .LBB114_34
; %bb.11:
	v_mov_b64_e32 v[4:5], 0
	v_mov_b64_e32 v[2:3], 0
	v_dual_mov_b32 v7, 0 :: v_dual_mov_b32 v1, 0
	s_sub_co_i32 s22, s8, s22
	s_mov_b32 s2, exec_lo
	v_cmpx_gt_u32_e64 s22, v0
	s_cbranch_execz .LBB114_13
; %bb.12:
	s_clause 0x1
	global_load_b64 v[10:11], v0, s[18:19] scale_offset
	global_load_b64 v[12:13], v0, s[20:21] scale_offset
	v_mov_b32_e32 v1, 0
	s_delay_alu instid0(VALU_DEP_1)
	v_add_nc_u64_e32 v[2:3], s[6:7], v[0:1]
	s_wait_loadcnt 0x0
	v_cmp_ne_u64_e32 vcc_lo, v[10:11], v[12:13]
	v_cndmask_b32_e64 v1, 0, 1, vcc_lo
.LBB114_13:
	s_or_b32 exec_lo, exec_lo, s2
	v_or_b32_e32 v6, 0x80, v0
	s_delay_alu instid0(VALU_DEP_1)
	v_cmp_gt_u32_e32 vcc_lo, s22, v6
	s_and_saveexec_b32 s3, vcc_lo
	s_cbranch_execz .LBB114_15
; %bb.14:
	s_clause 0x1
	global_load_b64 v[10:11], v0, s[18:19] offset:1024 scale_offset
	global_load_b64 v[12:13], v0, s[20:21] offset:1024 scale_offset
	v_mov_b32_e32 v7, 0
	s_delay_alu instid0(VALU_DEP_1) | instskip(SKIP_2) | instid1(VALU_DEP_1)
	v_add_nc_u64_e32 v[4:5], s[6:7], v[6:7]
	s_wait_loadcnt 0x0
	v_cmp_ne_u64_e64 s2, v[10:11], v[12:13]
	v_cndmask_b32_e64 v7, 0, 1, s2
.LBB114_15:
	s_or_b32 exec_lo, exec_lo, s3
	s_delay_alu instid0(VALU_DEP_3) | instskip(NEXT) | instid1(VALU_DEP_2)
	v_min_i64 v[10:11], v[4:5], v[2:3]
	v_and_b32_e32 v6, 1, v7
	s_mov_b32 s6, exec_lo
	s_delay_alu instid0(VALU_DEP_1) | instskip(SKIP_3) | instid1(VALU_DEP_4)
	v_cmp_eq_u32_e64 s2, 1, v6
	v_and_b32_e32 v9, 1, v1
	v_and_b32_e32 v6, 0xffff, v7
	v_and_b32_e32 v1, 0xffff, v1
	v_cndmask_b32_e64 v7, v3, v11, s2
	s_delay_alu instid0(VALU_DEP_4) | instskip(SKIP_2) | instid1(VALU_DEP_3)
	v_cmp_eq_u32_e64 s3, 1, v9
	v_cndmask_b32_e64 v9, v2, v10, s2
	v_cmp_ne_u32_e64 s2, 31, v8
	v_cndmask_b32_e64 v6, v6, 1, s3
	s_delay_alu instid0(VALU_DEP_3) | instskip(NEXT) | instid1(VALU_DEP_3)
	v_dual_cndmask_b32 v4, v4, v9, s3 :: v_dual_cndmask_b32 v5, v5, v7, s3
	v_add_co_ci_u32_e64 v10, null, 0, v8, s2
	s_delay_alu instid0(VALU_DEP_2) | instskip(NEXT) | instid1(VALU_DEP_2)
	v_dual_cndmask_b32 v6, v1, v6, vcc_lo :: v_dual_cndmask_b32 v2, v2, v4, vcc_lo
	v_dual_cndmask_b32 v3, v3, v5, vcc_lo :: v_dual_lshlrev_b32 v9, 2, v10
	v_and_b32_e32 v1, 0x60, v0
	s_min_u32 s3, s22, 0x80
	ds_bpermute_b32 v7, v9, v6
	ds_bpermute_b32 v4, v9, v2
	;; [unrolled: 1-line block ×3, first 2 shown]
	v_sub_nc_u32_e64 v1, s3, v1 clamp
	v_add_nc_u32_e32 v9, 1, v8
	s_delay_alu instid0(VALU_DEP_1)
	v_cmpx_lt_u32_e64 v9, v1
	s_cbranch_execz .LBB114_17
; %bb.16:
	s_wait_dscnt 0x0
	v_min_i64 v[10:11], v[4:5], v[2:3]
	v_and_b32_e32 v9, 1, v6
	s_delay_alu instid0(VALU_DEP_1) | instskip(SKIP_3) | instid1(VALU_DEP_3)
	v_cmp_eq_u32_e32 vcc_lo, 1, v9
	v_and_b32_e32 v6, v6, v7
	v_and_b32_e32 v7, 0xff, v7
	v_dual_cndmask_b32 v2, v4, v2 :: v_dual_cndmask_b32 v3, v5, v3
	v_cmp_eq_u32_e64 s2, 0, v6
	s_delay_alu instid0(VALU_DEP_3) | instskip(NEXT) | instid1(VALU_DEP_1)
	v_cndmask_b32_e64 v4, v7, 1, vcc_lo
	v_dual_cndmask_b32 v6, 1, v4, s2 :: v_dual_cndmask_b32 v3, v11, v3, s2
	s_delay_alu instid0(VALU_DEP_4)
	v_cndmask_b32_e64 v2, v10, v2, s2
.LBB114_17:
	s_or_b32 exec_lo, exec_lo, s6
	v_cmp_gt_u32_e32 vcc_lo, 30, v8
	v_add_nc_u32_e32 v9, 2, v8
	s_mov_b32 s6, exec_lo
	s_wait_dscnt 0x1
	v_cndmask_b32_e64 v4, 0, 2, vcc_lo
	s_wait_dscnt 0x0
	s_delay_alu instid0(VALU_DEP_1)
	v_add_lshl_u32 v5, v4, v8, 2
	ds_bpermute_b32 v7, v5, v6
	ds_bpermute_b32 v4, v5, v2
	ds_bpermute_b32 v5, v5, v3
	v_cmpx_lt_u32_e64 v9, v1
	s_cbranch_execz .LBB114_19
; %bb.18:
	s_wait_dscnt 0x0
	v_min_i64 v[10:11], v[4:5], v[2:3]
	v_and_b32_e32 v9, 1, v6
	v_bitop3_b32 v6, v6, 1, v7 bitop3:0x80
	v_and_b32_e32 v7, 0xff, v7
	s_delay_alu instid0(VALU_DEP_3) | instskip(NEXT) | instid1(VALU_DEP_3)
	v_cmp_eq_u32_e32 vcc_lo, 1, v9
	v_cmp_eq_u32_e64 s2, 0, v6
	v_dual_cndmask_b32 v3, v5, v3 :: v_dual_cndmask_b32 v2, v4, v2
	s_delay_alu instid0(VALU_DEP_4) | instskip(NEXT) | instid1(VALU_DEP_1)
	v_cndmask_b32_e64 v4, v7, 1, vcc_lo
	v_dual_cndmask_b32 v6, 1, v4, s2 :: v_dual_cndmask_b32 v3, v11, v3, s2
	s_delay_alu instid0(VALU_DEP_3)
	v_cndmask_b32_e64 v2, v10, v2, s2
.LBB114_19:
	s_or_b32 exec_lo, exec_lo, s6
	v_cmp_gt_u32_e32 vcc_lo, 28, v8
	v_add_nc_u32_e32 v9, 4, v8
	s_mov_b32 s6, exec_lo
	s_wait_dscnt 0x1
	v_cndmask_b32_e64 v4, 0, 4, vcc_lo
	s_wait_dscnt 0x0
	s_delay_alu instid0(VALU_DEP_1)
	v_add_lshl_u32 v5, v4, v8, 2
	ds_bpermute_b32 v7, v5, v6
	ds_bpermute_b32 v4, v5, v2
	ds_bpermute_b32 v5, v5, v3
	v_cmpx_lt_u32_e64 v9, v1
	s_cbranch_execz .LBB114_21
; %bb.20:
	s_wait_dscnt 0x0
	v_min_i64 v[10:11], v[4:5], v[2:3]
	v_and_b32_e32 v9, 1, v6
	v_bitop3_b32 v6, v6, 1, v7 bitop3:0x80
	v_and_b32_e32 v7, 0xff, v7
	s_delay_alu instid0(VALU_DEP_3) | instskip(NEXT) | instid1(VALU_DEP_3)
	v_cmp_eq_u32_e32 vcc_lo, 1, v9
	v_cmp_eq_u32_e64 s2, 0, v6
	v_dual_cndmask_b32 v3, v5, v3 :: v_dual_cndmask_b32 v2, v4, v2
	s_delay_alu instid0(VALU_DEP_4) | instskip(NEXT) | instid1(VALU_DEP_1)
	v_cndmask_b32_e64 v4, v7, 1, vcc_lo
	v_dual_cndmask_b32 v6, 1, v4, s2 :: v_dual_cndmask_b32 v3, v11, v3, s2
	s_delay_alu instid0(VALU_DEP_3)
	v_cndmask_b32_e64 v2, v10, v2, s2
.LBB114_21:
	;; [unrolled: 30-line block ×3, first 2 shown]
	s_or_b32 exec_lo, exec_lo, s6
	s_wait_dscnt 0x2
	v_dual_lshlrev_b32 v7, 2, v8 :: v_dual_add_nc_u32 v10, 16, v8
	s_wait_dscnt 0x0
	s_delay_alu instid0(VALU_DEP_1) | instskip(NEXT) | instid1(VALU_DEP_2)
	v_or_b32_e32 v5, 64, v7
	v_cmp_lt_u32_e32 vcc_lo, v10, v1
	v_mov_b32_e32 v1, v6
	ds_bpermute_b32 v9, v5, v6
	ds_bpermute_b32 v4, v5, v2
	;; [unrolled: 1-line block ×3, first 2 shown]
	s_and_saveexec_b32 s6, vcc_lo
	s_cbranch_execz .LBB114_25
; %bb.24:
	s_wait_dscnt 0x0
	v_min_i64 v[10:11], v[4:5], v[2:3]
	v_and_b32_e32 v1, 1, v6
	v_bitop3_b32 v6, v6, 1, v9 bitop3:0x80
	s_delay_alu instid0(VALU_DEP_2) | instskip(NEXT) | instid1(VALU_DEP_2)
	v_cmp_eq_u32_e32 vcc_lo, 1, v1
	v_cmp_eq_u32_e64 s2, 0, v6
	v_cndmask_b32_e64 v1, v9, 1, vcc_lo
	v_dual_cndmask_b32 v3, v5, v3 :: v_dual_cndmask_b32 v2, v4, v2
	s_delay_alu instid0(VALU_DEP_2) | instskip(NEXT) | instid1(VALU_DEP_1)
	v_cndmask_b32_e64 v1, 1, v1, s2
	v_and_b32_e32 v6, 0xff, v1
	s_delay_alu instid0(VALU_DEP_3)
	v_dual_cndmask_b32 v3, v11, v3, s2 :: v_dual_cndmask_b32 v2, v10, v2, s2
.LBB114_25:
	s_or_b32 exec_lo, exec_lo, s6
	s_delay_alu instid0(SALU_CYCLE_1)
	s_mov_b32 s2, exec_lo
	v_cmpx_eq_u32_e32 0, v8
	s_cbranch_execz .LBB114_27
; %bb.26:
	s_wait_dscnt 0x1
	v_lshrrev_b32_e32 v4, 1, v0
	s_delay_alu instid0(VALU_DEP_1)
	v_and_b32_e32 v4, 48, v4
	ds_store_b8 v4, v1 offset:64
	ds_store_b64 v4, v[2:3] offset:72
.LBB114_27:
	s_or_b32 exec_lo, exec_lo, s2
	s_delay_alu instid0(SALU_CYCLE_1)
	s_mov_b32 s6, exec_lo
	s_wait_dscnt 0x0
	s_barrier_signal -1
	s_barrier_wait -1
	v_cmpx_gt_u32_e32 4, v0
	s_cbranch_execz .LBB114_33
; %bb.28:
	v_lshlrev_b32_e32 v1, 4, v8
	s_add_co_i32 s3, s3, 31
	s_mov_b32 s7, exec_lo
	s_lshr_b32 s3, s3, 5
	ds_load_u8 v9, v1 offset:64
	ds_load_b64 v[2:3], v1 offset:72
	v_and_b32_e32 v1, 3, v8
	s_delay_alu instid0(VALU_DEP_1) | instskip(SKIP_2) | instid1(VALU_DEP_1)
	v_cmp_ne_u32_e32 vcc_lo, 3, v1
	v_add_nc_u32_e32 v10, 1, v1
	v_add_co_ci_u32_e64 v4, null, 0, v8, vcc_lo
	v_lshlrev_b32_e32 v5, 2, v4
	s_wait_dscnt 0x1
	v_and_b32_e32 v6, 0xff, v9
	s_wait_dscnt 0x0
	ds_bpermute_b32 v4, v5, v2
	ds_bpermute_b32 v8, v5, v6
	;; [unrolled: 1-line block ×3, first 2 shown]
	v_cmpx_gt_u32_e64 s3, v10
	s_cbranch_execz .LBB114_30
; %bb.29:
	s_wait_dscnt 0x0
	v_min_i64 v[10:11], v[4:5], v[2:3]
	v_and_b32_e32 v9, 1, v9
	v_bitop3_b32 v6, v6, 1, v8 bitop3:0x80
	v_and_b32_e32 v8, 0xff, v8
	s_delay_alu instid0(VALU_DEP_3) | instskip(NEXT) | instid1(VALU_DEP_3)
	v_cmp_eq_u32_e32 vcc_lo, 1, v9
	v_cmp_eq_u32_e64 s2, 0, v6
	v_dual_cndmask_b32 v2, v4, v2 :: v_dual_cndmask_b32 v3, v5, v3
	s_delay_alu instid0(VALU_DEP_4) | instskip(NEXT) | instid1(VALU_DEP_1)
	v_cndmask_b32_e64 v4, v8, 1, vcc_lo
	v_dual_cndmask_b32 v6, 1, v4, s2 :: v_dual_cndmask_b32 v2, v10, v2, s2
	s_delay_alu instid0(VALU_DEP_3)
	v_cndmask_b32_e64 v3, v11, v3, s2
.LBB114_30:
	s_or_b32 exec_lo, exec_lo, s7
	s_wait_dscnt 0x0
	v_dual_add_nc_u32 v1, 2, v1 :: v_dual_bitop2_b32 v5, 8, v7 bitop3:0x54
	ds_bpermute_b32 v7, v5, v6
	ds_bpermute_b32 v4, v5, v2
	;; [unrolled: 1-line block ×3, first 2 shown]
	v_cmp_gt_u32_e32 vcc_lo, s3, v1
	s_and_saveexec_b32 s3, vcc_lo
	s_cbranch_execz .LBB114_32
; %bb.31:
	s_wait_dscnt 0x0
	v_min_i64 v[8:9], v[4:5], v[2:3]
	v_and_b32_e32 v1, 1, v6
	s_delay_alu instid0(VALU_DEP_1) | instskip(SKIP_2) | instid1(VALU_DEP_2)
	v_cmp_eq_u32_e32 vcc_lo, 1, v1
	v_bitop3_b32 v1, v6, 1, v7 bitop3:0x80
	v_cndmask_b32_e32 v3, v5, v3, vcc_lo
	v_cmp_eq_u32_e64 s2, 0, v1
	v_cndmask_b32_e32 v2, v4, v2, vcc_lo
	v_cndmask_b32_e64 v1, v7, 1, vcc_lo
	s_delay_alu instid0(VALU_DEP_1) | instskip(NEXT) | instid1(VALU_DEP_3)
	v_dual_cndmask_b32 v6, 1, v1, s2 :: v_dual_cndmask_b32 v3, v9, v3, s2
	v_cndmask_b32_e64 v2, v8, v2, s2
.LBB114_32:
	s_or_b32 exec_lo, exec_lo, s3
.LBB114_33:
	s_delay_alu instid0(SALU_CYCLE_1)
	s_or_b32 exec_lo, exec_lo, s6
.LBB114_34:
	s_wait_xcnt 0x0
	s_load_b32 s0, s[0:1], 0x50
	s_wait_xcnt 0x0
	s_mov_b32 s1, exec_lo
	v_cmpx_eq_u32_e32 0, v0
	s_cbranch_execz .LBB114_36
; %bb.35:
	s_mul_u64 s[2:3], s[14:15], s[12:13]
	s_delay_alu instid0(SALU_CYCLE_1)
	s_lshl_b64 s[2:3], s[2:3], 4
	s_cmp_eq_u64 s[8:9], 0
	s_add_nc_u64 s[2:3], s[10:11], s[2:3]
	s_cselect_b32 s1, -1, 0
	s_wait_kmcnt 0x0
	v_cndmask_b32_e64 v1, v3, s5, s1
	v_cndmask_b32_e64 v0, v2, s4, s1
	;; [unrolled: 1-line block ×3, first 2 shown]
	v_mov_b32_e32 v3, 0
	s_lshl_b64 s[0:1], s[16:17], 4
	s_delay_alu instid0(SALU_CYCLE_1)
	s_add_nc_u64 s[0:1], s[2:3], s[0:1]
	s_clause 0x1
	global_store_b8 v3, v2, s[0:1]
	global_store_b64 v3, v[0:1], s[0:1] offset:8
.LBB114_36:
	s_endpgm
	.section	.rodata,"a",@progbits
	.p2align	6, 0x0
	.amdhsa_kernel _ZN7rocprim17ROCPRIM_400000_NS6detail17trampoline_kernelINS0_14default_configENS1_22reduce_config_selectorIN6thrust23THRUST_200600_302600_NS5tupleIblNS6_9null_typeES8_S8_S8_S8_S8_S8_S8_EEEEZNS1_11reduce_implILb1ES3_NS6_12zip_iteratorINS7_INS6_11hip_rocprim26transform_input_iterator_tIbNSD_35transform_pair_of_input_iterators_tIbNS6_6detail15normal_iteratorINS6_10device_ptrIKyEEEESL_NS6_8equal_toIyEEEENSG_9not_fun_tINSD_8identityEEEEENSD_19counting_iterator_tIlEES8_S8_S8_S8_S8_S8_S8_S8_EEEEPS9_S9_NSD_9__find_if7functorIS9_EEEE10hipError_tPvRmT1_T2_T3_mT4_P12ihipStream_tbEUlT_E0_NS1_11comp_targetILNS1_3genE0ELNS1_11target_archE4294967295ELNS1_3gpuE0ELNS1_3repE0EEENS1_30default_config_static_selectorELNS0_4arch9wavefront6targetE0EEEvS14_
		.amdhsa_group_segment_fixed_size 128
		.amdhsa_private_segment_fixed_size 0
		.amdhsa_kernarg_size 104
		.amdhsa_user_sgpr_count 2
		.amdhsa_user_sgpr_dispatch_ptr 0
		.amdhsa_user_sgpr_queue_ptr 0
		.amdhsa_user_sgpr_kernarg_segment_ptr 1
		.amdhsa_user_sgpr_dispatch_id 0
		.amdhsa_user_sgpr_kernarg_preload_length 0
		.amdhsa_user_sgpr_kernarg_preload_offset 0
		.amdhsa_user_sgpr_private_segment_size 0
		.amdhsa_wavefront_size32 1
		.amdhsa_uses_dynamic_stack 0
		.amdhsa_enable_private_segment 0
		.amdhsa_system_sgpr_workgroup_id_x 1
		.amdhsa_system_sgpr_workgroup_id_y 0
		.amdhsa_system_sgpr_workgroup_id_z 0
		.amdhsa_system_sgpr_workgroup_info 0
		.amdhsa_system_vgpr_workitem_id 0
		.amdhsa_next_free_vgpr 16
		.amdhsa_next_free_sgpr 28
		.amdhsa_named_barrier_count 0
		.amdhsa_reserve_vcc 1
		.amdhsa_float_round_mode_32 0
		.amdhsa_float_round_mode_16_64 0
		.amdhsa_float_denorm_mode_32 3
		.amdhsa_float_denorm_mode_16_64 3
		.amdhsa_fp16_overflow 0
		.amdhsa_memory_ordered 1
		.amdhsa_forward_progress 1
		.amdhsa_inst_pref_size 23
		.amdhsa_round_robin_scheduling 0
		.amdhsa_exception_fp_ieee_invalid_op 0
		.amdhsa_exception_fp_denorm_src 0
		.amdhsa_exception_fp_ieee_div_zero 0
		.amdhsa_exception_fp_ieee_overflow 0
		.amdhsa_exception_fp_ieee_underflow 0
		.amdhsa_exception_fp_ieee_inexact 0
		.amdhsa_exception_int_div_zero 0
	.end_amdhsa_kernel
	.section	.text._ZN7rocprim17ROCPRIM_400000_NS6detail17trampoline_kernelINS0_14default_configENS1_22reduce_config_selectorIN6thrust23THRUST_200600_302600_NS5tupleIblNS6_9null_typeES8_S8_S8_S8_S8_S8_S8_EEEEZNS1_11reduce_implILb1ES3_NS6_12zip_iteratorINS7_INS6_11hip_rocprim26transform_input_iterator_tIbNSD_35transform_pair_of_input_iterators_tIbNS6_6detail15normal_iteratorINS6_10device_ptrIKyEEEESL_NS6_8equal_toIyEEEENSG_9not_fun_tINSD_8identityEEEEENSD_19counting_iterator_tIlEES8_S8_S8_S8_S8_S8_S8_S8_EEEEPS9_S9_NSD_9__find_if7functorIS9_EEEE10hipError_tPvRmT1_T2_T3_mT4_P12ihipStream_tbEUlT_E0_NS1_11comp_targetILNS1_3genE0ELNS1_11target_archE4294967295ELNS1_3gpuE0ELNS1_3repE0EEENS1_30default_config_static_selectorELNS0_4arch9wavefront6targetE0EEEvS14_,"axG",@progbits,_ZN7rocprim17ROCPRIM_400000_NS6detail17trampoline_kernelINS0_14default_configENS1_22reduce_config_selectorIN6thrust23THRUST_200600_302600_NS5tupleIblNS6_9null_typeES8_S8_S8_S8_S8_S8_S8_EEEEZNS1_11reduce_implILb1ES3_NS6_12zip_iteratorINS7_INS6_11hip_rocprim26transform_input_iterator_tIbNSD_35transform_pair_of_input_iterators_tIbNS6_6detail15normal_iteratorINS6_10device_ptrIKyEEEESL_NS6_8equal_toIyEEEENSG_9not_fun_tINSD_8identityEEEEENSD_19counting_iterator_tIlEES8_S8_S8_S8_S8_S8_S8_S8_EEEEPS9_S9_NSD_9__find_if7functorIS9_EEEE10hipError_tPvRmT1_T2_T3_mT4_P12ihipStream_tbEUlT_E0_NS1_11comp_targetILNS1_3genE0ELNS1_11target_archE4294967295ELNS1_3gpuE0ELNS1_3repE0EEENS1_30default_config_static_selectorELNS0_4arch9wavefront6targetE0EEEvS14_,comdat
.Lfunc_end114:
	.size	_ZN7rocprim17ROCPRIM_400000_NS6detail17trampoline_kernelINS0_14default_configENS1_22reduce_config_selectorIN6thrust23THRUST_200600_302600_NS5tupleIblNS6_9null_typeES8_S8_S8_S8_S8_S8_S8_EEEEZNS1_11reduce_implILb1ES3_NS6_12zip_iteratorINS7_INS6_11hip_rocprim26transform_input_iterator_tIbNSD_35transform_pair_of_input_iterators_tIbNS6_6detail15normal_iteratorINS6_10device_ptrIKyEEEESL_NS6_8equal_toIyEEEENSG_9not_fun_tINSD_8identityEEEEENSD_19counting_iterator_tIlEES8_S8_S8_S8_S8_S8_S8_S8_EEEEPS9_S9_NSD_9__find_if7functorIS9_EEEE10hipError_tPvRmT1_T2_T3_mT4_P12ihipStream_tbEUlT_E0_NS1_11comp_targetILNS1_3genE0ELNS1_11target_archE4294967295ELNS1_3gpuE0ELNS1_3repE0EEENS1_30default_config_static_selectorELNS0_4arch9wavefront6targetE0EEEvS14_, .Lfunc_end114-_ZN7rocprim17ROCPRIM_400000_NS6detail17trampoline_kernelINS0_14default_configENS1_22reduce_config_selectorIN6thrust23THRUST_200600_302600_NS5tupleIblNS6_9null_typeES8_S8_S8_S8_S8_S8_S8_EEEEZNS1_11reduce_implILb1ES3_NS6_12zip_iteratorINS7_INS6_11hip_rocprim26transform_input_iterator_tIbNSD_35transform_pair_of_input_iterators_tIbNS6_6detail15normal_iteratorINS6_10device_ptrIKyEEEESL_NS6_8equal_toIyEEEENSG_9not_fun_tINSD_8identityEEEEENSD_19counting_iterator_tIlEES8_S8_S8_S8_S8_S8_S8_S8_EEEEPS9_S9_NSD_9__find_if7functorIS9_EEEE10hipError_tPvRmT1_T2_T3_mT4_P12ihipStream_tbEUlT_E0_NS1_11comp_targetILNS1_3genE0ELNS1_11target_archE4294967295ELNS1_3gpuE0ELNS1_3repE0EEENS1_30default_config_static_selectorELNS0_4arch9wavefront6targetE0EEEvS14_
                                        ; -- End function
	.set _ZN7rocprim17ROCPRIM_400000_NS6detail17trampoline_kernelINS0_14default_configENS1_22reduce_config_selectorIN6thrust23THRUST_200600_302600_NS5tupleIblNS6_9null_typeES8_S8_S8_S8_S8_S8_S8_EEEEZNS1_11reduce_implILb1ES3_NS6_12zip_iteratorINS7_INS6_11hip_rocprim26transform_input_iterator_tIbNSD_35transform_pair_of_input_iterators_tIbNS6_6detail15normal_iteratorINS6_10device_ptrIKyEEEESL_NS6_8equal_toIyEEEENSG_9not_fun_tINSD_8identityEEEEENSD_19counting_iterator_tIlEES8_S8_S8_S8_S8_S8_S8_S8_EEEEPS9_S9_NSD_9__find_if7functorIS9_EEEE10hipError_tPvRmT1_T2_T3_mT4_P12ihipStream_tbEUlT_E0_NS1_11comp_targetILNS1_3genE0ELNS1_11target_archE4294967295ELNS1_3gpuE0ELNS1_3repE0EEENS1_30default_config_static_selectorELNS0_4arch9wavefront6targetE0EEEvS14_.num_vgpr, 16
	.set _ZN7rocprim17ROCPRIM_400000_NS6detail17trampoline_kernelINS0_14default_configENS1_22reduce_config_selectorIN6thrust23THRUST_200600_302600_NS5tupleIblNS6_9null_typeES8_S8_S8_S8_S8_S8_S8_EEEEZNS1_11reduce_implILb1ES3_NS6_12zip_iteratorINS7_INS6_11hip_rocprim26transform_input_iterator_tIbNSD_35transform_pair_of_input_iterators_tIbNS6_6detail15normal_iteratorINS6_10device_ptrIKyEEEESL_NS6_8equal_toIyEEEENSG_9not_fun_tINSD_8identityEEEEENSD_19counting_iterator_tIlEES8_S8_S8_S8_S8_S8_S8_S8_EEEEPS9_S9_NSD_9__find_if7functorIS9_EEEE10hipError_tPvRmT1_T2_T3_mT4_P12ihipStream_tbEUlT_E0_NS1_11comp_targetILNS1_3genE0ELNS1_11target_archE4294967295ELNS1_3gpuE0ELNS1_3repE0EEENS1_30default_config_static_selectorELNS0_4arch9wavefront6targetE0EEEvS14_.num_agpr, 0
	.set _ZN7rocprim17ROCPRIM_400000_NS6detail17trampoline_kernelINS0_14default_configENS1_22reduce_config_selectorIN6thrust23THRUST_200600_302600_NS5tupleIblNS6_9null_typeES8_S8_S8_S8_S8_S8_S8_EEEEZNS1_11reduce_implILb1ES3_NS6_12zip_iteratorINS7_INS6_11hip_rocprim26transform_input_iterator_tIbNSD_35transform_pair_of_input_iterators_tIbNS6_6detail15normal_iteratorINS6_10device_ptrIKyEEEESL_NS6_8equal_toIyEEEENSG_9not_fun_tINSD_8identityEEEEENSD_19counting_iterator_tIlEES8_S8_S8_S8_S8_S8_S8_S8_EEEEPS9_S9_NSD_9__find_if7functorIS9_EEEE10hipError_tPvRmT1_T2_T3_mT4_P12ihipStream_tbEUlT_E0_NS1_11comp_targetILNS1_3genE0ELNS1_11target_archE4294967295ELNS1_3gpuE0ELNS1_3repE0EEENS1_30default_config_static_selectorELNS0_4arch9wavefront6targetE0EEEvS14_.numbered_sgpr, 28
	.set _ZN7rocprim17ROCPRIM_400000_NS6detail17trampoline_kernelINS0_14default_configENS1_22reduce_config_selectorIN6thrust23THRUST_200600_302600_NS5tupleIblNS6_9null_typeES8_S8_S8_S8_S8_S8_S8_EEEEZNS1_11reduce_implILb1ES3_NS6_12zip_iteratorINS7_INS6_11hip_rocprim26transform_input_iterator_tIbNSD_35transform_pair_of_input_iterators_tIbNS6_6detail15normal_iteratorINS6_10device_ptrIKyEEEESL_NS6_8equal_toIyEEEENSG_9not_fun_tINSD_8identityEEEEENSD_19counting_iterator_tIlEES8_S8_S8_S8_S8_S8_S8_S8_EEEEPS9_S9_NSD_9__find_if7functorIS9_EEEE10hipError_tPvRmT1_T2_T3_mT4_P12ihipStream_tbEUlT_E0_NS1_11comp_targetILNS1_3genE0ELNS1_11target_archE4294967295ELNS1_3gpuE0ELNS1_3repE0EEENS1_30default_config_static_selectorELNS0_4arch9wavefront6targetE0EEEvS14_.num_named_barrier, 0
	.set _ZN7rocprim17ROCPRIM_400000_NS6detail17trampoline_kernelINS0_14default_configENS1_22reduce_config_selectorIN6thrust23THRUST_200600_302600_NS5tupleIblNS6_9null_typeES8_S8_S8_S8_S8_S8_S8_EEEEZNS1_11reduce_implILb1ES3_NS6_12zip_iteratorINS7_INS6_11hip_rocprim26transform_input_iterator_tIbNSD_35transform_pair_of_input_iterators_tIbNS6_6detail15normal_iteratorINS6_10device_ptrIKyEEEESL_NS6_8equal_toIyEEEENSG_9not_fun_tINSD_8identityEEEEENSD_19counting_iterator_tIlEES8_S8_S8_S8_S8_S8_S8_S8_EEEEPS9_S9_NSD_9__find_if7functorIS9_EEEE10hipError_tPvRmT1_T2_T3_mT4_P12ihipStream_tbEUlT_E0_NS1_11comp_targetILNS1_3genE0ELNS1_11target_archE4294967295ELNS1_3gpuE0ELNS1_3repE0EEENS1_30default_config_static_selectorELNS0_4arch9wavefront6targetE0EEEvS14_.private_seg_size, 0
	.set _ZN7rocprim17ROCPRIM_400000_NS6detail17trampoline_kernelINS0_14default_configENS1_22reduce_config_selectorIN6thrust23THRUST_200600_302600_NS5tupleIblNS6_9null_typeES8_S8_S8_S8_S8_S8_S8_EEEEZNS1_11reduce_implILb1ES3_NS6_12zip_iteratorINS7_INS6_11hip_rocprim26transform_input_iterator_tIbNSD_35transform_pair_of_input_iterators_tIbNS6_6detail15normal_iteratorINS6_10device_ptrIKyEEEESL_NS6_8equal_toIyEEEENSG_9not_fun_tINSD_8identityEEEEENSD_19counting_iterator_tIlEES8_S8_S8_S8_S8_S8_S8_S8_EEEEPS9_S9_NSD_9__find_if7functorIS9_EEEE10hipError_tPvRmT1_T2_T3_mT4_P12ihipStream_tbEUlT_E0_NS1_11comp_targetILNS1_3genE0ELNS1_11target_archE4294967295ELNS1_3gpuE0ELNS1_3repE0EEENS1_30default_config_static_selectorELNS0_4arch9wavefront6targetE0EEEvS14_.uses_vcc, 1
	.set _ZN7rocprim17ROCPRIM_400000_NS6detail17trampoline_kernelINS0_14default_configENS1_22reduce_config_selectorIN6thrust23THRUST_200600_302600_NS5tupleIblNS6_9null_typeES8_S8_S8_S8_S8_S8_S8_EEEEZNS1_11reduce_implILb1ES3_NS6_12zip_iteratorINS7_INS6_11hip_rocprim26transform_input_iterator_tIbNSD_35transform_pair_of_input_iterators_tIbNS6_6detail15normal_iteratorINS6_10device_ptrIKyEEEESL_NS6_8equal_toIyEEEENSG_9not_fun_tINSD_8identityEEEEENSD_19counting_iterator_tIlEES8_S8_S8_S8_S8_S8_S8_S8_EEEEPS9_S9_NSD_9__find_if7functorIS9_EEEE10hipError_tPvRmT1_T2_T3_mT4_P12ihipStream_tbEUlT_E0_NS1_11comp_targetILNS1_3genE0ELNS1_11target_archE4294967295ELNS1_3gpuE0ELNS1_3repE0EEENS1_30default_config_static_selectorELNS0_4arch9wavefront6targetE0EEEvS14_.uses_flat_scratch, 0
	.set _ZN7rocprim17ROCPRIM_400000_NS6detail17trampoline_kernelINS0_14default_configENS1_22reduce_config_selectorIN6thrust23THRUST_200600_302600_NS5tupleIblNS6_9null_typeES8_S8_S8_S8_S8_S8_S8_EEEEZNS1_11reduce_implILb1ES3_NS6_12zip_iteratorINS7_INS6_11hip_rocprim26transform_input_iterator_tIbNSD_35transform_pair_of_input_iterators_tIbNS6_6detail15normal_iteratorINS6_10device_ptrIKyEEEESL_NS6_8equal_toIyEEEENSG_9not_fun_tINSD_8identityEEEEENSD_19counting_iterator_tIlEES8_S8_S8_S8_S8_S8_S8_S8_EEEEPS9_S9_NSD_9__find_if7functorIS9_EEEE10hipError_tPvRmT1_T2_T3_mT4_P12ihipStream_tbEUlT_E0_NS1_11comp_targetILNS1_3genE0ELNS1_11target_archE4294967295ELNS1_3gpuE0ELNS1_3repE0EEENS1_30default_config_static_selectorELNS0_4arch9wavefront6targetE0EEEvS14_.has_dyn_sized_stack, 0
	.set _ZN7rocprim17ROCPRIM_400000_NS6detail17trampoline_kernelINS0_14default_configENS1_22reduce_config_selectorIN6thrust23THRUST_200600_302600_NS5tupleIblNS6_9null_typeES8_S8_S8_S8_S8_S8_S8_EEEEZNS1_11reduce_implILb1ES3_NS6_12zip_iteratorINS7_INS6_11hip_rocprim26transform_input_iterator_tIbNSD_35transform_pair_of_input_iterators_tIbNS6_6detail15normal_iteratorINS6_10device_ptrIKyEEEESL_NS6_8equal_toIyEEEENSG_9not_fun_tINSD_8identityEEEEENSD_19counting_iterator_tIlEES8_S8_S8_S8_S8_S8_S8_S8_EEEEPS9_S9_NSD_9__find_if7functorIS9_EEEE10hipError_tPvRmT1_T2_T3_mT4_P12ihipStream_tbEUlT_E0_NS1_11comp_targetILNS1_3genE0ELNS1_11target_archE4294967295ELNS1_3gpuE0ELNS1_3repE0EEENS1_30default_config_static_selectorELNS0_4arch9wavefront6targetE0EEEvS14_.has_recursion, 0
	.set _ZN7rocprim17ROCPRIM_400000_NS6detail17trampoline_kernelINS0_14default_configENS1_22reduce_config_selectorIN6thrust23THRUST_200600_302600_NS5tupleIblNS6_9null_typeES8_S8_S8_S8_S8_S8_S8_EEEEZNS1_11reduce_implILb1ES3_NS6_12zip_iteratorINS7_INS6_11hip_rocprim26transform_input_iterator_tIbNSD_35transform_pair_of_input_iterators_tIbNS6_6detail15normal_iteratorINS6_10device_ptrIKyEEEESL_NS6_8equal_toIyEEEENSG_9not_fun_tINSD_8identityEEEEENSD_19counting_iterator_tIlEES8_S8_S8_S8_S8_S8_S8_S8_EEEEPS9_S9_NSD_9__find_if7functorIS9_EEEE10hipError_tPvRmT1_T2_T3_mT4_P12ihipStream_tbEUlT_E0_NS1_11comp_targetILNS1_3genE0ELNS1_11target_archE4294967295ELNS1_3gpuE0ELNS1_3repE0EEENS1_30default_config_static_selectorELNS0_4arch9wavefront6targetE0EEEvS14_.has_indirect_call, 0
	.section	.AMDGPU.csdata,"",@progbits
; Kernel info:
; codeLenInByte = 2828
; TotalNumSgprs: 30
; NumVgprs: 16
; ScratchSize: 0
; MemoryBound: 0
; FloatMode: 240
; IeeeMode: 1
; LDSByteSize: 128 bytes/workgroup (compile time only)
; SGPRBlocks: 0
; VGPRBlocks: 0
; NumSGPRsForWavesPerEU: 30
; NumVGPRsForWavesPerEU: 16
; NamedBarCnt: 0
; Occupancy: 16
; WaveLimiterHint : 0
; COMPUTE_PGM_RSRC2:SCRATCH_EN: 0
; COMPUTE_PGM_RSRC2:USER_SGPR: 2
; COMPUTE_PGM_RSRC2:TRAP_HANDLER: 0
; COMPUTE_PGM_RSRC2:TGID_X_EN: 1
; COMPUTE_PGM_RSRC2:TGID_Y_EN: 0
; COMPUTE_PGM_RSRC2:TGID_Z_EN: 0
; COMPUTE_PGM_RSRC2:TIDIG_COMP_CNT: 0
	.section	.text._ZN7rocprim17ROCPRIM_400000_NS6detail17trampoline_kernelINS0_14default_configENS1_22reduce_config_selectorIN6thrust23THRUST_200600_302600_NS5tupleIblNS6_9null_typeES8_S8_S8_S8_S8_S8_S8_EEEEZNS1_11reduce_implILb1ES3_NS6_12zip_iteratorINS7_INS6_11hip_rocprim26transform_input_iterator_tIbNSD_35transform_pair_of_input_iterators_tIbNS6_6detail15normal_iteratorINS6_10device_ptrIKyEEEESL_NS6_8equal_toIyEEEENSG_9not_fun_tINSD_8identityEEEEENSD_19counting_iterator_tIlEES8_S8_S8_S8_S8_S8_S8_S8_EEEEPS9_S9_NSD_9__find_if7functorIS9_EEEE10hipError_tPvRmT1_T2_T3_mT4_P12ihipStream_tbEUlT_E0_NS1_11comp_targetILNS1_3genE5ELNS1_11target_archE942ELNS1_3gpuE9ELNS1_3repE0EEENS1_30default_config_static_selectorELNS0_4arch9wavefront6targetE0EEEvS14_,"axG",@progbits,_ZN7rocprim17ROCPRIM_400000_NS6detail17trampoline_kernelINS0_14default_configENS1_22reduce_config_selectorIN6thrust23THRUST_200600_302600_NS5tupleIblNS6_9null_typeES8_S8_S8_S8_S8_S8_S8_EEEEZNS1_11reduce_implILb1ES3_NS6_12zip_iteratorINS7_INS6_11hip_rocprim26transform_input_iterator_tIbNSD_35transform_pair_of_input_iterators_tIbNS6_6detail15normal_iteratorINS6_10device_ptrIKyEEEESL_NS6_8equal_toIyEEEENSG_9not_fun_tINSD_8identityEEEEENSD_19counting_iterator_tIlEES8_S8_S8_S8_S8_S8_S8_S8_EEEEPS9_S9_NSD_9__find_if7functorIS9_EEEE10hipError_tPvRmT1_T2_T3_mT4_P12ihipStream_tbEUlT_E0_NS1_11comp_targetILNS1_3genE5ELNS1_11target_archE942ELNS1_3gpuE9ELNS1_3repE0EEENS1_30default_config_static_selectorELNS0_4arch9wavefront6targetE0EEEvS14_,comdat
	.protected	_ZN7rocprim17ROCPRIM_400000_NS6detail17trampoline_kernelINS0_14default_configENS1_22reduce_config_selectorIN6thrust23THRUST_200600_302600_NS5tupleIblNS6_9null_typeES8_S8_S8_S8_S8_S8_S8_EEEEZNS1_11reduce_implILb1ES3_NS6_12zip_iteratorINS7_INS6_11hip_rocprim26transform_input_iterator_tIbNSD_35transform_pair_of_input_iterators_tIbNS6_6detail15normal_iteratorINS6_10device_ptrIKyEEEESL_NS6_8equal_toIyEEEENSG_9not_fun_tINSD_8identityEEEEENSD_19counting_iterator_tIlEES8_S8_S8_S8_S8_S8_S8_S8_EEEEPS9_S9_NSD_9__find_if7functorIS9_EEEE10hipError_tPvRmT1_T2_T3_mT4_P12ihipStream_tbEUlT_E0_NS1_11comp_targetILNS1_3genE5ELNS1_11target_archE942ELNS1_3gpuE9ELNS1_3repE0EEENS1_30default_config_static_selectorELNS0_4arch9wavefront6targetE0EEEvS14_ ; -- Begin function _ZN7rocprim17ROCPRIM_400000_NS6detail17trampoline_kernelINS0_14default_configENS1_22reduce_config_selectorIN6thrust23THRUST_200600_302600_NS5tupleIblNS6_9null_typeES8_S8_S8_S8_S8_S8_S8_EEEEZNS1_11reduce_implILb1ES3_NS6_12zip_iteratorINS7_INS6_11hip_rocprim26transform_input_iterator_tIbNSD_35transform_pair_of_input_iterators_tIbNS6_6detail15normal_iteratorINS6_10device_ptrIKyEEEESL_NS6_8equal_toIyEEEENSG_9not_fun_tINSD_8identityEEEEENSD_19counting_iterator_tIlEES8_S8_S8_S8_S8_S8_S8_S8_EEEEPS9_S9_NSD_9__find_if7functorIS9_EEEE10hipError_tPvRmT1_T2_T3_mT4_P12ihipStream_tbEUlT_E0_NS1_11comp_targetILNS1_3genE5ELNS1_11target_archE942ELNS1_3gpuE9ELNS1_3repE0EEENS1_30default_config_static_selectorELNS0_4arch9wavefront6targetE0EEEvS14_
	.globl	_ZN7rocprim17ROCPRIM_400000_NS6detail17trampoline_kernelINS0_14default_configENS1_22reduce_config_selectorIN6thrust23THRUST_200600_302600_NS5tupleIblNS6_9null_typeES8_S8_S8_S8_S8_S8_S8_EEEEZNS1_11reduce_implILb1ES3_NS6_12zip_iteratorINS7_INS6_11hip_rocprim26transform_input_iterator_tIbNSD_35transform_pair_of_input_iterators_tIbNS6_6detail15normal_iteratorINS6_10device_ptrIKyEEEESL_NS6_8equal_toIyEEEENSG_9not_fun_tINSD_8identityEEEEENSD_19counting_iterator_tIlEES8_S8_S8_S8_S8_S8_S8_S8_EEEEPS9_S9_NSD_9__find_if7functorIS9_EEEE10hipError_tPvRmT1_T2_T3_mT4_P12ihipStream_tbEUlT_E0_NS1_11comp_targetILNS1_3genE5ELNS1_11target_archE942ELNS1_3gpuE9ELNS1_3repE0EEENS1_30default_config_static_selectorELNS0_4arch9wavefront6targetE0EEEvS14_
	.p2align	8
	.type	_ZN7rocprim17ROCPRIM_400000_NS6detail17trampoline_kernelINS0_14default_configENS1_22reduce_config_selectorIN6thrust23THRUST_200600_302600_NS5tupleIblNS6_9null_typeES8_S8_S8_S8_S8_S8_S8_EEEEZNS1_11reduce_implILb1ES3_NS6_12zip_iteratorINS7_INS6_11hip_rocprim26transform_input_iterator_tIbNSD_35transform_pair_of_input_iterators_tIbNS6_6detail15normal_iteratorINS6_10device_ptrIKyEEEESL_NS6_8equal_toIyEEEENSG_9not_fun_tINSD_8identityEEEEENSD_19counting_iterator_tIlEES8_S8_S8_S8_S8_S8_S8_S8_EEEEPS9_S9_NSD_9__find_if7functorIS9_EEEE10hipError_tPvRmT1_T2_T3_mT4_P12ihipStream_tbEUlT_E0_NS1_11comp_targetILNS1_3genE5ELNS1_11target_archE942ELNS1_3gpuE9ELNS1_3repE0EEENS1_30default_config_static_selectorELNS0_4arch9wavefront6targetE0EEEvS14_,@function
_ZN7rocprim17ROCPRIM_400000_NS6detail17trampoline_kernelINS0_14default_configENS1_22reduce_config_selectorIN6thrust23THRUST_200600_302600_NS5tupleIblNS6_9null_typeES8_S8_S8_S8_S8_S8_S8_EEEEZNS1_11reduce_implILb1ES3_NS6_12zip_iteratorINS7_INS6_11hip_rocprim26transform_input_iterator_tIbNSD_35transform_pair_of_input_iterators_tIbNS6_6detail15normal_iteratorINS6_10device_ptrIKyEEEESL_NS6_8equal_toIyEEEENSG_9not_fun_tINSD_8identityEEEEENSD_19counting_iterator_tIlEES8_S8_S8_S8_S8_S8_S8_S8_EEEEPS9_S9_NSD_9__find_if7functorIS9_EEEE10hipError_tPvRmT1_T2_T3_mT4_P12ihipStream_tbEUlT_E0_NS1_11comp_targetILNS1_3genE5ELNS1_11target_archE942ELNS1_3gpuE9ELNS1_3repE0EEENS1_30default_config_static_selectorELNS0_4arch9wavefront6targetE0EEEvS14_: ; @_ZN7rocprim17ROCPRIM_400000_NS6detail17trampoline_kernelINS0_14default_configENS1_22reduce_config_selectorIN6thrust23THRUST_200600_302600_NS5tupleIblNS6_9null_typeES8_S8_S8_S8_S8_S8_S8_EEEEZNS1_11reduce_implILb1ES3_NS6_12zip_iteratorINS7_INS6_11hip_rocprim26transform_input_iterator_tIbNSD_35transform_pair_of_input_iterators_tIbNS6_6detail15normal_iteratorINS6_10device_ptrIKyEEEESL_NS6_8equal_toIyEEEENSG_9not_fun_tINSD_8identityEEEEENSD_19counting_iterator_tIlEES8_S8_S8_S8_S8_S8_S8_S8_EEEEPS9_S9_NSD_9__find_if7functorIS9_EEEE10hipError_tPvRmT1_T2_T3_mT4_P12ihipStream_tbEUlT_E0_NS1_11comp_targetILNS1_3genE5ELNS1_11target_archE942ELNS1_3gpuE9ELNS1_3repE0EEENS1_30default_config_static_selectorELNS0_4arch9wavefront6targetE0EEEvS14_
; %bb.0:
	.section	.rodata,"a",@progbits
	.p2align	6, 0x0
	.amdhsa_kernel _ZN7rocprim17ROCPRIM_400000_NS6detail17trampoline_kernelINS0_14default_configENS1_22reduce_config_selectorIN6thrust23THRUST_200600_302600_NS5tupleIblNS6_9null_typeES8_S8_S8_S8_S8_S8_S8_EEEEZNS1_11reduce_implILb1ES3_NS6_12zip_iteratorINS7_INS6_11hip_rocprim26transform_input_iterator_tIbNSD_35transform_pair_of_input_iterators_tIbNS6_6detail15normal_iteratorINS6_10device_ptrIKyEEEESL_NS6_8equal_toIyEEEENSG_9not_fun_tINSD_8identityEEEEENSD_19counting_iterator_tIlEES8_S8_S8_S8_S8_S8_S8_S8_EEEEPS9_S9_NSD_9__find_if7functorIS9_EEEE10hipError_tPvRmT1_T2_T3_mT4_P12ihipStream_tbEUlT_E0_NS1_11comp_targetILNS1_3genE5ELNS1_11target_archE942ELNS1_3gpuE9ELNS1_3repE0EEENS1_30default_config_static_selectorELNS0_4arch9wavefront6targetE0EEEvS14_
		.amdhsa_group_segment_fixed_size 0
		.amdhsa_private_segment_fixed_size 0
		.amdhsa_kernarg_size 104
		.amdhsa_user_sgpr_count 2
		.amdhsa_user_sgpr_dispatch_ptr 0
		.amdhsa_user_sgpr_queue_ptr 0
		.amdhsa_user_sgpr_kernarg_segment_ptr 1
		.amdhsa_user_sgpr_dispatch_id 0
		.amdhsa_user_sgpr_kernarg_preload_length 0
		.amdhsa_user_sgpr_kernarg_preload_offset 0
		.amdhsa_user_sgpr_private_segment_size 0
		.amdhsa_wavefront_size32 1
		.amdhsa_uses_dynamic_stack 0
		.amdhsa_enable_private_segment 0
		.amdhsa_system_sgpr_workgroup_id_x 1
		.amdhsa_system_sgpr_workgroup_id_y 0
		.amdhsa_system_sgpr_workgroup_id_z 0
		.amdhsa_system_sgpr_workgroup_info 0
		.amdhsa_system_vgpr_workitem_id 0
		.amdhsa_next_free_vgpr 1
		.amdhsa_next_free_sgpr 1
		.amdhsa_named_barrier_count 0
		.amdhsa_reserve_vcc 0
		.amdhsa_float_round_mode_32 0
		.amdhsa_float_round_mode_16_64 0
		.amdhsa_float_denorm_mode_32 3
		.amdhsa_float_denorm_mode_16_64 3
		.amdhsa_fp16_overflow 0
		.amdhsa_memory_ordered 1
		.amdhsa_forward_progress 1
		.amdhsa_inst_pref_size 0
		.amdhsa_round_robin_scheduling 0
		.amdhsa_exception_fp_ieee_invalid_op 0
		.amdhsa_exception_fp_denorm_src 0
		.amdhsa_exception_fp_ieee_div_zero 0
		.amdhsa_exception_fp_ieee_overflow 0
		.amdhsa_exception_fp_ieee_underflow 0
		.amdhsa_exception_fp_ieee_inexact 0
		.amdhsa_exception_int_div_zero 0
	.end_amdhsa_kernel
	.section	.text._ZN7rocprim17ROCPRIM_400000_NS6detail17trampoline_kernelINS0_14default_configENS1_22reduce_config_selectorIN6thrust23THRUST_200600_302600_NS5tupleIblNS6_9null_typeES8_S8_S8_S8_S8_S8_S8_EEEEZNS1_11reduce_implILb1ES3_NS6_12zip_iteratorINS7_INS6_11hip_rocprim26transform_input_iterator_tIbNSD_35transform_pair_of_input_iterators_tIbNS6_6detail15normal_iteratorINS6_10device_ptrIKyEEEESL_NS6_8equal_toIyEEEENSG_9not_fun_tINSD_8identityEEEEENSD_19counting_iterator_tIlEES8_S8_S8_S8_S8_S8_S8_S8_EEEEPS9_S9_NSD_9__find_if7functorIS9_EEEE10hipError_tPvRmT1_T2_T3_mT4_P12ihipStream_tbEUlT_E0_NS1_11comp_targetILNS1_3genE5ELNS1_11target_archE942ELNS1_3gpuE9ELNS1_3repE0EEENS1_30default_config_static_selectorELNS0_4arch9wavefront6targetE0EEEvS14_,"axG",@progbits,_ZN7rocprim17ROCPRIM_400000_NS6detail17trampoline_kernelINS0_14default_configENS1_22reduce_config_selectorIN6thrust23THRUST_200600_302600_NS5tupleIblNS6_9null_typeES8_S8_S8_S8_S8_S8_S8_EEEEZNS1_11reduce_implILb1ES3_NS6_12zip_iteratorINS7_INS6_11hip_rocprim26transform_input_iterator_tIbNSD_35transform_pair_of_input_iterators_tIbNS6_6detail15normal_iteratorINS6_10device_ptrIKyEEEESL_NS6_8equal_toIyEEEENSG_9not_fun_tINSD_8identityEEEEENSD_19counting_iterator_tIlEES8_S8_S8_S8_S8_S8_S8_S8_EEEEPS9_S9_NSD_9__find_if7functorIS9_EEEE10hipError_tPvRmT1_T2_T3_mT4_P12ihipStream_tbEUlT_E0_NS1_11comp_targetILNS1_3genE5ELNS1_11target_archE942ELNS1_3gpuE9ELNS1_3repE0EEENS1_30default_config_static_selectorELNS0_4arch9wavefront6targetE0EEEvS14_,comdat
.Lfunc_end115:
	.size	_ZN7rocprim17ROCPRIM_400000_NS6detail17trampoline_kernelINS0_14default_configENS1_22reduce_config_selectorIN6thrust23THRUST_200600_302600_NS5tupleIblNS6_9null_typeES8_S8_S8_S8_S8_S8_S8_EEEEZNS1_11reduce_implILb1ES3_NS6_12zip_iteratorINS7_INS6_11hip_rocprim26transform_input_iterator_tIbNSD_35transform_pair_of_input_iterators_tIbNS6_6detail15normal_iteratorINS6_10device_ptrIKyEEEESL_NS6_8equal_toIyEEEENSG_9not_fun_tINSD_8identityEEEEENSD_19counting_iterator_tIlEES8_S8_S8_S8_S8_S8_S8_S8_EEEEPS9_S9_NSD_9__find_if7functorIS9_EEEE10hipError_tPvRmT1_T2_T3_mT4_P12ihipStream_tbEUlT_E0_NS1_11comp_targetILNS1_3genE5ELNS1_11target_archE942ELNS1_3gpuE9ELNS1_3repE0EEENS1_30default_config_static_selectorELNS0_4arch9wavefront6targetE0EEEvS14_, .Lfunc_end115-_ZN7rocprim17ROCPRIM_400000_NS6detail17trampoline_kernelINS0_14default_configENS1_22reduce_config_selectorIN6thrust23THRUST_200600_302600_NS5tupleIblNS6_9null_typeES8_S8_S8_S8_S8_S8_S8_EEEEZNS1_11reduce_implILb1ES3_NS6_12zip_iteratorINS7_INS6_11hip_rocprim26transform_input_iterator_tIbNSD_35transform_pair_of_input_iterators_tIbNS6_6detail15normal_iteratorINS6_10device_ptrIKyEEEESL_NS6_8equal_toIyEEEENSG_9not_fun_tINSD_8identityEEEEENSD_19counting_iterator_tIlEES8_S8_S8_S8_S8_S8_S8_S8_EEEEPS9_S9_NSD_9__find_if7functorIS9_EEEE10hipError_tPvRmT1_T2_T3_mT4_P12ihipStream_tbEUlT_E0_NS1_11comp_targetILNS1_3genE5ELNS1_11target_archE942ELNS1_3gpuE9ELNS1_3repE0EEENS1_30default_config_static_selectorELNS0_4arch9wavefront6targetE0EEEvS14_
                                        ; -- End function
	.set _ZN7rocprim17ROCPRIM_400000_NS6detail17trampoline_kernelINS0_14default_configENS1_22reduce_config_selectorIN6thrust23THRUST_200600_302600_NS5tupleIblNS6_9null_typeES8_S8_S8_S8_S8_S8_S8_EEEEZNS1_11reduce_implILb1ES3_NS6_12zip_iteratorINS7_INS6_11hip_rocprim26transform_input_iterator_tIbNSD_35transform_pair_of_input_iterators_tIbNS6_6detail15normal_iteratorINS6_10device_ptrIKyEEEESL_NS6_8equal_toIyEEEENSG_9not_fun_tINSD_8identityEEEEENSD_19counting_iterator_tIlEES8_S8_S8_S8_S8_S8_S8_S8_EEEEPS9_S9_NSD_9__find_if7functorIS9_EEEE10hipError_tPvRmT1_T2_T3_mT4_P12ihipStream_tbEUlT_E0_NS1_11comp_targetILNS1_3genE5ELNS1_11target_archE942ELNS1_3gpuE9ELNS1_3repE0EEENS1_30default_config_static_selectorELNS0_4arch9wavefront6targetE0EEEvS14_.num_vgpr, 0
	.set _ZN7rocprim17ROCPRIM_400000_NS6detail17trampoline_kernelINS0_14default_configENS1_22reduce_config_selectorIN6thrust23THRUST_200600_302600_NS5tupleIblNS6_9null_typeES8_S8_S8_S8_S8_S8_S8_EEEEZNS1_11reduce_implILb1ES3_NS6_12zip_iteratorINS7_INS6_11hip_rocprim26transform_input_iterator_tIbNSD_35transform_pair_of_input_iterators_tIbNS6_6detail15normal_iteratorINS6_10device_ptrIKyEEEESL_NS6_8equal_toIyEEEENSG_9not_fun_tINSD_8identityEEEEENSD_19counting_iterator_tIlEES8_S8_S8_S8_S8_S8_S8_S8_EEEEPS9_S9_NSD_9__find_if7functorIS9_EEEE10hipError_tPvRmT1_T2_T3_mT4_P12ihipStream_tbEUlT_E0_NS1_11comp_targetILNS1_3genE5ELNS1_11target_archE942ELNS1_3gpuE9ELNS1_3repE0EEENS1_30default_config_static_selectorELNS0_4arch9wavefront6targetE0EEEvS14_.num_agpr, 0
	.set _ZN7rocprim17ROCPRIM_400000_NS6detail17trampoline_kernelINS0_14default_configENS1_22reduce_config_selectorIN6thrust23THRUST_200600_302600_NS5tupleIblNS6_9null_typeES8_S8_S8_S8_S8_S8_S8_EEEEZNS1_11reduce_implILb1ES3_NS6_12zip_iteratorINS7_INS6_11hip_rocprim26transform_input_iterator_tIbNSD_35transform_pair_of_input_iterators_tIbNS6_6detail15normal_iteratorINS6_10device_ptrIKyEEEESL_NS6_8equal_toIyEEEENSG_9not_fun_tINSD_8identityEEEEENSD_19counting_iterator_tIlEES8_S8_S8_S8_S8_S8_S8_S8_EEEEPS9_S9_NSD_9__find_if7functorIS9_EEEE10hipError_tPvRmT1_T2_T3_mT4_P12ihipStream_tbEUlT_E0_NS1_11comp_targetILNS1_3genE5ELNS1_11target_archE942ELNS1_3gpuE9ELNS1_3repE0EEENS1_30default_config_static_selectorELNS0_4arch9wavefront6targetE0EEEvS14_.numbered_sgpr, 0
	.set _ZN7rocprim17ROCPRIM_400000_NS6detail17trampoline_kernelINS0_14default_configENS1_22reduce_config_selectorIN6thrust23THRUST_200600_302600_NS5tupleIblNS6_9null_typeES8_S8_S8_S8_S8_S8_S8_EEEEZNS1_11reduce_implILb1ES3_NS6_12zip_iteratorINS7_INS6_11hip_rocprim26transform_input_iterator_tIbNSD_35transform_pair_of_input_iterators_tIbNS6_6detail15normal_iteratorINS6_10device_ptrIKyEEEESL_NS6_8equal_toIyEEEENSG_9not_fun_tINSD_8identityEEEEENSD_19counting_iterator_tIlEES8_S8_S8_S8_S8_S8_S8_S8_EEEEPS9_S9_NSD_9__find_if7functorIS9_EEEE10hipError_tPvRmT1_T2_T3_mT4_P12ihipStream_tbEUlT_E0_NS1_11comp_targetILNS1_3genE5ELNS1_11target_archE942ELNS1_3gpuE9ELNS1_3repE0EEENS1_30default_config_static_selectorELNS0_4arch9wavefront6targetE0EEEvS14_.num_named_barrier, 0
	.set _ZN7rocprim17ROCPRIM_400000_NS6detail17trampoline_kernelINS0_14default_configENS1_22reduce_config_selectorIN6thrust23THRUST_200600_302600_NS5tupleIblNS6_9null_typeES8_S8_S8_S8_S8_S8_S8_EEEEZNS1_11reduce_implILb1ES3_NS6_12zip_iteratorINS7_INS6_11hip_rocprim26transform_input_iterator_tIbNSD_35transform_pair_of_input_iterators_tIbNS6_6detail15normal_iteratorINS6_10device_ptrIKyEEEESL_NS6_8equal_toIyEEEENSG_9not_fun_tINSD_8identityEEEEENSD_19counting_iterator_tIlEES8_S8_S8_S8_S8_S8_S8_S8_EEEEPS9_S9_NSD_9__find_if7functorIS9_EEEE10hipError_tPvRmT1_T2_T3_mT4_P12ihipStream_tbEUlT_E0_NS1_11comp_targetILNS1_3genE5ELNS1_11target_archE942ELNS1_3gpuE9ELNS1_3repE0EEENS1_30default_config_static_selectorELNS0_4arch9wavefront6targetE0EEEvS14_.private_seg_size, 0
	.set _ZN7rocprim17ROCPRIM_400000_NS6detail17trampoline_kernelINS0_14default_configENS1_22reduce_config_selectorIN6thrust23THRUST_200600_302600_NS5tupleIblNS6_9null_typeES8_S8_S8_S8_S8_S8_S8_EEEEZNS1_11reduce_implILb1ES3_NS6_12zip_iteratorINS7_INS6_11hip_rocprim26transform_input_iterator_tIbNSD_35transform_pair_of_input_iterators_tIbNS6_6detail15normal_iteratorINS6_10device_ptrIKyEEEESL_NS6_8equal_toIyEEEENSG_9not_fun_tINSD_8identityEEEEENSD_19counting_iterator_tIlEES8_S8_S8_S8_S8_S8_S8_S8_EEEEPS9_S9_NSD_9__find_if7functorIS9_EEEE10hipError_tPvRmT1_T2_T3_mT4_P12ihipStream_tbEUlT_E0_NS1_11comp_targetILNS1_3genE5ELNS1_11target_archE942ELNS1_3gpuE9ELNS1_3repE0EEENS1_30default_config_static_selectorELNS0_4arch9wavefront6targetE0EEEvS14_.uses_vcc, 0
	.set _ZN7rocprim17ROCPRIM_400000_NS6detail17trampoline_kernelINS0_14default_configENS1_22reduce_config_selectorIN6thrust23THRUST_200600_302600_NS5tupleIblNS6_9null_typeES8_S8_S8_S8_S8_S8_S8_EEEEZNS1_11reduce_implILb1ES3_NS6_12zip_iteratorINS7_INS6_11hip_rocprim26transform_input_iterator_tIbNSD_35transform_pair_of_input_iterators_tIbNS6_6detail15normal_iteratorINS6_10device_ptrIKyEEEESL_NS6_8equal_toIyEEEENSG_9not_fun_tINSD_8identityEEEEENSD_19counting_iterator_tIlEES8_S8_S8_S8_S8_S8_S8_S8_EEEEPS9_S9_NSD_9__find_if7functorIS9_EEEE10hipError_tPvRmT1_T2_T3_mT4_P12ihipStream_tbEUlT_E0_NS1_11comp_targetILNS1_3genE5ELNS1_11target_archE942ELNS1_3gpuE9ELNS1_3repE0EEENS1_30default_config_static_selectorELNS0_4arch9wavefront6targetE0EEEvS14_.uses_flat_scratch, 0
	.set _ZN7rocprim17ROCPRIM_400000_NS6detail17trampoline_kernelINS0_14default_configENS1_22reduce_config_selectorIN6thrust23THRUST_200600_302600_NS5tupleIblNS6_9null_typeES8_S8_S8_S8_S8_S8_S8_EEEEZNS1_11reduce_implILb1ES3_NS6_12zip_iteratorINS7_INS6_11hip_rocprim26transform_input_iterator_tIbNSD_35transform_pair_of_input_iterators_tIbNS6_6detail15normal_iteratorINS6_10device_ptrIKyEEEESL_NS6_8equal_toIyEEEENSG_9not_fun_tINSD_8identityEEEEENSD_19counting_iterator_tIlEES8_S8_S8_S8_S8_S8_S8_S8_EEEEPS9_S9_NSD_9__find_if7functorIS9_EEEE10hipError_tPvRmT1_T2_T3_mT4_P12ihipStream_tbEUlT_E0_NS1_11comp_targetILNS1_3genE5ELNS1_11target_archE942ELNS1_3gpuE9ELNS1_3repE0EEENS1_30default_config_static_selectorELNS0_4arch9wavefront6targetE0EEEvS14_.has_dyn_sized_stack, 0
	.set _ZN7rocprim17ROCPRIM_400000_NS6detail17trampoline_kernelINS0_14default_configENS1_22reduce_config_selectorIN6thrust23THRUST_200600_302600_NS5tupleIblNS6_9null_typeES8_S8_S8_S8_S8_S8_S8_EEEEZNS1_11reduce_implILb1ES3_NS6_12zip_iteratorINS7_INS6_11hip_rocprim26transform_input_iterator_tIbNSD_35transform_pair_of_input_iterators_tIbNS6_6detail15normal_iteratorINS6_10device_ptrIKyEEEESL_NS6_8equal_toIyEEEENSG_9not_fun_tINSD_8identityEEEEENSD_19counting_iterator_tIlEES8_S8_S8_S8_S8_S8_S8_S8_EEEEPS9_S9_NSD_9__find_if7functorIS9_EEEE10hipError_tPvRmT1_T2_T3_mT4_P12ihipStream_tbEUlT_E0_NS1_11comp_targetILNS1_3genE5ELNS1_11target_archE942ELNS1_3gpuE9ELNS1_3repE0EEENS1_30default_config_static_selectorELNS0_4arch9wavefront6targetE0EEEvS14_.has_recursion, 0
	.set _ZN7rocprim17ROCPRIM_400000_NS6detail17trampoline_kernelINS0_14default_configENS1_22reduce_config_selectorIN6thrust23THRUST_200600_302600_NS5tupleIblNS6_9null_typeES8_S8_S8_S8_S8_S8_S8_EEEEZNS1_11reduce_implILb1ES3_NS6_12zip_iteratorINS7_INS6_11hip_rocprim26transform_input_iterator_tIbNSD_35transform_pair_of_input_iterators_tIbNS6_6detail15normal_iteratorINS6_10device_ptrIKyEEEESL_NS6_8equal_toIyEEEENSG_9not_fun_tINSD_8identityEEEEENSD_19counting_iterator_tIlEES8_S8_S8_S8_S8_S8_S8_S8_EEEEPS9_S9_NSD_9__find_if7functorIS9_EEEE10hipError_tPvRmT1_T2_T3_mT4_P12ihipStream_tbEUlT_E0_NS1_11comp_targetILNS1_3genE5ELNS1_11target_archE942ELNS1_3gpuE9ELNS1_3repE0EEENS1_30default_config_static_selectorELNS0_4arch9wavefront6targetE0EEEvS14_.has_indirect_call, 0
	.section	.AMDGPU.csdata,"",@progbits
; Kernel info:
; codeLenInByte = 0
; TotalNumSgprs: 0
; NumVgprs: 0
; ScratchSize: 0
; MemoryBound: 0
; FloatMode: 240
; IeeeMode: 1
; LDSByteSize: 0 bytes/workgroup (compile time only)
; SGPRBlocks: 0
; VGPRBlocks: 0
; NumSGPRsForWavesPerEU: 1
; NumVGPRsForWavesPerEU: 1
; NamedBarCnt: 0
; Occupancy: 16
; WaveLimiterHint : 0
; COMPUTE_PGM_RSRC2:SCRATCH_EN: 0
; COMPUTE_PGM_RSRC2:USER_SGPR: 2
; COMPUTE_PGM_RSRC2:TRAP_HANDLER: 0
; COMPUTE_PGM_RSRC2:TGID_X_EN: 1
; COMPUTE_PGM_RSRC2:TGID_Y_EN: 0
; COMPUTE_PGM_RSRC2:TGID_Z_EN: 0
; COMPUTE_PGM_RSRC2:TIDIG_COMP_CNT: 0
	.section	.text._ZN7rocprim17ROCPRIM_400000_NS6detail17trampoline_kernelINS0_14default_configENS1_22reduce_config_selectorIN6thrust23THRUST_200600_302600_NS5tupleIblNS6_9null_typeES8_S8_S8_S8_S8_S8_S8_EEEEZNS1_11reduce_implILb1ES3_NS6_12zip_iteratorINS7_INS6_11hip_rocprim26transform_input_iterator_tIbNSD_35transform_pair_of_input_iterators_tIbNS6_6detail15normal_iteratorINS6_10device_ptrIKyEEEESL_NS6_8equal_toIyEEEENSG_9not_fun_tINSD_8identityEEEEENSD_19counting_iterator_tIlEES8_S8_S8_S8_S8_S8_S8_S8_EEEEPS9_S9_NSD_9__find_if7functorIS9_EEEE10hipError_tPvRmT1_T2_T3_mT4_P12ihipStream_tbEUlT_E0_NS1_11comp_targetILNS1_3genE4ELNS1_11target_archE910ELNS1_3gpuE8ELNS1_3repE0EEENS1_30default_config_static_selectorELNS0_4arch9wavefront6targetE0EEEvS14_,"axG",@progbits,_ZN7rocprim17ROCPRIM_400000_NS6detail17trampoline_kernelINS0_14default_configENS1_22reduce_config_selectorIN6thrust23THRUST_200600_302600_NS5tupleIblNS6_9null_typeES8_S8_S8_S8_S8_S8_S8_EEEEZNS1_11reduce_implILb1ES3_NS6_12zip_iteratorINS7_INS6_11hip_rocprim26transform_input_iterator_tIbNSD_35transform_pair_of_input_iterators_tIbNS6_6detail15normal_iteratorINS6_10device_ptrIKyEEEESL_NS6_8equal_toIyEEEENSG_9not_fun_tINSD_8identityEEEEENSD_19counting_iterator_tIlEES8_S8_S8_S8_S8_S8_S8_S8_EEEEPS9_S9_NSD_9__find_if7functorIS9_EEEE10hipError_tPvRmT1_T2_T3_mT4_P12ihipStream_tbEUlT_E0_NS1_11comp_targetILNS1_3genE4ELNS1_11target_archE910ELNS1_3gpuE8ELNS1_3repE0EEENS1_30default_config_static_selectorELNS0_4arch9wavefront6targetE0EEEvS14_,comdat
	.protected	_ZN7rocprim17ROCPRIM_400000_NS6detail17trampoline_kernelINS0_14default_configENS1_22reduce_config_selectorIN6thrust23THRUST_200600_302600_NS5tupleIblNS6_9null_typeES8_S8_S8_S8_S8_S8_S8_EEEEZNS1_11reduce_implILb1ES3_NS6_12zip_iteratorINS7_INS6_11hip_rocprim26transform_input_iterator_tIbNSD_35transform_pair_of_input_iterators_tIbNS6_6detail15normal_iteratorINS6_10device_ptrIKyEEEESL_NS6_8equal_toIyEEEENSG_9not_fun_tINSD_8identityEEEEENSD_19counting_iterator_tIlEES8_S8_S8_S8_S8_S8_S8_S8_EEEEPS9_S9_NSD_9__find_if7functorIS9_EEEE10hipError_tPvRmT1_T2_T3_mT4_P12ihipStream_tbEUlT_E0_NS1_11comp_targetILNS1_3genE4ELNS1_11target_archE910ELNS1_3gpuE8ELNS1_3repE0EEENS1_30default_config_static_selectorELNS0_4arch9wavefront6targetE0EEEvS14_ ; -- Begin function _ZN7rocprim17ROCPRIM_400000_NS6detail17trampoline_kernelINS0_14default_configENS1_22reduce_config_selectorIN6thrust23THRUST_200600_302600_NS5tupleIblNS6_9null_typeES8_S8_S8_S8_S8_S8_S8_EEEEZNS1_11reduce_implILb1ES3_NS6_12zip_iteratorINS7_INS6_11hip_rocprim26transform_input_iterator_tIbNSD_35transform_pair_of_input_iterators_tIbNS6_6detail15normal_iteratorINS6_10device_ptrIKyEEEESL_NS6_8equal_toIyEEEENSG_9not_fun_tINSD_8identityEEEEENSD_19counting_iterator_tIlEES8_S8_S8_S8_S8_S8_S8_S8_EEEEPS9_S9_NSD_9__find_if7functorIS9_EEEE10hipError_tPvRmT1_T2_T3_mT4_P12ihipStream_tbEUlT_E0_NS1_11comp_targetILNS1_3genE4ELNS1_11target_archE910ELNS1_3gpuE8ELNS1_3repE0EEENS1_30default_config_static_selectorELNS0_4arch9wavefront6targetE0EEEvS14_
	.globl	_ZN7rocprim17ROCPRIM_400000_NS6detail17trampoline_kernelINS0_14default_configENS1_22reduce_config_selectorIN6thrust23THRUST_200600_302600_NS5tupleIblNS6_9null_typeES8_S8_S8_S8_S8_S8_S8_EEEEZNS1_11reduce_implILb1ES3_NS6_12zip_iteratorINS7_INS6_11hip_rocprim26transform_input_iterator_tIbNSD_35transform_pair_of_input_iterators_tIbNS6_6detail15normal_iteratorINS6_10device_ptrIKyEEEESL_NS6_8equal_toIyEEEENSG_9not_fun_tINSD_8identityEEEEENSD_19counting_iterator_tIlEES8_S8_S8_S8_S8_S8_S8_S8_EEEEPS9_S9_NSD_9__find_if7functorIS9_EEEE10hipError_tPvRmT1_T2_T3_mT4_P12ihipStream_tbEUlT_E0_NS1_11comp_targetILNS1_3genE4ELNS1_11target_archE910ELNS1_3gpuE8ELNS1_3repE0EEENS1_30default_config_static_selectorELNS0_4arch9wavefront6targetE0EEEvS14_
	.p2align	8
	.type	_ZN7rocprim17ROCPRIM_400000_NS6detail17trampoline_kernelINS0_14default_configENS1_22reduce_config_selectorIN6thrust23THRUST_200600_302600_NS5tupleIblNS6_9null_typeES8_S8_S8_S8_S8_S8_S8_EEEEZNS1_11reduce_implILb1ES3_NS6_12zip_iteratorINS7_INS6_11hip_rocprim26transform_input_iterator_tIbNSD_35transform_pair_of_input_iterators_tIbNS6_6detail15normal_iteratorINS6_10device_ptrIKyEEEESL_NS6_8equal_toIyEEEENSG_9not_fun_tINSD_8identityEEEEENSD_19counting_iterator_tIlEES8_S8_S8_S8_S8_S8_S8_S8_EEEEPS9_S9_NSD_9__find_if7functorIS9_EEEE10hipError_tPvRmT1_T2_T3_mT4_P12ihipStream_tbEUlT_E0_NS1_11comp_targetILNS1_3genE4ELNS1_11target_archE910ELNS1_3gpuE8ELNS1_3repE0EEENS1_30default_config_static_selectorELNS0_4arch9wavefront6targetE0EEEvS14_,@function
_ZN7rocprim17ROCPRIM_400000_NS6detail17trampoline_kernelINS0_14default_configENS1_22reduce_config_selectorIN6thrust23THRUST_200600_302600_NS5tupleIblNS6_9null_typeES8_S8_S8_S8_S8_S8_S8_EEEEZNS1_11reduce_implILb1ES3_NS6_12zip_iteratorINS7_INS6_11hip_rocprim26transform_input_iterator_tIbNSD_35transform_pair_of_input_iterators_tIbNS6_6detail15normal_iteratorINS6_10device_ptrIKyEEEESL_NS6_8equal_toIyEEEENSG_9not_fun_tINSD_8identityEEEEENSD_19counting_iterator_tIlEES8_S8_S8_S8_S8_S8_S8_S8_EEEEPS9_S9_NSD_9__find_if7functorIS9_EEEE10hipError_tPvRmT1_T2_T3_mT4_P12ihipStream_tbEUlT_E0_NS1_11comp_targetILNS1_3genE4ELNS1_11target_archE910ELNS1_3gpuE8ELNS1_3repE0EEENS1_30default_config_static_selectorELNS0_4arch9wavefront6targetE0EEEvS14_: ; @_ZN7rocprim17ROCPRIM_400000_NS6detail17trampoline_kernelINS0_14default_configENS1_22reduce_config_selectorIN6thrust23THRUST_200600_302600_NS5tupleIblNS6_9null_typeES8_S8_S8_S8_S8_S8_S8_EEEEZNS1_11reduce_implILb1ES3_NS6_12zip_iteratorINS7_INS6_11hip_rocprim26transform_input_iterator_tIbNSD_35transform_pair_of_input_iterators_tIbNS6_6detail15normal_iteratorINS6_10device_ptrIKyEEEESL_NS6_8equal_toIyEEEENSG_9not_fun_tINSD_8identityEEEEENSD_19counting_iterator_tIlEES8_S8_S8_S8_S8_S8_S8_S8_EEEEPS9_S9_NSD_9__find_if7functorIS9_EEEE10hipError_tPvRmT1_T2_T3_mT4_P12ihipStream_tbEUlT_E0_NS1_11comp_targetILNS1_3genE4ELNS1_11target_archE910ELNS1_3gpuE8ELNS1_3repE0EEENS1_30default_config_static_selectorELNS0_4arch9wavefront6targetE0EEEvS14_
; %bb.0:
	.section	.rodata,"a",@progbits
	.p2align	6, 0x0
	.amdhsa_kernel _ZN7rocprim17ROCPRIM_400000_NS6detail17trampoline_kernelINS0_14default_configENS1_22reduce_config_selectorIN6thrust23THRUST_200600_302600_NS5tupleIblNS6_9null_typeES8_S8_S8_S8_S8_S8_S8_EEEEZNS1_11reduce_implILb1ES3_NS6_12zip_iteratorINS7_INS6_11hip_rocprim26transform_input_iterator_tIbNSD_35transform_pair_of_input_iterators_tIbNS6_6detail15normal_iteratorINS6_10device_ptrIKyEEEESL_NS6_8equal_toIyEEEENSG_9not_fun_tINSD_8identityEEEEENSD_19counting_iterator_tIlEES8_S8_S8_S8_S8_S8_S8_S8_EEEEPS9_S9_NSD_9__find_if7functorIS9_EEEE10hipError_tPvRmT1_T2_T3_mT4_P12ihipStream_tbEUlT_E0_NS1_11comp_targetILNS1_3genE4ELNS1_11target_archE910ELNS1_3gpuE8ELNS1_3repE0EEENS1_30default_config_static_selectorELNS0_4arch9wavefront6targetE0EEEvS14_
		.amdhsa_group_segment_fixed_size 0
		.amdhsa_private_segment_fixed_size 0
		.amdhsa_kernarg_size 104
		.amdhsa_user_sgpr_count 2
		.amdhsa_user_sgpr_dispatch_ptr 0
		.amdhsa_user_sgpr_queue_ptr 0
		.amdhsa_user_sgpr_kernarg_segment_ptr 1
		.amdhsa_user_sgpr_dispatch_id 0
		.amdhsa_user_sgpr_kernarg_preload_length 0
		.amdhsa_user_sgpr_kernarg_preload_offset 0
		.amdhsa_user_sgpr_private_segment_size 0
		.amdhsa_wavefront_size32 1
		.amdhsa_uses_dynamic_stack 0
		.amdhsa_enable_private_segment 0
		.amdhsa_system_sgpr_workgroup_id_x 1
		.amdhsa_system_sgpr_workgroup_id_y 0
		.amdhsa_system_sgpr_workgroup_id_z 0
		.amdhsa_system_sgpr_workgroup_info 0
		.amdhsa_system_vgpr_workitem_id 0
		.amdhsa_next_free_vgpr 1
		.amdhsa_next_free_sgpr 1
		.amdhsa_named_barrier_count 0
		.amdhsa_reserve_vcc 0
		.amdhsa_float_round_mode_32 0
		.amdhsa_float_round_mode_16_64 0
		.amdhsa_float_denorm_mode_32 3
		.amdhsa_float_denorm_mode_16_64 3
		.amdhsa_fp16_overflow 0
		.amdhsa_memory_ordered 1
		.amdhsa_forward_progress 1
		.amdhsa_inst_pref_size 0
		.amdhsa_round_robin_scheduling 0
		.amdhsa_exception_fp_ieee_invalid_op 0
		.amdhsa_exception_fp_denorm_src 0
		.amdhsa_exception_fp_ieee_div_zero 0
		.amdhsa_exception_fp_ieee_overflow 0
		.amdhsa_exception_fp_ieee_underflow 0
		.amdhsa_exception_fp_ieee_inexact 0
		.amdhsa_exception_int_div_zero 0
	.end_amdhsa_kernel
	.section	.text._ZN7rocprim17ROCPRIM_400000_NS6detail17trampoline_kernelINS0_14default_configENS1_22reduce_config_selectorIN6thrust23THRUST_200600_302600_NS5tupleIblNS6_9null_typeES8_S8_S8_S8_S8_S8_S8_EEEEZNS1_11reduce_implILb1ES3_NS6_12zip_iteratorINS7_INS6_11hip_rocprim26transform_input_iterator_tIbNSD_35transform_pair_of_input_iterators_tIbNS6_6detail15normal_iteratorINS6_10device_ptrIKyEEEESL_NS6_8equal_toIyEEEENSG_9not_fun_tINSD_8identityEEEEENSD_19counting_iterator_tIlEES8_S8_S8_S8_S8_S8_S8_S8_EEEEPS9_S9_NSD_9__find_if7functorIS9_EEEE10hipError_tPvRmT1_T2_T3_mT4_P12ihipStream_tbEUlT_E0_NS1_11comp_targetILNS1_3genE4ELNS1_11target_archE910ELNS1_3gpuE8ELNS1_3repE0EEENS1_30default_config_static_selectorELNS0_4arch9wavefront6targetE0EEEvS14_,"axG",@progbits,_ZN7rocprim17ROCPRIM_400000_NS6detail17trampoline_kernelINS0_14default_configENS1_22reduce_config_selectorIN6thrust23THRUST_200600_302600_NS5tupleIblNS6_9null_typeES8_S8_S8_S8_S8_S8_S8_EEEEZNS1_11reduce_implILb1ES3_NS6_12zip_iteratorINS7_INS6_11hip_rocprim26transform_input_iterator_tIbNSD_35transform_pair_of_input_iterators_tIbNS6_6detail15normal_iteratorINS6_10device_ptrIKyEEEESL_NS6_8equal_toIyEEEENSG_9not_fun_tINSD_8identityEEEEENSD_19counting_iterator_tIlEES8_S8_S8_S8_S8_S8_S8_S8_EEEEPS9_S9_NSD_9__find_if7functorIS9_EEEE10hipError_tPvRmT1_T2_T3_mT4_P12ihipStream_tbEUlT_E0_NS1_11comp_targetILNS1_3genE4ELNS1_11target_archE910ELNS1_3gpuE8ELNS1_3repE0EEENS1_30default_config_static_selectorELNS0_4arch9wavefront6targetE0EEEvS14_,comdat
.Lfunc_end116:
	.size	_ZN7rocprim17ROCPRIM_400000_NS6detail17trampoline_kernelINS0_14default_configENS1_22reduce_config_selectorIN6thrust23THRUST_200600_302600_NS5tupleIblNS6_9null_typeES8_S8_S8_S8_S8_S8_S8_EEEEZNS1_11reduce_implILb1ES3_NS6_12zip_iteratorINS7_INS6_11hip_rocprim26transform_input_iterator_tIbNSD_35transform_pair_of_input_iterators_tIbNS6_6detail15normal_iteratorINS6_10device_ptrIKyEEEESL_NS6_8equal_toIyEEEENSG_9not_fun_tINSD_8identityEEEEENSD_19counting_iterator_tIlEES8_S8_S8_S8_S8_S8_S8_S8_EEEEPS9_S9_NSD_9__find_if7functorIS9_EEEE10hipError_tPvRmT1_T2_T3_mT4_P12ihipStream_tbEUlT_E0_NS1_11comp_targetILNS1_3genE4ELNS1_11target_archE910ELNS1_3gpuE8ELNS1_3repE0EEENS1_30default_config_static_selectorELNS0_4arch9wavefront6targetE0EEEvS14_, .Lfunc_end116-_ZN7rocprim17ROCPRIM_400000_NS6detail17trampoline_kernelINS0_14default_configENS1_22reduce_config_selectorIN6thrust23THRUST_200600_302600_NS5tupleIblNS6_9null_typeES8_S8_S8_S8_S8_S8_S8_EEEEZNS1_11reduce_implILb1ES3_NS6_12zip_iteratorINS7_INS6_11hip_rocprim26transform_input_iterator_tIbNSD_35transform_pair_of_input_iterators_tIbNS6_6detail15normal_iteratorINS6_10device_ptrIKyEEEESL_NS6_8equal_toIyEEEENSG_9not_fun_tINSD_8identityEEEEENSD_19counting_iterator_tIlEES8_S8_S8_S8_S8_S8_S8_S8_EEEEPS9_S9_NSD_9__find_if7functorIS9_EEEE10hipError_tPvRmT1_T2_T3_mT4_P12ihipStream_tbEUlT_E0_NS1_11comp_targetILNS1_3genE4ELNS1_11target_archE910ELNS1_3gpuE8ELNS1_3repE0EEENS1_30default_config_static_selectorELNS0_4arch9wavefront6targetE0EEEvS14_
                                        ; -- End function
	.set _ZN7rocprim17ROCPRIM_400000_NS6detail17trampoline_kernelINS0_14default_configENS1_22reduce_config_selectorIN6thrust23THRUST_200600_302600_NS5tupleIblNS6_9null_typeES8_S8_S8_S8_S8_S8_S8_EEEEZNS1_11reduce_implILb1ES3_NS6_12zip_iteratorINS7_INS6_11hip_rocprim26transform_input_iterator_tIbNSD_35transform_pair_of_input_iterators_tIbNS6_6detail15normal_iteratorINS6_10device_ptrIKyEEEESL_NS6_8equal_toIyEEEENSG_9not_fun_tINSD_8identityEEEEENSD_19counting_iterator_tIlEES8_S8_S8_S8_S8_S8_S8_S8_EEEEPS9_S9_NSD_9__find_if7functorIS9_EEEE10hipError_tPvRmT1_T2_T3_mT4_P12ihipStream_tbEUlT_E0_NS1_11comp_targetILNS1_3genE4ELNS1_11target_archE910ELNS1_3gpuE8ELNS1_3repE0EEENS1_30default_config_static_selectorELNS0_4arch9wavefront6targetE0EEEvS14_.num_vgpr, 0
	.set _ZN7rocprim17ROCPRIM_400000_NS6detail17trampoline_kernelINS0_14default_configENS1_22reduce_config_selectorIN6thrust23THRUST_200600_302600_NS5tupleIblNS6_9null_typeES8_S8_S8_S8_S8_S8_S8_EEEEZNS1_11reduce_implILb1ES3_NS6_12zip_iteratorINS7_INS6_11hip_rocprim26transform_input_iterator_tIbNSD_35transform_pair_of_input_iterators_tIbNS6_6detail15normal_iteratorINS6_10device_ptrIKyEEEESL_NS6_8equal_toIyEEEENSG_9not_fun_tINSD_8identityEEEEENSD_19counting_iterator_tIlEES8_S8_S8_S8_S8_S8_S8_S8_EEEEPS9_S9_NSD_9__find_if7functorIS9_EEEE10hipError_tPvRmT1_T2_T3_mT4_P12ihipStream_tbEUlT_E0_NS1_11comp_targetILNS1_3genE4ELNS1_11target_archE910ELNS1_3gpuE8ELNS1_3repE0EEENS1_30default_config_static_selectorELNS0_4arch9wavefront6targetE0EEEvS14_.num_agpr, 0
	.set _ZN7rocprim17ROCPRIM_400000_NS6detail17trampoline_kernelINS0_14default_configENS1_22reduce_config_selectorIN6thrust23THRUST_200600_302600_NS5tupleIblNS6_9null_typeES8_S8_S8_S8_S8_S8_S8_EEEEZNS1_11reduce_implILb1ES3_NS6_12zip_iteratorINS7_INS6_11hip_rocprim26transform_input_iterator_tIbNSD_35transform_pair_of_input_iterators_tIbNS6_6detail15normal_iteratorINS6_10device_ptrIKyEEEESL_NS6_8equal_toIyEEEENSG_9not_fun_tINSD_8identityEEEEENSD_19counting_iterator_tIlEES8_S8_S8_S8_S8_S8_S8_S8_EEEEPS9_S9_NSD_9__find_if7functorIS9_EEEE10hipError_tPvRmT1_T2_T3_mT4_P12ihipStream_tbEUlT_E0_NS1_11comp_targetILNS1_3genE4ELNS1_11target_archE910ELNS1_3gpuE8ELNS1_3repE0EEENS1_30default_config_static_selectorELNS0_4arch9wavefront6targetE0EEEvS14_.numbered_sgpr, 0
	.set _ZN7rocprim17ROCPRIM_400000_NS6detail17trampoline_kernelINS0_14default_configENS1_22reduce_config_selectorIN6thrust23THRUST_200600_302600_NS5tupleIblNS6_9null_typeES8_S8_S8_S8_S8_S8_S8_EEEEZNS1_11reduce_implILb1ES3_NS6_12zip_iteratorINS7_INS6_11hip_rocprim26transform_input_iterator_tIbNSD_35transform_pair_of_input_iterators_tIbNS6_6detail15normal_iteratorINS6_10device_ptrIKyEEEESL_NS6_8equal_toIyEEEENSG_9not_fun_tINSD_8identityEEEEENSD_19counting_iterator_tIlEES8_S8_S8_S8_S8_S8_S8_S8_EEEEPS9_S9_NSD_9__find_if7functorIS9_EEEE10hipError_tPvRmT1_T2_T3_mT4_P12ihipStream_tbEUlT_E0_NS1_11comp_targetILNS1_3genE4ELNS1_11target_archE910ELNS1_3gpuE8ELNS1_3repE0EEENS1_30default_config_static_selectorELNS0_4arch9wavefront6targetE0EEEvS14_.num_named_barrier, 0
	.set _ZN7rocprim17ROCPRIM_400000_NS6detail17trampoline_kernelINS0_14default_configENS1_22reduce_config_selectorIN6thrust23THRUST_200600_302600_NS5tupleIblNS6_9null_typeES8_S8_S8_S8_S8_S8_S8_EEEEZNS1_11reduce_implILb1ES3_NS6_12zip_iteratorINS7_INS6_11hip_rocprim26transform_input_iterator_tIbNSD_35transform_pair_of_input_iterators_tIbNS6_6detail15normal_iteratorINS6_10device_ptrIKyEEEESL_NS6_8equal_toIyEEEENSG_9not_fun_tINSD_8identityEEEEENSD_19counting_iterator_tIlEES8_S8_S8_S8_S8_S8_S8_S8_EEEEPS9_S9_NSD_9__find_if7functorIS9_EEEE10hipError_tPvRmT1_T2_T3_mT4_P12ihipStream_tbEUlT_E0_NS1_11comp_targetILNS1_3genE4ELNS1_11target_archE910ELNS1_3gpuE8ELNS1_3repE0EEENS1_30default_config_static_selectorELNS0_4arch9wavefront6targetE0EEEvS14_.private_seg_size, 0
	.set _ZN7rocprim17ROCPRIM_400000_NS6detail17trampoline_kernelINS0_14default_configENS1_22reduce_config_selectorIN6thrust23THRUST_200600_302600_NS5tupleIblNS6_9null_typeES8_S8_S8_S8_S8_S8_S8_EEEEZNS1_11reduce_implILb1ES3_NS6_12zip_iteratorINS7_INS6_11hip_rocprim26transform_input_iterator_tIbNSD_35transform_pair_of_input_iterators_tIbNS6_6detail15normal_iteratorINS6_10device_ptrIKyEEEESL_NS6_8equal_toIyEEEENSG_9not_fun_tINSD_8identityEEEEENSD_19counting_iterator_tIlEES8_S8_S8_S8_S8_S8_S8_S8_EEEEPS9_S9_NSD_9__find_if7functorIS9_EEEE10hipError_tPvRmT1_T2_T3_mT4_P12ihipStream_tbEUlT_E0_NS1_11comp_targetILNS1_3genE4ELNS1_11target_archE910ELNS1_3gpuE8ELNS1_3repE0EEENS1_30default_config_static_selectorELNS0_4arch9wavefront6targetE0EEEvS14_.uses_vcc, 0
	.set _ZN7rocprim17ROCPRIM_400000_NS6detail17trampoline_kernelINS0_14default_configENS1_22reduce_config_selectorIN6thrust23THRUST_200600_302600_NS5tupleIblNS6_9null_typeES8_S8_S8_S8_S8_S8_S8_EEEEZNS1_11reduce_implILb1ES3_NS6_12zip_iteratorINS7_INS6_11hip_rocprim26transform_input_iterator_tIbNSD_35transform_pair_of_input_iterators_tIbNS6_6detail15normal_iteratorINS6_10device_ptrIKyEEEESL_NS6_8equal_toIyEEEENSG_9not_fun_tINSD_8identityEEEEENSD_19counting_iterator_tIlEES8_S8_S8_S8_S8_S8_S8_S8_EEEEPS9_S9_NSD_9__find_if7functorIS9_EEEE10hipError_tPvRmT1_T2_T3_mT4_P12ihipStream_tbEUlT_E0_NS1_11comp_targetILNS1_3genE4ELNS1_11target_archE910ELNS1_3gpuE8ELNS1_3repE0EEENS1_30default_config_static_selectorELNS0_4arch9wavefront6targetE0EEEvS14_.uses_flat_scratch, 0
	.set _ZN7rocprim17ROCPRIM_400000_NS6detail17trampoline_kernelINS0_14default_configENS1_22reduce_config_selectorIN6thrust23THRUST_200600_302600_NS5tupleIblNS6_9null_typeES8_S8_S8_S8_S8_S8_S8_EEEEZNS1_11reduce_implILb1ES3_NS6_12zip_iteratorINS7_INS6_11hip_rocprim26transform_input_iterator_tIbNSD_35transform_pair_of_input_iterators_tIbNS6_6detail15normal_iteratorINS6_10device_ptrIKyEEEESL_NS6_8equal_toIyEEEENSG_9not_fun_tINSD_8identityEEEEENSD_19counting_iterator_tIlEES8_S8_S8_S8_S8_S8_S8_S8_EEEEPS9_S9_NSD_9__find_if7functorIS9_EEEE10hipError_tPvRmT1_T2_T3_mT4_P12ihipStream_tbEUlT_E0_NS1_11comp_targetILNS1_3genE4ELNS1_11target_archE910ELNS1_3gpuE8ELNS1_3repE0EEENS1_30default_config_static_selectorELNS0_4arch9wavefront6targetE0EEEvS14_.has_dyn_sized_stack, 0
	.set _ZN7rocprim17ROCPRIM_400000_NS6detail17trampoline_kernelINS0_14default_configENS1_22reduce_config_selectorIN6thrust23THRUST_200600_302600_NS5tupleIblNS6_9null_typeES8_S8_S8_S8_S8_S8_S8_EEEEZNS1_11reduce_implILb1ES3_NS6_12zip_iteratorINS7_INS6_11hip_rocprim26transform_input_iterator_tIbNSD_35transform_pair_of_input_iterators_tIbNS6_6detail15normal_iteratorINS6_10device_ptrIKyEEEESL_NS6_8equal_toIyEEEENSG_9not_fun_tINSD_8identityEEEEENSD_19counting_iterator_tIlEES8_S8_S8_S8_S8_S8_S8_S8_EEEEPS9_S9_NSD_9__find_if7functorIS9_EEEE10hipError_tPvRmT1_T2_T3_mT4_P12ihipStream_tbEUlT_E0_NS1_11comp_targetILNS1_3genE4ELNS1_11target_archE910ELNS1_3gpuE8ELNS1_3repE0EEENS1_30default_config_static_selectorELNS0_4arch9wavefront6targetE0EEEvS14_.has_recursion, 0
	.set _ZN7rocprim17ROCPRIM_400000_NS6detail17trampoline_kernelINS0_14default_configENS1_22reduce_config_selectorIN6thrust23THRUST_200600_302600_NS5tupleIblNS6_9null_typeES8_S8_S8_S8_S8_S8_S8_EEEEZNS1_11reduce_implILb1ES3_NS6_12zip_iteratorINS7_INS6_11hip_rocprim26transform_input_iterator_tIbNSD_35transform_pair_of_input_iterators_tIbNS6_6detail15normal_iteratorINS6_10device_ptrIKyEEEESL_NS6_8equal_toIyEEEENSG_9not_fun_tINSD_8identityEEEEENSD_19counting_iterator_tIlEES8_S8_S8_S8_S8_S8_S8_S8_EEEEPS9_S9_NSD_9__find_if7functorIS9_EEEE10hipError_tPvRmT1_T2_T3_mT4_P12ihipStream_tbEUlT_E0_NS1_11comp_targetILNS1_3genE4ELNS1_11target_archE910ELNS1_3gpuE8ELNS1_3repE0EEENS1_30default_config_static_selectorELNS0_4arch9wavefront6targetE0EEEvS14_.has_indirect_call, 0
	.section	.AMDGPU.csdata,"",@progbits
; Kernel info:
; codeLenInByte = 0
; TotalNumSgprs: 0
; NumVgprs: 0
; ScratchSize: 0
; MemoryBound: 0
; FloatMode: 240
; IeeeMode: 1
; LDSByteSize: 0 bytes/workgroup (compile time only)
; SGPRBlocks: 0
; VGPRBlocks: 0
; NumSGPRsForWavesPerEU: 1
; NumVGPRsForWavesPerEU: 1
; NamedBarCnt: 0
; Occupancy: 16
; WaveLimiterHint : 0
; COMPUTE_PGM_RSRC2:SCRATCH_EN: 0
; COMPUTE_PGM_RSRC2:USER_SGPR: 2
; COMPUTE_PGM_RSRC2:TRAP_HANDLER: 0
; COMPUTE_PGM_RSRC2:TGID_X_EN: 1
; COMPUTE_PGM_RSRC2:TGID_Y_EN: 0
; COMPUTE_PGM_RSRC2:TGID_Z_EN: 0
; COMPUTE_PGM_RSRC2:TIDIG_COMP_CNT: 0
	.section	.text._ZN7rocprim17ROCPRIM_400000_NS6detail17trampoline_kernelINS0_14default_configENS1_22reduce_config_selectorIN6thrust23THRUST_200600_302600_NS5tupleIblNS6_9null_typeES8_S8_S8_S8_S8_S8_S8_EEEEZNS1_11reduce_implILb1ES3_NS6_12zip_iteratorINS7_INS6_11hip_rocprim26transform_input_iterator_tIbNSD_35transform_pair_of_input_iterators_tIbNS6_6detail15normal_iteratorINS6_10device_ptrIKyEEEESL_NS6_8equal_toIyEEEENSG_9not_fun_tINSD_8identityEEEEENSD_19counting_iterator_tIlEES8_S8_S8_S8_S8_S8_S8_S8_EEEEPS9_S9_NSD_9__find_if7functorIS9_EEEE10hipError_tPvRmT1_T2_T3_mT4_P12ihipStream_tbEUlT_E0_NS1_11comp_targetILNS1_3genE3ELNS1_11target_archE908ELNS1_3gpuE7ELNS1_3repE0EEENS1_30default_config_static_selectorELNS0_4arch9wavefront6targetE0EEEvS14_,"axG",@progbits,_ZN7rocprim17ROCPRIM_400000_NS6detail17trampoline_kernelINS0_14default_configENS1_22reduce_config_selectorIN6thrust23THRUST_200600_302600_NS5tupleIblNS6_9null_typeES8_S8_S8_S8_S8_S8_S8_EEEEZNS1_11reduce_implILb1ES3_NS6_12zip_iteratorINS7_INS6_11hip_rocprim26transform_input_iterator_tIbNSD_35transform_pair_of_input_iterators_tIbNS6_6detail15normal_iteratorINS6_10device_ptrIKyEEEESL_NS6_8equal_toIyEEEENSG_9not_fun_tINSD_8identityEEEEENSD_19counting_iterator_tIlEES8_S8_S8_S8_S8_S8_S8_S8_EEEEPS9_S9_NSD_9__find_if7functorIS9_EEEE10hipError_tPvRmT1_T2_T3_mT4_P12ihipStream_tbEUlT_E0_NS1_11comp_targetILNS1_3genE3ELNS1_11target_archE908ELNS1_3gpuE7ELNS1_3repE0EEENS1_30default_config_static_selectorELNS0_4arch9wavefront6targetE0EEEvS14_,comdat
	.protected	_ZN7rocprim17ROCPRIM_400000_NS6detail17trampoline_kernelINS0_14default_configENS1_22reduce_config_selectorIN6thrust23THRUST_200600_302600_NS5tupleIblNS6_9null_typeES8_S8_S8_S8_S8_S8_S8_EEEEZNS1_11reduce_implILb1ES3_NS6_12zip_iteratorINS7_INS6_11hip_rocprim26transform_input_iterator_tIbNSD_35transform_pair_of_input_iterators_tIbNS6_6detail15normal_iteratorINS6_10device_ptrIKyEEEESL_NS6_8equal_toIyEEEENSG_9not_fun_tINSD_8identityEEEEENSD_19counting_iterator_tIlEES8_S8_S8_S8_S8_S8_S8_S8_EEEEPS9_S9_NSD_9__find_if7functorIS9_EEEE10hipError_tPvRmT1_T2_T3_mT4_P12ihipStream_tbEUlT_E0_NS1_11comp_targetILNS1_3genE3ELNS1_11target_archE908ELNS1_3gpuE7ELNS1_3repE0EEENS1_30default_config_static_selectorELNS0_4arch9wavefront6targetE0EEEvS14_ ; -- Begin function _ZN7rocprim17ROCPRIM_400000_NS6detail17trampoline_kernelINS0_14default_configENS1_22reduce_config_selectorIN6thrust23THRUST_200600_302600_NS5tupleIblNS6_9null_typeES8_S8_S8_S8_S8_S8_S8_EEEEZNS1_11reduce_implILb1ES3_NS6_12zip_iteratorINS7_INS6_11hip_rocprim26transform_input_iterator_tIbNSD_35transform_pair_of_input_iterators_tIbNS6_6detail15normal_iteratorINS6_10device_ptrIKyEEEESL_NS6_8equal_toIyEEEENSG_9not_fun_tINSD_8identityEEEEENSD_19counting_iterator_tIlEES8_S8_S8_S8_S8_S8_S8_S8_EEEEPS9_S9_NSD_9__find_if7functorIS9_EEEE10hipError_tPvRmT1_T2_T3_mT4_P12ihipStream_tbEUlT_E0_NS1_11comp_targetILNS1_3genE3ELNS1_11target_archE908ELNS1_3gpuE7ELNS1_3repE0EEENS1_30default_config_static_selectorELNS0_4arch9wavefront6targetE0EEEvS14_
	.globl	_ZN7rocprim17ROCPRIM_400000_NS6detail17trampoline_kernelINS0_14default_configENS1_22reduce_config_selectorIN6thrust23THRUST_200600_302600_NS5tupleIblNS6_9null_typeES8_S8_S8_S8_S8_S8_S8_EEEEZNS1_11reduce_implILb1ES3_NS6_12zip_iteratorINS7_INS6_11hip_rocprim26transform_input_iterator_tIbNSD_35transform_pair_of_input_iterators_tIbNS6_6detail15normal_iteratorINS6_10device_ptrIKyEEEESL_NS6_8equal_toIyEEEENSG_9not_fun_tINSD_8identityEEEEENSD_19counting_iterator_tIlEES8_S8_S8_S8_S8_S8_S8_S8_EEEEPS9_S9_NSD_9__find_if7functorIS9_EEEE10hipError_tPvRmT1_T2_T3_mT4_P12ihipStream_tbEUlT_E0_NS1_11comp_targetILNS1_3genE3ELNS1_11target_archE908ELNS1_3gpuE7ELNS1_3repE0EEENS1_30default_config_static_selectorELNS0_4arch9wavefront6targetE0EEEvS14_
	.p2align	8
	.type	_ZN7rocprim17ROCPRIM_400000_NS6detail17trampoline_kernelINS0_14default_configENS1_22reduce_config_selectorIN6thrust23THRUST_200600_302600_NS5tupleIblNS6_9null_typeES8_S8_S8_S8_S8_S8_S8_EEEEZNS1_11reduce_implILb1ES3_NS6_12zip_iteratorINS7_INS6_11hip_rocprim26transform_input_iterator_tIbNSD_35transform_pair_of_input_iterators_tIbNS6_6detail15normal_iteratorINS6_10device_ptrIKyEEEESL_NS6_8equal_toIyEEEENSG_9not_fun_tINSD_8identityEEEEENSD_19counting_iterator_tIlEES8_S8_S8_S8_S8_S8_S8_S8_EEEEPS9_S9_NSD_9__find_if7functorIS9_EEEE10hipError_tPvRmT1_T2_T3_mT4_P12ihipStream_tbEUlT_E0_NS1_11comp_targetILNS1_3genE3ELNS1_11target_archE908ELNS1_3gpuE7ELNS1_3repE0EEENS1_30default_config_static_selectorELNS0_4arch9wavefront6targetE0EEEvS14_,@function
_ZN7rocprim17ROCPRIM_400000_NS6detail17trampoline_kernelINS0_14default_configENS1_22reduce_config_selectorIN6thrust23THRUST_200600_302600_NS5tupleIblNS6_9null_typeES8_S8_S8_S8_S8_S8_S8_EEEEZNS1_11reduce_implILb1ES3_NS6_12zip_iteratorINS7_INS6_11hip_rocprim26transform_input_iterator_tIbNSD_35transform_pair_of_input_iterators_tIbNS6_6detail15normal_iteratorINS6_10device_ptrIKyEEEESL_NS6_8equal_toIyEEEENSG_9not_fun_tINSD_8identityEEEEENSD_19counting_iterator_tIlEES8_S8_S8_S8_S8_S8_S8_S8_EEEEPS9_S9_NSD_9__find_if7functorIS9_EEEE10hipError_tPvRmT1_T2_T3_mT4_P12ihipStream_tbEUlT_E0_NS1_11comp_targetILNS1_3genE3ELNS1_11target_archE908ELNS1_3gpuE7ELNS1_3repE0EEENS1_30default_config_static_selectorELNS0_4arch9wavefront6targetE0EEEvS14_: ; @_ZN7rocprim17ROCPRIM_400000_NS6detail17trampoline_kernelINS0_14default_configENS1_22reduce_config_selectorIN6thrust23THRUST_200600_302600_NS5tupleIblNS6_9null_typeES8_S8_S8_S8_S8_S8_S8_EEEEZNS1_11reduce_implILb1ES3_NS6_12zip_iteratorINS7_INS6_11hip_rocprim26transform_input_iterator_tIbNSD_35transform_pair_of_input_iterators_tIbNS6_6detail15normal_iteratorINS6_10device_ptrIKyEEEESL_NS6_8equal_toIyEEEENSG_9not_fun_tINSD_8identityEEEEENSD_19counting_iterator_tIlEES8_S8_S8_S8_S8_S8_S8_S8_EEEEPS9_S9_NSD_9__find_if7functorIS9_EEEE10hipError_tPvRmT1_T2_T3_mT4_P12ihipStream_tbEUlT_E0_NS1_11comp_targetILNS1_3genE3ELNS1_11target_archE908ELNS1_3gpuE7ELNS1_3repE0EEENS1_30default_config_static_selectorELNS0_4arch9wavefront6targetE0EEEvS14_
; %bb.0:
	.section	.rodata,"a",@progbits
	.p2align	6, 0x0
	.amdhsa_kernel _ZN7rocprim17ROCPRIM_400000_NS6detail17trampoline_kernelINS0_14default_configENS1_22reduce_config_selectorIN6thrust23THRUST_200600_302600_NS5tupleIblNS6_9null_typeES8_S8_S8_S8_S8_S8_S8_EEEEZNS1_11reduce_implILb1ES3_NS6_12zip_iteratorINS7_INS6_11hip_rocprim26transform_input_iterator_tIbNSD_35transform_pair_of_input_iterators_tIbNS6_6detail15normal_iteratorINS6_10device_ptrIKyEEEESL_NS6_8equal_toIyEEEENSG_9not_fun_tINSD_8identityEEEEENSD_19counting_iterator_tIlEES8_S8_S8_S8_S8_S8_S8_S8_EEEEPS9_S9_NSD_9__find_if7functorIS9_EEEE10hipError_tPvRmT1_T2_T3_mT4_P12ihipStream_tbEUlT_E0_NS1_11comp_targetILNS1_3genE3ELNS1_11target_archE908ELNS1_3gpuE7ELNS1_3repE0EEENS1_30default_config_static_selectorELNS0_4arch9wavefront6targetE0EEEvS14_
		.amdhsa_group_segment_fixed_size 0
		.amdhsa_private_segment_fixed_size 0
		.amdhsa_kernarg_size 104
		.amdhsa_user_sgpr_count 2
		.amdhsa_user_sgpr_dispatch_ptr 0
		.amdhsa_user_sgpr_queue_ptr 0
		.amdhsa_user_sgpr_kernarg_segment_ptr 1
		.amdhsa_user_sgpr_dispatch_id 0
		.amdhsa_user_sgpr_kernarg_preload_length 0
		.amdhsa_user_sgpr_kernarg_preload_offset 0
		.amdhsa_user_sgpr_private_segment_size 0
		.amdhsa_wavefront_size32 1
		.amdhsa_uses_dynamic_stack 0
		.amdhsa_enable_private_segment 0
		.amdhsa_system_sgpr_workgroup_id_x 1
		.amdhsa_system_sgpr_workgroup_id_y 0
		.amdhsa_system_sgpr_workgroup_id_z 0
		.amdhsa_system_sgpr_workgroup_info 0
		.amdhsa_system_vgpr_workitem_id 0
		.amdhsa_next_free_vgpr 1
		.amdhsa_next_free_sgpr 1
		.amdhsa_named_barrier_count 0
		.amdhsa_reserve_vcc 0
		.amdhsa_float_round_mode_32 0
		.amdhsa_float_round_mode_16_64 0
		.amdhsa_float_denorm_mode_32 3
		.amdhsa_float_denorm_mode_16_64 3
		.amdhsa_fp16_overflow 0
		.amdhsa_memory_ordered 1
		.amdhsa_forward_progress 1
		.amdhsa_inst_pref_size 0
		.amdhsa_round_robin_scheduling 0
		.amdhsa_exception_fp_ieee_invalid_op 0
		.amdhsa_exception_fp_denorm_src 0
		.amdhsa_exception_fp_ieee_div_zero 0
		.amdhsa_exception_fp_ieee_overflow 0
		.amdhsa_exception_fp_ieee_underflow 0
		.amdhsa_exception_fp_ieee_inexact 0
		.amdhsa_exception_int_div_zero 0
	.end_amdhsa_kernel
	.section	.text._ZN7rocprim17ROCPRIM_400000_NS6detail17trampoline_kernelINS0_14default_configENS1_22reduce_config_selectorIN6thrust23THRUST_200600_302600_NS5tupleIblNS6_9null_typeES8_S8_S8_S8_S8_S8_S8_EEEEZNS1_11reduce_implILb1ES3_NS6_12zip_iteratorINS7_INS6_11hip_rocprim26transform_input_iterator_tIbNSD_35transform_pair_of_input_iterators_tIbNS6_6detail15normal_iteratorINS6_10device_ptrIKyEEEESL_NS6_8equal_toIyEEEENSG_9not_fun_tINSD_8identityEEEEENSD_19counting_iterator_tIlEES8_S8_S8_S8_S8_S8_S8_S8_EEEEPS9_S9_NSD_9__find_if7functorIS9_EEEE10hipError_tPvRmT1_T2_T3_mT4_P12ihipStream_tbEUlT_E0_NS1_11comp_targetILNS1_3genE3ELNS1_11target_archE908ELNS1_3gpuE7ELNS1_3repE0EEENS1_30default_config_static_selectorELNS0_4arch9wavefront6targetE0EEEvS14_,"axG",@progbits,_ZN7rocprim17ROCPRIM_400000_NS6detail17trampoline_kernelINS0_14default_configENS1_22reduce_config_selectorIN6thrust23THRUST_200600_302600_NS5tupleIblNS6_9null_typeES8_S8_S8_S8_S8_S8_S8_EEEEZNS1_11reduce_implILb1ES3_NS6_12zip_iteratorINS7_INS6_11hip_rocprim26transform_input_iterator_tIbNSD_35transform_pair_of_input_iterators_tIbNS6_6detail15normal_iteratorINS6_10device_ptrIKyEEEESL_NS6_8equal_toIyEEEENSG_9not_fun_tINSD_8identityEEEEENSD_19counting_iterator_tIlEES8_S8_S8_S8_S8_S8_S8_S8_EEEEPS9_S9_NSD_9__find_if7functorIS9_EEEE10hipError_tPvRmT1_T2_T3_mT4_P12ihipStream_tbEUlT_E0_NS1_11comp_targetILNS1_3genE3ELNS1_11target_archE908ELNS1_3gpuE7ELNS1_3repE0EEENS1_30default_config_static_selectorELNS0_4arch9wavefront6targetE0EEEvS14_,comdat
.Lfunc_end117:
	.size	_ZN7rocprim17ROCPRIM_400000_NS6detail17trampoline_kernelINS0_14default_configENS1_22reduce_config_selectorIN6thrust23THRUST_200600_302600_NS5tupleIblNS6_9null_typeES8_S8_S8_S8_S8_S8_S8_EEEEZNS1_11reduce_implILb1ES3_NS6_12zip_iteratorINS7_INS6_11hip_rocprim26transform_input_iterator_tIbNSD_35transform_pair_of_input_iterators_tIbNS6_6detail15normal_iteratorINS6_10device_ptrIKyEEEESL_NS6_8equal_toIyEEEENSG_9not_fun_tINSD_8identityEEEEENSD_19counting_iterator_tIlEES8_S8_S8_S8_S8_S8_S8_S8_EEEEPS9_S9_NSD_9__find_if7functorIS9_EEEE10hipError_tPvRmT1_T2_T3_mT4_P12ihipStream_tbEUlT_E0_NS1_11comp_targetILNS1_3genE3ELNS1_11target_archE908ELNS1_3gpuE7ELNS1_3repE0EEENS1_30default_config_static_selectorELNS0_4arch9wavefront6targetE0EEEvS14_, .Lfunc_end117-_ZN7rocprim17ROCPRIM_400000_NS6detail17trampoline_kernelINS0_14default_configENS1_22reduce_config_selectorIN6thrust23THRUST_200600_302600_NS5tupleIblNS6_9null_typeES8_S8_S8_S8_S8_S8_S8_EEEEZNS1_11reduce_implILb1ES3_NS6_12zip_iteratorINS7_INS6_11hip_rocprim26transform_input_iterator_tIbNSD_35transform_pair_of_input_iterators_tIbNS6_6detail15normal_iteratorINS6_10device_ptrIKyEEEESL_NS6_8equal_toIyEEEENSG_9not_fun_tINSD_8identityEEEEENSD_19counting_iterator_tIlEES8_S8_S8_S8_S8_S8_S8_S8_EEEEPS9_S9_NSD_9__find_if7functorIS9_EEEE10hipError_tPvRmT1_T2_T3_mT4_P12ihipStream_tbEUlT_E0_NS1_11comp_targetILNS1_3genE3ELNS1_11target_archE908ELNS1_3gpuE7ELNS1_3repE0EEENS1_30default_config_static_selectorELNS0_4arch9wavefront6targetE0EEEvS14_
                                        ; -- End function
	.set _ZN7rocprim17ROCPRIM_400000_NS6detail17trampoline_kernelINS0_14default_configENS1_22reduce_config_selectorIN6thrust23THRUST_200600_302600_NS5tupleIblNS6_9null_typeES8_S8_S8_S8_S8_S8_S8_EEEEZNS1_11reduce_implILb1ES3_NS6_12zip_iteratorINS7_INS6_11hip_rocprim26transform_input_iterator_tIbNSD_35transform_pair_of_input_iterators_tIbNS6_6detail15normal_iteratorINS6_10device_ptrIKyEEEESL_NS6_8equal_toIyEEEENSG_9not_fun_tINSD_8identityEEEEENSD_19counting_iterator_tIlEES8_S8_S8_S8_S8_S8_S8_S8_EEEEPS9_S9_NSD_9__find_if7functorIS9_EEEE10hipError_tPvRmT1_T2_T3_mT4_P12ihipStream_tbEUlT_E0_NS1_11comp_targetILNS1_3genE3ELNS1_11target_archE908ELNS1_3gpuE7ELNS1_3repE0EEENS1_30default_config_static_selectorELNS0_4arch9wavefront6targetE0EEEvS14_.num_vgpr, 0
	.set _ZN7rocprim17ROCPRIM_400000_NS6detail17trampoline_kernelINS0_14default_configENS1_22reduce_config_selectorIN6thrust23THRUST_200600_302600_NS5tupleIblNS6_9null_typeES8_S8_S8_S8_S8_S8_S8_EEEEZNS1_11reduce_implILb1ES3_NS6_12zip_iteratorINS7_INS6_11hip_rocprim26transform_input_iterator_tIbNSD_35transform_pair_of_input_iterators_tIbNS6_6detail15normal_iteratorINS6_10device_ptrIKyEEEESL_NS6_8equal_toIyEEEENSG_9not_fun_tINSD_8identityEEEEENSD_19counting_iterator_tIlEES8_S8_S8_S8_S8_S8_S8_S8_EEEEPS9_S9_NSD_9__find_if7functorIS9_EEEE10hipError_tPvRmT1_T2_T3_mT4_P12ihipStream_tbEUlT_E0_NS1_11comp_targetILNS1_3genE3ELNS1_11target_archE908ELNS1_3gpuE7ELNS1_3repE0EEENS1_30default_config_static_selectorELNS0_4arch9wavefront6targetE0EEEvS14_.num_agpr, 0
	.set _ZN7rocprim17ROCPRIM_400000_NS6detail17trampoline_kernelINS0_14default_configENS1_22reduce_config_selectorIN6thrust23THRUST_200600_302600_NS5tupleIblNS6_9null_typeES8_S8_S8_S8_S8_S8_S8_EEEEZNS1_11reduce_implILb1ES3_NS6_12zip_iteratorINS7_INS6_11hip_rocprim26transform_input_iterator_tIbNSD_35transform_pair_of_input_iterators_tIbNS6_6detail15normal_iteratorINS6_10device_ptrIKyEEEESL_NS6_8equal_toIyEEEENSG_9not_fun_tINSD_8identityEEEEENSD_19counting_iterator_tIlEES8_S8_S8_S8_S8_S8_S8_S8_EEEEPS9_S9_NSD_9__find_if7functorIS9_EEEE10hipError_tPvRmT1_T2_T3_mT4_P12ihipStream_tbEUlT_E0_NS1_11comp_targetILNS1_3genE3ELNS1_11target_archE908ELNS1_3gpuE7ELNS1_3repE0EEENS1_30default_config_static_selectorELNS0_4arch9wavefront6targetE0EEEvS14_.numbered_sgpr, 0
	.set _ZN7rocprim17ROCPRIM_400000_NS6detail17trampoline_kernelINS0_14default_configENS1_22reduce_config_selectorIN6thrust23THRUST_200600_302600_NS5tupleIblNS6_9null_typeES8_S8_S8_S8_S8_S8_S8_EEEEZNS1_11reduce_implILb1ES3_NS6_12zip_iteratorINS7_INS6_11hip_rocprim26transform_input_iterator_tIbNSD_35transform_pair_of_input_iterators_tIbNS6_6detail15normal_iteratorINS6_10device_ptrIKyEEEESL_NS6_8equal_toIyEEEENSG_9not_fun_tINSD_8identityEEEEENSD_19counting_iterator_tIlEES8_S8_S8_S8_S8_S8_S8_S8_EEEEPS9_S9_NSD_9__find_if7functorIS9_EEEE10hipError_tPvRmT1_T2_T3_mT4_P12ihipStream_tbEUlT_E0_NS1_11comp_targetILNS1_3genE3ELNS1_11target_archE908ELNS1_3gpuE7ELNS1_3repE0EEENS1_30default_config_static_selectorELNS0_4arch9wavefront6targetE0EEEvS14_.num_named_barrier, 0
	.set _ZN7rocprim17ROCPRIM_400000_NS6detail17trampoline_kernelINS0_14default_configENS1_22reduce_config_selectorIN6thrust23THRUST_200600_302600_NS5tupleIblNS6_9null_typeES8_S8_S8_S8_S8_S8_S8_EEEEZNS1_11reduce_implILb1ES3_NS6_12zip_iteratorINS7_INS6_11hip_rocprim26transform_input_iterator_tIbNSD_35transform_pair_of_input_iterators_tIbNS6_6detail15normal_iteratorINS6_10device_ptrIKyEEEESL_NS6_8equal_toIyEEEENSG_9not_fun_tINSD_8identityEEEEENSD_19counting_iterator_tIlEES8_S8_S8_S8_S8_S8_S8_S8_EEEEPS9_S9_NSD_9__find_if7functorIS9_EEEE10hipError_tPvRmT1_T2_T3_mT4_P12ihipStream_tbEUlT_E0_NS1_11comp_targetILNS1_3genE3ELNS1_11target_archE908ELNS1_3gpuE7ELNS1_3repE0EEENS1_30default_config_static_selectorELNS0_4arch9wavefront6targetE0EEEvS14_.private_seg_size, 0
	.set _ZN7rocprim17ROCPRIM_400000_NS6detail17trampoline_kernelINS0_14default_configENS1_22reduce_config_selectorIN6thrust23THRUST_200600_302600_NS5tupleIblNS6_9null_typeES8_S8_S8_S8_S8_S8_S8_EEEEZNS1_11reduce_implILb1ES3_NS6_12zip_iteratorINS7_INS6_11hip_rocprim26transform_input_iterator_tIbNSD_35transform_pair_of_input_iterators_tIbNS6_6detail15normal_iteratorINS6_10device_ptrIKyEEEESL_NS6_8equal_toIyEEEENSG_9not_fun_tINSD_8identityEEEEENSD_19counting_iterator_tIlEES8_S8_S8_S8_S8_S8_S8_S8_EEEEPS9_S9_NSD_9__find_if7functorIS9_EEEE10hipError_tPvRmT1_T2_T3_mT4_P12ihipStream_tbEUlT_E0_NS1_11comp_targetILNS1_3genE3ELNS1_11target_archE908ELNS1_3gpuE7ELNS1_3repE0EEENS1_30default_config_static_selectorELNS0_4arch9wavefront6targetE0EEEvS14_.uses_vcc, 0
	.set _ZN7rocprim17ROCPRIM_400000_NS6detail17trampoline_kernelINS0_14default_configENS1_22reduce_config_selectorIN6thrust23THRUST_200600_302600_NS5tupleIblNS6_9null_typeES8_S8_S8_S8_S8_S8_S8_EEEEZNS1_11reduce_implILb1ES3_NS6_12zip_iteratorINS7_INS6_11hip_rocprim26transform_input_iterator_tIbNSD_35transform_pair_of_input_iterators_tIbNS6_6detail15normal_iteratorINS6_10device_ptrIKyEEEESL_NS6_8equal_toIyEEEENSG_9not_fun_tINSD_8identityEEEEENSD_19counting_iterator_tIlEES8_S8_S8_S8_S8_S8_S8_S8_EEEEPS9_S9_NSD_9__find_if7functorIS9_EEEE10hipError_tPvRmT1_T2_T3_mT4_P12ihipStream_tbEUlT_E0_NS1_11comp_targetILNS1_3genE3ELNS1_11target_archE908ELNS1_3gpuE7ELNS1_3repE0EEENS1_30default_config_static_selectorELNS0_4arch9wavefront6targetE0EEEvS14_.uses_flat_scratch, 0
	.set _ZN7rocprim17ROCPRIM_400000_NS6detail17trampoline_kernelINS0_14default_configENS1_22reduce_config_selectorIN6thrust23THRUST_200600_302600_NS5tupleIblNS6_9null_typeES8_S8_S8_S8_S8_S8_S8_EEEEZNS1_11reduce_implILb1ES3_NS6_12zip_iteratorINS7_INS6_11hip_rocprim26transform_input_iterator_tIbNSD_35transform_pair_of_input_iterators_tIbNS6_6detail15normal_iteratorINS6_10device_ptrIKyEEEESL_NS6_8equal_toIyEEEENSG_9not_fun_tINSD_8identityEEEEENSD_19counting_iterator_tIlEES8_S8_S8_S8_S8_S8_S8_S8_EEEEPS9_S9_NSD_9__find_if7functorIS9_EEEE10hipError_tPvRmT1_T2_T3_mT4_P12ihipStream_tbEUlT_E0_NS1_11comp_targetILNS1_3genE3ELNS1_11target_archE908ELNS1_3gpuE7ELNS1_3repE0EEENS1_30default_config_static_selectorELNS0_4arch9wavefront6targetE0EEEvS14_.has_dyn_sized_stack, 0
	.set _ZN7rocprim17ROCPRIM_400000_NS6detail17trampoline_kernelINS0_14default_configENS1_22reduce_config_selectorIN6thrust23THRUST_200600_302600_NS5tupleIblNS6_9null_typeES8_S8_S8_S8_S8_S8_S8_EEEEZNS1_11reduce_implILb1ES3_NS6_12zip_iteratorINS7_INS6_11hip_rocprim26transform_input_iterator_tIbNSD_35transform_pair_of_input_iterators_tIbNS6_6detail15normal_iteratorINS6_10device_ptrIKyEEEESL_NS6_8equal_toIyEEEENSG_9not_fun_tINSD_8identityEEEEENSD_19counting_iterator_tIlEES8_S8_S8_S8_S8_S8_S8_S8_EEEEPS9_S9_NSD_9__find_if7functorIS9_EEEE10hipError_tPvRmT1_T2_T3_mT4_P12ihipStream_tbEUlT_E0_NS1_11comp_targetILNS1_3genE3ELNS1_11target_archE908ELNS1_3gpuE7ELNS1_3repE0EEENS1_30default_config_static_selectorELNS0_4arch9wavefront6targetE0EEEvS14_.has_recursion, 0
	.set _ZN7rocprim17ROCPRIM_400000_NS6detail17trampoline_kernelINS0_14default_configENS1_22reduce_config_selectorIN6thrust23THRUST_200600_302600_NS5tupleIblNS6_9null_typeES8_S8_S8_S8_S8_S8_S8_EEEEZNS1_11reduce_implILb1ES3_NS6_12zip_iteratorINS7_INS6_11hip_rocprim26transform_input_iterator_tIbNSD_35transform_pair_of_input_iterators_tIbNS6_6detail15normal_iteratorINS6_10device_ptrIKyEEEESL_NS6_8equal_toIyEEEENSG_9not_fun_tINSD_8identityEEEEENSD_19counting_iterator_tIlEES8_S8_S8_S8_S8_S8_S8_S8_EEEEPS9_S9_NSD_9__find_if7functorIS9_EEEE10hipError_tPvRmT1_T2_T3_mT4_P12ihipStream_tbEUlT_E0_NS1_11comp_targetILNS1_3genE3ELNS1_11target_archE908ELNS1_3gpuE7ELNS1_3repE0EEENS1_30default_config_static_selectorELNS0_4arch9wavefront6targetE0EEEvS14_.has_indirect_call, 0
	.section	.AMDGPU.csdata,"",@progbits
; Kernel info:
; codeLenInByte = 0
; TotalNumSgprs: 0
; NumVgprs: 0
; ScratchSize: 0
; MemoryBound: 0
; FloatMode: 240
; IeeeMode: 1
; LDSByteSize: 0 bytes/workgroup (compile time only)
; SGPRBlocks: 0
; VGPRBlocks: 0
; NumSGPRsForWavesPerEU: 1
; NumVGPRsForWavesPerEU: 1
; NamedBarCnt: 0
; Occupancy: 16
; WaveLimiterHint : 0
; COMPUTE_PGM_RSRC2:SCRATCH_EN: 0
; COMPUTE_PGM_RSRC2:USER_SGPR: 2
; COMPUTE_PGM_RSRC2:TRAP_HANDLER: 0
; COMPUTE_PGM_RSRC2:TGID_X_EN: 1
; COMPUTE_PGM_RSRC2:TGID_Y_EN: 0
; COMPUTE_PGM_RSRC2:TGID_Z_EN: 0
; COMPUTE_PGM_RSRC2:TIDIG_COMP_CNT: 0
	.section	.text._ZN7rocprim17ROCPRIM_400000_NS6detail17trampoline_kernelINS0_14default_configENS1_22reduce_config_selectorIN6thrust23THRUST_200600_302600_NS5tupleIblNS6_9null_typeES8_S8_S8_S8_S8_S8_S8_EEEEZNS1_11reduce_implILb1ES3_NS6_12zip_iteratorINS7_INS6_11hip_rocprim26transform_input_iterator_tIbNSD_35transform_pair_of_input_iterators_tIbNS6_6detail15normal_iteratorINS6_10device_ptrIKyEEEESL_NS6_8equal_toIyEEEENSG_9not_fun_tINSD_8identityEEEEENSD_19counting_iterator_tIlEES8_S8_S8_S8_S8_S8_S8_S8_EEEEPS9_S9_NSD_9__find_if7functorIS9_EEEE10hipError_tPvRmT1_T2_T3_mT4_P12ihipStream_tbEUlT_E0_NS1_11comp_targetILNS1_3genE2ELNS1_11target_archE906ELNS1_3gpuE6ELNS1_3repE0EEENS1_30default_config_static_selectorELNS0_4arch9wavefront6targetE0EEEvS14_,"axG",@progbits,_ZN7rocprim17ROCPRIM_400000_NS6detail17trampoline_kernelINS0_14default_configENS1_22reduce_config_selectorIN6thrust23THRUST_200600_302600_NS5tupleIblNS6_9null_typeES8_S8_S8_S8_S8_S8_S8_EEEEZNS1_11reduce_implILb1ES3_NS6_12zip_iteratorINS7_INS6_11hip_rocprim26transform_input_iterator_tIbNSD_35transform_pair_of_input_iterators_tIbNS6_6detail15normal_iteratorINS6_10device_ptrIKyEEEESL_NS6_8equal_toIyEEEENSG_9not_fun_tINSD_8identityEEEEENSD_19counting_iterator_tIlEES8_S8_S8_S8_S8_S8_S8_S8_EEEEPS9_S9_NSD_9__find_if7functorIS9_EEEE10hipError_tPvRmT1_T2_T3_mT4_P12ihipStream_tbEUlT_E0_NS1_11comp_targetILNS1_3genE2ELNS1_11target_archE906ELNS1_3gpuE6ELNS1_3repE0EEENS1_30default_config_static_selectorELNS0_4arch9wavefront6targetE0EEEvS14_,comdat
	.protected	_ZN7rocprim17ROCPRIM_400000_NS6detail17trampoline_kernelINS0_14default_configENS1_22reduce_config_selectorIN6thrust23THRUST_200600_302600_NS5tupleIblNS6_9null_typeES8_S8_S8_S8_S8_S8_S8_EEEEZNS1_11reduce_implILb1ES3_NS6_12zip_iteratorINS7_INS6_11hip_rocprim26transform_input_iterator_tIbNSD_35transform_pair_of_input_iterators_tIbNS6_6detail15normal_iteratorINS6_10device_ptrIKyEEEESL_NS6_8equal_toIyEEEENSG_9not_fun_tINSD_8identityEEEEENSD_19counting_iterator_tIlEES8_S8_S8_S8_S8_S8_S8_S8_EEEEPS9_S9_NSD_9__find_if7functorIS9_EEEE10hipError_tPvRmT1_T2_T3_mT4_P12ihipStream_tbEUlT_E0_NS1_11comp_targetILNS1_3genE2ELNS1_11target_archE906ELNS1_3gpuE6ELNS1_3repE0EEENS1_30default_config_static_selectorELNS0_4arch9wavefront6targetE0EEEvS14_ ; -- Begin function _ZN7rocprim17ROCPRIM_400000_NS6detail17trampoline_kernelINS0_14default_configENS1_22reduce_config_selectorIN6thrust23THRUST_200600_302600_NS5tupleIblNS6_9null_typeES8_S8_S8_S8_S8_S8_S8_EEEEZNS1_11reduce_implILb1ES3_NS6_12zip_iteratorINS7_INS6_11hip_rocprim26transform_input_iterator_tIbNSD_35transform_pair_of_input_iterators_tIbNS6_6detail15normal_iteratorINS6_10device_ptrIKyEEEESL_NS6_8equal_toIyEEEENSG_9not_fun_tINSD_8identityEEEEENSD_19counting_iterator_tIlEES8_S8_S8_S8_S8_S8_S8_S8_EEEEPS9_S9_NSD_9__find_if7functorIS9_EEEE10hipError_tPvRmT1_T2_T3_mT4_P12ihipStream_tbEUlT_E0_NS1_11comp_targetILNS1_3genE2ELNS1_11target_archE906ELNS1_3gpuE6ELNS1_3repE0EEENS1_30default_config_static_selectorELNS0_4arch9wavefront6targetE0EEEvS14_
	.globl	_ZN7rocprim17ROCPRIM_400000_NS6detail17trampoline_kernelINS0_14default_configENS1_22reduce_config_selectorIN6thrust23THRUST_200600_302600_NS5tupleIblNS6_9null_typeES8_S8_S8_S8_S8_S8_S8_EEEEZNS1_11reduce_implILb1ES3_NS6_12zip_iteratorINS7_INS6_11hip_rocprim26transform_input_iterator_tIbNSD_35transform_pair_of_input_iterators_tIbNS6_6detail15normal_iteratorINS6_10device_ptrIKyEEEESL_NS6_8equal_toIyEEEENSG_9not_fun_tINSD_8identityEEEEENSD_19counting_iterator_tIlEES8_S8_S8_S8_S8_S8_S8_S8_EEEEPS9_S9_NSD_9__find_if7functorIS9_EEEE10hipError_tPvRmT1_T2_T3_mT4_P12ihipStream_tbEUlT_E0_NS1_11comp_targetILNS1_3genE2ELNS1_11target_archE906ELNS1_3gpuE6ELNS1_3repE0EEENS1_30default_config_static_selectorELNS0_4arch9wavefront6targetE0EEEvS14_
	.p2align	8
	.type	_ZN7rocprim17ROCPRIM_400000_NS6detail17trampoline_kernelINS0_14default_configENS1_22reduce_config_selectorIN6thrust23THRUST_200600_302600_NS5tupleIblNS6_9null_typeES8_S8_S8_S8_S8_S8_S8_EEEEZNS1_11reduce_implILb1ES3_NS6_12zip_iteratorINS7_INS6_11hip_rocprim26transform_input_iterator_tIbNSD_35transform_pair_of_input_iterators_tIbNS6_6detail15normal_iteratorINS6_10device_ptrIKyEEEESL_NS6_8equal_toIyEEEENSG_9not_fun_tINSD_8identityEEEEENSD_19counting_iterator_tIlEES8_S8_S8_S8_S8_S8_S8_S8_EEEEPS9_S9_NSD_9__find_if7functorIS9_EEEE10hipError_tPvRmT1_T2_T3_mT4_P12ihipStream_tbEUlT_E0_NS1_11comp_targetILNS1_3genE2ELNS1_11target_archE906ELNS1_3gpuE6ELNS1_3repE0EEENS1_30default_config_static_selectorELNS0_4arch9wavefront6targetE0EEEvS14_,@function
_ZN7rocprim17ROCPRIM_400000_NS6detail17trampoline_kernelINS0_14default_configENS1_22reduce_config_selectorIN6thrust23THRUST_200600_302600_NS5tupleIblNS6_9null_typeES8_S8_S8_S8_S8_S8_S8_EEEEZNS1_11reduce_implILb1ES3_NS6_12zip_iteratorINS7_INS6_11hip_rocprim26transform_input_iterator_tIbNSD_35transform_pair_of_input_iterators_tIbNS6_6detail15normal_iteratorINS6_10device_ptrIKyEEEESL_NS6_8equal_toIyEEEENSG_9not_fun_tINSD_8identityEEEEENSD_19counting_iterator_tIlEES8_S8_S8_S8_S8_S8_S8_S8_EEEEPS9_S9_NSD_9__find_if7functorIS9_EEEE10hipError_tPvRmT1_T2_T3_mT4_P12ihipStream_tbEUlT_E0_NS1_11comp_targetILNS1_3genE2ELNS1_11target_archE906ELNS1_3gpuE6ELNS1_3repE0EEENS1_30default_config_static_selectorELNS0_4arch9wavefront6targetE0EEEvS14_: ; @_ZN7rocprim17ROCPRIM_400000_NS6detail17trampoline_kernelINS0_14default_configENS1_22reduce_config_selectorIN6thrust23THRUST_200600_302600_NS5tupleIblNS6_9null_typeES8_S8_S8_S8_S8_S8_S8_EEEEZNS1_11reduce_implILb1ES3_NS6_12zip_iteratorINS7_INS6_11hip_rocprim26transform_input_iterator_tIbNSD_35transform_pair_of_input_iterators_tIbNS6_6detail15normal_iteratorINS6_10device_ptrIKyEEEESL_NS6_8equal_toIyEEEENSG_9not_fun_tINSD_8identityEEEEENSD_19counting_iterator_tIlEES8_S8_S8_S8_S8_S8_S8_S8_EEEEPS9_S9_NSD_9__find_if7functorIS9_EEEE10hipError_tPvRmT1_T2_T3_mT4_P12ihipStream_tbEUlT_E0_NS1_11comp_targetILNS1_3genE2ELNS1_11target_archE906ELNS1_3gpuE6ELNS1_3repE0EEENS1_30default_config_static_selectorELNS0_4arch9wavefront6targetE0EEEvS14_
; %bb.0:
	.section	.rodata,"a",@progbits
	.p2align	6, 0x0
	.amdhsa_kernel _ZN7rocprim17ROCPRIM_400000_NS6detail17trampoline_kernelINS0_14default_configENS1_22reduce_config_selectorIN6thrust23THRUST_200600_302600_NS5tupleIblNS6_9null_typeES8_S8_S8_S8_S8_S8_S8_EEEEZNS1_11reduce_implILb1ES3_NS6_12zip_iteratorINS7_INS6_11hip_rocprim26transform_input_iterator_tIbNSD_35transform_pair_of_input_iterators_tIbNS6_6detail15normal_iteratorINS6_10device_ptrIKyEEEESL_NS6_8equal_toIyEEEENSG_9not_fun_tINSD_8identityEEEEENSD_19counting_iterator_tIlEES8_S8_S8_S8_S8_S8_S8_S8_EEEEPS9_S9_NSD_9__find_if7functorIS9_EEEE10hipError_tPvRmT1_T2_T3_mT4_P12ihipStream_tbEUlT_E0_NS1_11comp_targetILNS1_3genE2ELNS1_11target_archE906ELNS1_3gpuE6ELNS1_3repE0EEENS1_30default_config_static_selectorELNS0_4arch9wavefront6targetE0EEEvS14_
		.amdhsa_group_segment_fixed_size 0
		.amdhsa_private_segment_fixed_size 0
		.amdhsa_kernarg_size 104
		.amdhsa_user_sgpr_count 2
		.amdhsa_user_sgpr_dispatch_ptr 0
		.amdhsa_user_sgpr_queue_ptr 0
		.amdhsa_user_sgpr_kernarg_segment_ptr 1
		.amdhsa_user_sgpr_dispatch_id 0
		.amdhsa_user_sgpr_kernarg_preload_length 0
		.amdhsa_user_sgpr_kernarg_preload_offset 0
		.amdhsa_user_sgpr_private_segment_size 0
		.amdhsa_wavefront_size32 1
		.amdhsa_uses_dynamic_stack 0
		.amdhsa_enable_private_segment 0
		.amdhsa_system_sgpr_workgroup_id_x 1
		.amdhsa_system_sgpr_workgroup_id_y 0
		.amdhsa_system_sgpr_workgroup_id_z 0
		.amdhsa_system_sgpr_workgroup_info 0
		.amdhsa_system_vgpr_workitem_id 0
		.amdhsa_next_free_vgpr 1
		.amdhsa_next_free_sgpr 1
		.amdhsa_named_barrier_count 0
		.amdhsa_reserve_vcc 0
		.amdhsa_float_round_mode_32 0
		.amdhsa_float_round_mode_16_64 0
		.amdhsa_float_denorm_mode_32 3
		.amdhsa_float_denorm_mode_16_64 3
		.amdhsa_fp16_overflow 0
		.amdhsa_memory_ordered 1
		.amdhsa_forward_progress 1
		.amdhsa_inst_pref_size 0
		.amdhsa_round_robin_scheduling 0
		.amdhsa_exception_fp_ieee_invalid_op 0
		.amdhsa_exception_fp_denorm_src 0
		.amdhsa_exception_fp_ieee_div_zero 0
		.amdhsa_exception_fp_ieee_overflow 0
		.amdhsa_exception_fp_ieee_underflow 0
		.amdhsa_exception_fp_ieee_inexact 0
		.amdhsa_exception_int_div_zero 0
	.end_amdhsa_kernel
	.section	.text._ZN7rocprim17ROCPRIM_400000_NS6detail17trampoline_kernelINS0_14default_configENS1_22reduce_config_selectorIN6thrust23THRUST_200600_302600_NS5tupleIblNS6_9null_typeES8_S8_S8_S8_S8_S8_S8_EEEEZNS1_11reduce_implILb1ES3_NS6_12zip_iteratorINS7_INS6_11hip_rocprim26transform_input_iterator_tIbNSD_35transform_pair_of_input_iterators_tIbNS6_6detail15normal_iteratorINS6_10device_ptrIKyEEEESL_NS6_8equal_toIyEEEENSG_9not_fun_tINSD_8identityEEEEENSD_19counting_iterator_tIlEES8_S8_S8_S8_S8_S8_S8_S8_EEEEPS9_S9_NSD_9__find_if7functorIS9_EEEE10hipError_tPvRmT1_T2_T3_mT4_P12ihipStream_tbEUlT_E0_NS1_11comp_targetILNS1_3genE2ELNS1_11target_archE906ELNS1_3gpuE6ELNS1_3repE0EEENS1_30default_config_static_selectorELNS0_4arch9wavefront6targetE0EEEvS14_,"axG",@progbits,_ZN7rocprim17ROCPRIM_400000_NS6detail17trampoline_kernelINS0_14default_configENS1_22reduce_config_selectorIN6thrust23THRUST_200600_302600_NS5tupleIblNS6_9null_typeES8_S8_S8_S8_S8_S8_S8_EEEEZNS1_11reduce_implILb1ES3_NS6_12zip_iteratorINS7_INS6_11hip_rocprim26transform_input_iterator_tIbNSD_35transform_pair_of_input_iterators_tIbNS6_6detail15normal_iteratorINS6_10device_ptrIKyEEEESL_NS6_8equal_toIyEEEENSG_9not_fun_tINSD_8identityEEEEENSD_19counting_iterator_tIlEES8_S8_S8_S8_S8_S8_S8_S8_EEEEPS9_S9_NSD_9__find_if7functorIS9_EEEE10hipError_tPvRmT1_T2_T3_mT4_P12ihipStream_tbEUlT_E0_NS1_11comp_targetILNS1_3genE2ELNS1_11target_archE906ELNS1_3gpuE6ELNS1_3repE0EEENS1_30default_config_static_selectorELNS0_4arch9wavefront6targetE0EEEvS14_,comdat
.Lfunc_end118:
	.size	_ZN7rocprim17ROCPRIM_400000_NS6detail17trampoline_kernelINS0_14default_configENS1_22reduce_config_selectorIN6thrust23THRUST_200600_302600_NS5tupleIblNS6_9null_typeES8_S8_S8_S8_S8_S8_S8_EEEEZNS1_11reduce_implILb1ES3_NS6_12zip_iteratorINS7_INS6_11hip_rocprim26transform_input_iterator_tIbNSD_35transform_pair_of_input_iterators_tIbNS6_6detail15normal_iteratorINS6_10device_ptrIKyEEEESL_NS6_8equal_toIyEEEENSG_9not_fun_tINSD_8identityEEEEENSD_19counting_iterator_tIlEES8_S8_S8_S8_S8_S8_S8_S8_EEEEPS9_S9_NSD_9__find_if7functorIS9_EEEE10hipError_tPvRmT1_T2_T3_mT4_P12ihipStream_tbEUlT_E0_NS1_11comp_targetILNS1_3genE2ELNS1_11target_archE906ELNS1_3gpuE6ELNS1_3repE0EEENS1_30default_config_static_selectorELNS0_4arch9wavefront6targetE0EEEvS14_, .Lfunc_end118-_ZN7rocprim17ROCPRIM_400000_NS6detail17trampoline_kernelINS0_14default_configENS1_22reduce_config_selectorIN6thrust23THRUST_200600_302600_NS5tupleIblNS6_9null_typeES8_S8_S8_S8_S8_S8_S8_EEEEZNS1_11reduce_implILb1ES3_NS6_12zip_iteratorINS7_INS6_11hip_rocprim26transform_input_iterator_tIbNSD_35transform_pair_of_input_iterators_tIbNS6_6detail15normal_iteratorINS6_10device_ptrIKyEEEESL_NS6_8equal_toIyEEEENSG_9not_fun_tINSD_8identityEEEEENSD_19counting_iterator_tIlEES8_S8_S8_S8_S8_S8_S8_S8_EEEEPS9_S9_NSD_9__find_if7functorIS9_EEEE10hipError_tPvRmT1_T2_T3_mT4_P12ihipStream_tbEUlT_E0_NS1_11comp_targetILNS1_3genE2ELNS1_11target_archE906ELNS1_3gpuE6ELNS1_3repE0EEENS1_30default_config_static_selectorELNS0_4arch9wavefront6targetE0EEEvS14_
                                        ; -- End function
	.set _ZN7rocprim17ROCPRIM_400000_NS6detail17trampoline_kernelINS0_14default_configENS1_22reduce_config_selectorIN6thrust23THRUST_200600_302600_NS5tupleIblNS6_9null_typeES8_S8_S8_S8_S8_S8_S8_EEEEZNS1_11reduce_implILb1ES3_NS6_12zip_iteratorINS7_INS6_11hip_rocprim26transform_input_iterator_tIbNSD_35transform_pair_of_input_iterators_tIbNS6_6detail15normal_iteratorINS6_10device_ptrIKyEEEESL_NS6_8equal_toIyEEEENSG_9not_fun_tINSD_8identityEEEEENSD_19counting_iterator_tIlEES8_S8_S8_S8_S8_S8_S8_S8_EEEEPS9_S9_NSD_9__find_if7functorIS9_EEEE10hipError_tPvRmT1_T2_T3_mT4_P12ihipStream_tbEUlT_E0_NS1_11comp_targetILNS1_3genE2ELNS1_11target_archE906ELNS1_3gpuE6ELNS1_3repE0EEENS1_30default_config_static_selectorELNS0_4arch9wavefront6targetE0EEEvS14_.num_vgpr, 0
	.set _ZN7rocprim17ROCPRIM_400000_NS6detail17trampoline_kernelINS0_14default_configENS1_22reduce_config_selectorIN6thrust23THRUST_200600_302600_NS5tupleIblNS6_9null_typeES8_S8_S8_S8_S8_S8_S8_EEEEZNS1_11reduce_implILb1ES3_NS6_12zip_iteratorINS7_INS6_11hip_rocprim26transform_input_iterator_tIbNSD_35transform_pair_of_input_iterators_tIbNS6_6detail15normal_iteratorINS6_10device_ptrIKyEEEESL_NS6_8equal_toIyEEEENSG_9not_fun_tINSD_8identityEEEEENSD_19counting_iterator_tIlEES8_S8_S8_S8_S8_S8_S8_S8_EEEEPS9_S9_NSD_9__find_if7functorIS9_EEEE10hipError_tPvRmT1_T2_T3_mT4_P12ihipStream_tbEUlT_E0_NS1_11comp_targetILNS1_3genE2ELNS1_11target_archE906ELNS1_3gpuE6ELNS1_3repE0EEENS1_30default_config_static_selectorELNS0_4arch9wavefront6targetE0EEEvS14_.num_agpr, 0
	.set _ZN7rocprim17ROCPRIM_400000_NS6detail17trampoline_kernelINS0_14default_configENS1_22reduce_config_selectorIN6thrust23THRUST_200600_302600_NS5tupleIblNS6_9null_typeES8_S8_S8_S8_S8_S8_S8_EEEEZNS1_11reduce_implILb1ES3_NS6_12zip_iteratorINS7_INS6_11hip_rocprim26transform_input_iterator_tIbNSD_35transform_pair_of_input_iterators_tIbNS6_6detail15normal_iteratorINS6_10device_ptrIKyEEEESL_NS6_8equal_toIyEEEENSG_9not_fun_tINSD_8identityEEEEENSD_19counting_iterator_tIlEES8_S8_S8_S8_S8_S8_S8_S8_EEEEPS9_S9_NSD_9__find_if7functorIS9_EEEE10hipError_tPvRmT1_T2_T3_mT4_P12ihipStream_tbEUlT_E0_NS1_11comp_targetILNS1_3genE2ELNS1_11target_archE906ELNS1_3gpuE6ELNS1_3repE0EEENS1_30default_config_static_selectorELNS0_4arch9wavefront6targetE0EEEvS14_.numbered_sgpr, 0
	.set _ZN7rocprim17ROCPRIM_400000_NS6detail17trampoline_kernelINS0_14default_configENS1_22reduce_config_selectorIN6thrust23THRUST_200600_302600_NS5tupleIblNS6_9null_typeES8_S8_S8_S8_S8_S8_S8_EEEEZNS1_11reduce_implILb1ES3_NS6_12zip_iteratorINS7_INS6_11hip_rocprim26transform_input_iterator_tIbNSD_35transform_pair_of_input_iterators_tIbNS6_6detail15normal_iteratorINS6_10device_ptrIKyEEEESL_NS6_8equal_toIyEEEENSG_9not_fun_tINSD_8identityEEEEENSD_19counting_iterator_tIlEES8_S8_S8_S8_S8_S8_S8_S8_EEEEPS9_S9_NSD_9__find_if7functorIS9_EEEE10hipError_tPvRmT1_T2_T3_mT4_P12ihipStream_tbEUlT_E0_NS1_11comp_targetILNS1_3genE2ELNS1_11target_archE906ELNS1_3gpuE6ELNS1_3repE0EEENS1_30default_config_static_selectorELNS0_4arch9wavefront6targetE0EEEvS14_.num_named_barrier, 0
	.set _ZN7rocprim17ROCPRIM_400000_NS6detail17trampoline_kernelINS0_14default_configENS1_22reduce_config_selectorIN6thrust23THRUST_200600_302600_NS5tupleIblNS6_9null_typeES8_S8_S8_S8_S8_S8_S8_EEEEZNS1_11reduce_implILb1ES3_NS6_12zip_iteratorINS7_INS6_11hip_rocprim26transform_input_iterator_tIbNSD_35transform_pair_of_input_iterators_tIbNS6_6detail15normal_iteratorINS6_10device_ptrIKyEEEESL_NS6_8equal_toIyEEEENSG_9not_fun_tINSD_8identityEEEEENSD_19counting_iterator_tIlEES8_S8_S8_S8_S8_S8_S8_S8_EEEEPS9_S9_NSD_9__find_if7functorIS9_EEEE10hipError_tPvRmT1_T2_T3_mT4_P12ihipStream_tbEUlT_E0_NS1_11comp_targetILNS1_3genE2ELNS1_11target_archE906ELNS1_3gpuE6ELNS1_3repE0EEENS1_30default_config_static_selectorELNS0_4arch9wavefront6targetE0EEEvS14_.private_seg_size, 0
	.set _ZN7rocprim17ROCPRIM_400000_NS6detail17trampoline_kernelINS0_14default_configENS1_22reduce_config_selectorIN6thrust23THRUST_200600_302600_NS5tupleIblNS6_9null_typeES8_S8_S8_S8_S8_S8_S8_EEEEZNS1_11reduce_implILb1ES3_NS6_12zip_iteratorINS7_INS6_11hip_rocprim26transform_input_iterator_tIbNSD_35transform_pair_of_input_iterators_tIbNS6_6detail15normal_iteratorINS6_10device_ptrIKyEEEESL_NS6_8equal_toIyEEEENSG_9not_fun_tINSD_8identityEEEEENSD_19counting_iterator_tIlEES8_S8_S8_S8_S8_S8_S8_S8_EEEEPS9_S9_NSD_9__find_if7functorIS9_EEEE10hipError_tPvRmT1_T2_T3_mT4_P12ihipStream_tbEUlT_E0_NS1_11comp_targetILNS1_3genE2ELNS1_11target_archE906ELNS1_3gpuE6ELNS1_3repE0EEENS1_30default_config_static_selectorELNS0_4arch9wavefront6targetE0EEEvS14_.uses_vcc, 0
	.set _ZN7rocprim17ROCPRIM_400000_NS6detail17trampoline_kernelINS0_14default_configENS1_22reduce_config_selectorIN6thrust23THRUST_200600_302600_NS5tupleIblNS6_9null_typeES8_S8_S8_S8_S8_S8_S8_EEEEZNS1_11reduce_implILb1ES3_NS6_12zip_iteratorINS7_INS6_11hip_rocprim26transform_input_iterator_tIbNSD_35transform_pair_of_input_iterators_tIbNS6_6detail15normal_iteratorINS6_10device_ptrIKyEEEESL_NS6_8equal_toIyEEEENSG_9not_fun_tINSD_8identityEEEEENSD_19counting_iterator_tIlEES8_S8_S8_S8_S8_S8_S8_S8_EEEEPS9_S9_NSD_9__find_if7functorIS9_EEEE10hipError_tPvRmT1_T2_T3_mT4_P12ihipStream_tbEUlT_E0_NS1_11comp_targetILNS1_3genE2ELNS1_11target_archE906ELNS1_3gpuE6ELNS1_3repE0EEENS1_30default_config_static_selectorELNS0_4arch9wavefront6targetE0EEEvS14_.uses_flat_scratch, 0
	.set _ZN7rocprim17ROCPRIM_400000_NS6detail17trampoline_kernelINS0_14default_configENS1_22reduce_config_selectorIN6thrust23THRUST_200600_302600_NS5tupleIblNS6_9null_typeES8_S8_S8_S8_S8_S8_S8_EEEEZNS1_11reduce_implILb1ES3_NS6_12zip_iteratorINS7_INS6_11hip_rocprim26transform_input_iterator_tIbNSD_35transform_pair_of_input_iterators_tIbNS6_6detail15normal_iteratorINS6_10device_ptrIKyEEEESL_NS6_8equal_toIyEEEENSG_9not_fun_tINSD_8identityEEEEENSD_19counting_iterator_tIlEES8_S8_S8_S8_S8_S8_S8_S8_EEEEPS9_S9_NSD_9__find_if7functorIS9_EEEE10hipError_tPvRmT1_T2_T3_mT4_P12ihipStream_tbEUlT_E0_NS1_11comp_targetILNS1_3genE2ELNS1_11target_archE906ELNS1_3gpuE6ELNS1_3repE0EEENS1_30default_config_static_selectorELNS0_4arch9wavefront6targetE0EEEvS14_.has_dyn_sized_stack, 0
	.set _ZN7rocprim17ROCPRIM_400000_NS6detail17trampoline_kernelINS0_14default_configENS1_22reduce_config_selectorIN6thrust23THRUST_200600_302600_NS5tupleIblNS6_9null_typeES8_S8_S8_S8_S8_S8_S8_EEEEZNS1_11reduce_implILb1ES3_NS6_12zip_iteratorINS7_INS6_11hip_rocprim26transform_input_iterator_tIbNSD_35transform_pair_of_input_iterators_tIbNS6_6detail15normal_iteratorINS6_10device_ptrIKyEEEESL_NS6_8equal_toIyEEEENSG_9not_fun_tINSD_8identityEEEEENSD_19counting_iterator_tIlEES8_S8_S8_S8_S8_S8_S8_S8_EEEEPS9_S9_NSD_9__find_if7functorIS9_EEEE10hipError_tPvRmT1_T2_T3_mT4_P12ihipStream_tbEUlT_E0_NS1_11comp_targetILNS1_3genE2ELNS1_11target_archE906ELNS1_3gpuE6ELNS1_3repE0EEENS1_30default_config_static_selectorELNS0_4arch9wavefront6targetE0EEEvS14_.has_recursion, 0
	.set _ZN7rocprim17ROCPRIM_400000_NS6detail17trampoline_kernelINS0_14default_configENS1_22reduce_config_selectorIN6thrust23THRUST_200600_302600_NS5tupleIblNS6_9null_typeES8_S8_S8_S8_S8_S8_S8_EEEEZNS1_11reduce_implILb1ES3_NS6_12zip_iteratorINS7_INS6_11hip_rocprim26transform_input_iterator_tIbNSD_35transform_pair_of_input_iterators_tIbNS6_6detail15normal_iteratorINS6_10device_ptrIKyEEEESL_NS6_8equal_toIyEEEENSG_9not_fun_tINSD_8identityEEEEENSD_19counting_iterator_tIlEES8_S8_S8_S8_S8_S8_S8_S8_EEEEPS9_S9_NSD_9__find_if7functorIS9_EEEE10hipError_tPvRmT1_T2_T3_mT4_P12ihipStream_tbEUlT_E0_NS1_11comp_targetILNS1_3genE2ELNS1_11target_archE906ELNS1_3gpuE6ELNS1_3repE0EEENS1_30default_config_static_selectorELNS0_4arch9wavefront6targetE0EEEvS14_.has_indirect_call, 0
	.section	.AMDGPU.csdata,"",@progbits
; Kernel info:
; codeLenInByte = 0
; TotalNumSgprs: 0
; NumVgprs: 0
; ScratchSize: 0
; MemoryBound: 0
; FloatMode: 240
; IeeeMode: 1
; LDSByteSize: 0 bytes/workgroup (compile time only)
; SGPRBlocks: 0
; VGPRBlocks: 0
; NumSGPRsForWavesPerEU: 1
; NumVGPRsForWavesPerEU: 1
; NamedBarCnt: 0
; Occupancy: 16
; WaveLimiterHint : 0
; COMPUTE_PGM_RSRC2:SCRATCH_EN: 0
; COMPUTE_PGM_RSRC2:USER_SGPR: 2
; COMPUTE_PGM_RSRC2:TRAP_HANDLER: 0
; COMPUTE_PGM_RSRC2:TGID_X_EN: 1
; COMPUTE_PGM_RSRC2:TGID_Y_EN: 0
; COMPUTE_PGM_RSRC2:TGID_Z_EN: 0
; COMPUTE_PGM_RSRC2:TIDIG_COMP_CNT: 0
	.section	.text._ZN7rocprim17ROCPRIM_400000_NS6detail17trampoline_kernelINS0_14default_configENS1_22reduce_config_selectorIN6thrust23THRUST_200600_302600_NS5tupleIblNS6_9null_typeES8_S8_S8_S8_S8_S8_S8_EEEEZNS1_11reduce_implILb1ES3_NS6_12zip_iteratorINS7_INS6_11hip_rocprim26transform_input_iterator_tIbNSD_35transform_pair_of_input_iterators_tIbNS6_6detail15normal_iteratorINS6_10device_ptrIKyEEEESL_NS6_8equal_toIyEEEENSG_9not_fun_tINSD_8identityEEEEENSD_19counting_iterator_tIlEES8_S8_S8_S8_S8_S8_S8_S8_EEEEPS9_S9_NSD_9__find_if7functorIS9_EEEE10hipError_tPvRmT1_T2_T3_mT4_P12ihipStream_tbEUlT_E0_NS1_11comp_targetILNS1_3genE10ELNS1_11target_archE1201ELNS1_3gpuE5ELNS1_3repE0EEENS1_30default_config_static_selectorELNS0_4arch9wavefront6targetE0EEEvS14_,"axG",@progbits,_ZN7rocprim17ROCPRIM_400000_NS6detail17trampoline_kernelINS0_14default_configENS1_22reduce_config_selectorIN6thrust23THRUST_200600_302600_NS5tupleIblNS6_9null_typeES8_S8_S8_S8_S8_S8_S8_EEEEZNS1_11reduce_implILb1ES3_NS6_12zip_iteratorINS7_INS6_11hip_rocprim26transform_input_iterator_tIbNSD_35transform_pair_of_input_iterators_tIbNS6_6detail15normal_iteratorINS6_10device_ptrIKyEEEESL_NS6_8equal_toIyEEEENSG_9not_fun_tINSD_8identityEEEEENSD_19counting_iterator_tIlEES8_S8_S8_S8_S8_S8_S8_S8_EEEEPS9_S9_NSD_9__find_if7functorIS9_EEEE10hipError_tPvRmT1_T2_T3_mT4_P12ihipStream_tbEUlT_E0_NS1_11comp_targetILNS1_3genE10ELNS1_11target_archE1201ELNS1_3gpuE5ELNS1_3repE0EEENS1_30default_config_static_selectorELNS0_4arch9wavefront6targetE0EEEvS14_,comdat
	.protected	_ZN7rocprim17ROCPRIM_400000_NS6detail17trampoline_kernelINS0_14default_configENS1_22reduce_config_selectorIN6thrust23THRUST_200600_302600_NS5tupleIblNS6_9null_typeES8_S8_S8_S8_S8_S8_S8_EEEEZNS1_11reduce_implILb1ES3_NS6_12zip_iteratorINS7_INS6_11hip_rocprim26transform_input_iterator_tIbNSD_35transform_pair_of_input_iterators_tIbNS6_6detail15normal_iteratorINS6_10device_ptrIKyEEEESL_NS6_8equal_toIyEEEENSG_9not_fun_tINSD_8identityEEEEENSD_19counting_iterator_tIlEES8_S8_S8_S8_S8_S8_S8_S8_EEEEPS9_S9_NSD_9__find_if7functorIS9_EEEE10hipError_tPvRmT1_T2_T3_mT4_P12ihipStream_tbEUlT_E0_NS1_11comp_targetILNS1_3genE10ELNS1_11target_archE1201ELNS1_3gpuE5ELNS1_3repE0EEENS1_30default_config_static_selectorELNS0_4arch9wavefront6targetE0EEEvS14_ ; -- Begin function _ZN7rocprim17ROCPRIM_400000_NS6detail17trampoline_kernelINS0_14default_configENS1_22reduce_config_selectorIN6thrust23THRUST_200600_302600_NS5tupleIblNS6_9null_typeES8_S8_S8_S8_S8_S8_S8_EEEEZNS1_11reduce_implILb1ES3_NS6_12zip_iteratorINS7_INS6_11hip_rocprim26transform_input_iterator_tIbNSD_35transform_pair_of_input_iterators_tIbNS6_6detail15normal_iteratorINS6_10device_ptrIKyEEEESL_NS6_8equal_toIyEEEENSG_9not_fun_tINSD_8identityEEEEENSD_19counting_iterator_tIlEES8_S8_S8_S8_S8_S8_S8_S8_EEEEPS9_S9_NSD_9__find_if7functorIS9_EEEE10hipError_tPvRmT1_T2_T3_mT4_P12ihipStream_tbEUlT_E0_NS1_11comp_targetILNS1_3genE10ELNS1_11target_archE1201ELNS1_3gpuE5ELNS1_3repE0EEENS1_30default_config_static_selectorELNS0_4arch9wavefront6targetE0EEEvS14_
	.globl	_ZN7rocprim17ROCPRIM_400000_NS6detail17trampoline_kernelINS0_14default_configENS1_22reduce_config_selectorIN6thrust23THRUST_200600_302600_NS5tupleIblNS6_9null_typeES8_S8_S8_S8_S8_S8_S8_EEEEZNS1_11reduce_implILb1ES3_NS6_12zip_iteratorINS7_INS6_11hip_rocprim26transform_input_iterator_tIbNSD_35transform_pair_of_input_iterators_tIbNS6_6detail15normal_iteratorINS6_10device_ptrIKyEEEESL_NS6_8equal_toIyEEEENSG_9not_fun_tINSD_8identityEEEEENSD_19counting_iterator_tIlEES8_S8_S8_S8_S8_S8_S8_S8_EEEEPS9_S9_NSD_9__find_if7functorIS9_EEEE10hipError_tPvRmT1_T2_T3_mT4_P12ihipStream_tbEUlT_E0_NS1_11comp_targetILNS1_3genE10ELNS1_11target_archE1201ELNS1_3gpuE5ELNS1_3repE0EEENS1_30default_config_static_selectorELNS0_4arch9wavefront6targetE0EEEvS14_
	.p2align	8
	.type	_ZN7rocprim17ROCPRIM_400000_NS6detail17trampoline_kernelINS0_14default_configENS1_22reduce_config_selectorIN6thrust23THRUST_200600_302600_NS5tupleIblNS6_9null_typeES8_S8_S8_S8_S8_S8_S8_EEEEZNS1_11reduce_implILb1ES3_NS6_12zip_iteratorINS7_INS6_11hip_rocprim26transform_input_iterator_tIbNSD_35transform_pair_of_input_iterators_tIbNS6_6detail15normal_iteratorINS6_10device_ptrIKyEEEESL_NS6_8equal_toIyEEEENSG_9not_fun_tINSD_8identityEEEEENSD_19counting_iterator_tIlEES8_S8_S8_S8_S8_S8_S8_S8_EEEEPS9_S9_NSD_9__find_if7functorIS9_EEEE10hipError_tPvRmT1_T2_T3_mT4_P12ihipStream_tbEUlT_E0_NS1_11comp_targetILNS1_3genE10ELNS1_11target_archE1201ELNS1_3gpuE5ELNS1_3repE0EEENS1_30default_config_static_selectorELNS0_4arch9wavefront6targetE0EEEvS14_,@function
_ZN7rocprim17ROCPRIM_400000_NS6detail17trampoline_kernelINS0_14default_configENS1_22reduce_config_selectorIN6thrust23THRUST_200600_302600_NS5tupleIblNS6_9null_typeES8_S8_S8_S8_S8_S8_S8_EEEEZNS1_11reduce_implILb1ES3_NS6_12zip_iteratorINS7_INS6_11hip_rocprim26transform_input_iterator_tIbNSD_35transform_pair_of_input_iterators_tIbNS6_6detail15normal_iteratorINS6_10device_ptrIKyEEEESL_NS6_8equal_toIyEEEENSG_9not_fun_tINSD_8identityEEEEENSD_19counting_iterator_tIlEES8_S8_S8_S8_S8_S8_S8_S8_EEEEPS9_S9_NSD_9__find_if7functorIS9_EEEE10hipError_tPvRmT1_T2_T3_mT4_P12ihipStream_tbEUlT_E0_NS1_11comp_targetILNS1_3genE10ELNS1_11target_archE1201ELNS1_3gpuE5ELNS1_3repE0EEENS1_30default_config_static_selectorELNS0_4arch9wavefront6targetE0EEEvS14_: ; @_ZN7rocprim17ROCPRIM_400000_NS6detail17trampoline_kernelINS0_14default_configENS1_22reduce_config_selectorIN6thrust23THRUST_200600_302600_NS5tupleIblNS6_9null_typeES8_S8_S8_S8_S8_S8_S8_EEEEZNS1_11reduce_implILb1ES3_NS6_12zip_iteratorINS7_INS6_11hip_rocprim26transform_input_iterator_tIbNSD_35transform_pair_of_input_iterators_tIbNS6_6detail15normal_iteratorINS6_10device_ptrIKyEEEESL_NS6_8equal_toIyEEEENSG_9not_fun_tINSD_8identityEEEEENSD_19counting_iterator_tIlEES8_S8_S8_S8_S8_S8_S8_S8_EEEEPS9_S9_NSD_9__find_if7functorIS9_EEEE10hipError_tPvRmT1_T2_T3_mT4_P12ihipStream_tbEUlT_E0_NS1_11comp_targetILNS1_3genE10ELNS1_11target_archE1201ELNS1_3gpuE5ELNS1_3repE0EEENS1_30default_config_static_selectorELNS0_4arch9wavefront6targetE0EEEvS14_
; %bb.0:
	.section	.rodata,"a",@progbits
	.p2align	6, 0x0
	.amdhsa_kernel _ZN7rocprim17ROCPRIM_400000_NS6detail17trampoline_kernelINS0_14default_configENS1_22reduce_config_selectorIN6thrust23THRUST_200600_302600_NS5tupleIblNS6_9null_typeES8_S8_S8_S8_S8_S8_S8_EEEEZNS1_11reduce_implILb1ES3_NS6_12zip_iteratorINS7_INS6_11hip_rocprim26transform_input_iterator_tIbNSD_35transform_pair_of_input_iterators_tIbNS6_6detail15normal_iteratorINS6_10device_ptrIKyEEEESL_NS6_8equal_toIyEEEENSG_9not_fun_tINSD_8identityEEEEENSD_19counting_iterator_tIlEES8_S8_S8_S8_S8_S8_S8_S8_EEEEPS9_S9_NSD_9__find_if7functorIS9_EEEE10hipError_tPvRmT1_T2_T3_mT4_P12ihipStream_tbEUlT_E0_NS1_11comp_targetILNS1_3genE10ELNS1_11target_archE1201ELNS1_3gpuE5ELNS1_3repE0EEENS1_30default_config_static_selectorELNS0_4arch9wavefront6targetE0EEEvS14_
		.amdhsa_group_segment_fixed_size 0
		.amdhsa_private_segment_fixed_size 0
		.amdhsa_kernarg_size 104
		.amdhsa_user_sgpr_count 2
		.amdhsa_user_sgpr_dispatch_ptr 0
		.amdhsa_user_sgpr_queue_ptr 0
		.amdhsa_user_sgpr_kernarg_segment_ptr 1
		.amdhsa_user_sgpr_dispatch_id 0
		.amdhsa_user_sgpr_kernarg_preload_length 0
		.amdhsa_user_sgpr_kernarg_preload_offset 0
		.amdhsa_user_sgpr_private_segment_size 0
		.amdhsa_wavefront_size32 1
		.amdhsa_uses_dynamic_stack 0
		.amdhsa_enable_private_segment 0
		.amdhsa_system_sgpr_workgroup_id_x 1
		.amdhsa_system_sgpr_workgroup_id_y 0
		.amdhsa_system_sgpr_workgroup_id_z 0
		.amdhsa_system_sgpr_workgroup_info 0
		.amdhsa_system_vgpr_workitem_id 0
		.amdhsa_next_free_vgpr 1
		.amdhsa_next_free_sgpr 1
		.amdhsa_named_barrier_count 0
		.amdhsa_reserve_vcc 0
		.amdhsa_float_round_mode_32 0
		.amdhsa_float_round_mode_16_64 0
		.amdhsa_float_denorm_mode_32 3
		.amdhsa_float_denorm_mode_16_64 3
		.amdhsa_fp16_overflow 0
		.amdhsa_memory_ordered 1
		.amdhsa_forward_progress 1
		.amdhsa_inst_pref_size 0
		.amdhsa_round_robin_scheduling 0
		.amdhsa_exception_fp_ieee_invalid_op 0
		.amdhsa_exception_fp_denorm_src 0
		.amdhsa_exception_fp_ieee_div_zero 0
		.amdhsa_exception_fp_ieee_overflow 0
		.amdhsa_exception_fp_ieee_underflow 0
		.amdhsa_exception_fp_ieee_inexact 0
		.amdhsa_exception_int_div_zero 0
	.end_amdhsa_kernel
	.section	.text._ZN7rocprim17ROCPRIM_400000_NS6detail17trampoline_kernelINS0_14default_configENS1_22reduce_config_selectorIN6thrust23THRUST_200600_302600_NS5tupleIblNS6_9null_typeES8_S8_S8_S8_S8_S8_S8_EEEEZNS1_11reduce_implILb1ES3_NS6_12zip_iteratorINS7_INS6_11hip_rocprim26transform_input_iterator_tIbNSD_35transform_pair_of_input_iterators_tIbNS6_6detail15normal_iteratorINS6_10device_ptrIKyEEEESL_NS6_8equal_toIyEEEENSG_9not_fun_tINSD_8identityEEEEENSD_19counting_iterator_tIlEES8_S8_S8_S8_S8_S8_S8_S8_EEEEPS9_S9_NSD_9__find_if7functorIS9_EEEE10hipError_tPvRmT1_T2_T3_mT4_P12ihipStream_tbEUlT_E0_NS1_11comp_targetILNS1_3genE10ELNS1_11target_archE1201ELNS1_3gpuE5ELNS1_3repE0EEENS1_30default_config_static_selectorELNS0_4arch9wavefront6targetE0EEEvS14_,"axG",@progbits,_ZN7rocprim17ROCPRIM_400000_NS6detail17trampoline_kernelINS0_14default_configENS1_22reduce_config_selectorIN6thrust23THRUST_200600_302600_NS5tupleIblNS6_9null_typeES8_S8_S8_S8_S8_S8_S8_EEEEZNS1_11reduce_implILb1ES3_NS6_12zip_iteratorINS7_INS6_11hip_rocprim26transform_input_iterator_tIbNSD_35transform_pair_of_input_iterators_tIbNS6_6detail15normal_iteratorINS6_10device_ptrIKyEEEESL_NS6_8equal_toIyEEEENSG_9not_fun_tINSD_8identityEEEEENSD_19counting_iterator_tIlEES8_S8_S8_S8_S8_S8_S8_S8_EEEEPS9_S9_NSD_9__find_if7functorIS9_EEEE10hipError_tPvRmT1_T2_T3_mT4_P12ihipStream_tbEUlT_E0_NS1_11comp_targetILNS1_3genE10ELNS1_11target_archE1201ELNS1_3gpuE5ELNS1_3repE0EEENS1_30default_config_static_selectorELNS0_4arch9wavefront6targetE0EEEvS14_,comdat
.Lfunc_end119:
	.size	_ZN7rocprim17ROCPRIM_400000_NS6detail17trampoline_kernelINS0_14default_configENS1_22reduce_config_selectorIN6thrust23THRUST_200600_302600_NS5tupleIblNS6_9null_typeES8_S8_S8_S8_S8_S8_S8_EEEEZNS1_11reduce_implILb1ES3_NS6_12zip_iteratorINS7_INS6_11hip_rocprim26transform_input_iterator_tIbNSD_35transform_pair_of_input_iterators_tIbNS6_6detail15normal_iteratorINS6_10device_ptrIKyEEEESL_NS6_8equal_toIyEEEENSG_9not_fun_tINSD_8identityEEEEENSD_19counting_iterator_tIlEES8_S8_S8_S8_S8_S8_S8_S8_EEEEPS9_S9_NSD_9__find_if7functorIS9_EEEE10hipError_tPvRmT1_T2_T3_mT4_P12ihipStream_tbEUlT_E0_NS1_11comp_targetILNS1_3genE10ELNS1_11target_archE1201ELNS1_3gpuE5ELNS1_3repE0EEENS1_30default_config_static_selectorELNS0_4arch9wavefront6targetE0EEEvS14_, .Lfunc_end119-_ZN7rocprim17ROCPRIM_400000_NS6detail17trampoline_kernelINS0_14default_configENS1_22reduce_config_selectorIN6thrust23THRUST_200600_302600_NS5tupleIblNS6_9null_typeES8_S8_S8_S8_S8_S8_S8_EEEEZNS1_11reduce_implILb1ES3_NS6_12zip_iteratorINS7_INS6_11hip_rocprim26transform_input_iterator_tIbNSD_35transform_pair_of_input_iterators_tIbNS6_6detail15normal_iteratorINS6_10device_ptrIKyEEEESL_NS6_8equal_toIyEEEENSG_9not_fun_tINSD_8identityEEEEENSD_19counting_iterator_tIlEES8_S8_S8_S8_S8_S8_S8_S8_EEEEPS9_S9_NSD_9__find_if7functorIS9_EEEE10hipError_tPvRmT1_T2_T3_mT4_P12ihipStream_tbEUlT_E0_NS1_11comp_targetILNS1_3genE10ELNS1_11target_archE1201ELNS1_3gpuE5ELNS1_3repE0EEENS1_30default_config_static_selectorELNS0_4arch9wavefront6targetE0EEEvS14_
                                        ; -- End function
	.set _ZN7rocprim17ROCPRIM_400000_NS6detail17trampoline_kernelINS0_14default_configENS1_22reduce_config_selectorIN6thrust23THRUST_200600_302600_NS5tupleIblNS6_9null_typeES8_S8_S8_S8_S8_S8_S8_EEEEZNS1_11reduce_implILb1ES3_NS6_12zip_iteratorINS7_INS6_11hip_rocprim26transform_input_iterator_tIbNSD_35transform_pair_of_input_iterators_tIbNS6_6detail15normal_iteratorINS6_10device_ptrIKyEEEESL_NS6_8equal_toIyEEEENSG_9not_fun_tINSD_8identityEEEEENSD_19counting_iterator_tIlEES8_S8_S8_S8_S8_S8_S8_S8_EEEEPS9_S9_NSD_9__find_if7functorIS9_EEEE10hipError_tPvRmT1_T2_T3_mT4_P12ihipStream_tbEUlT_E0_NS1_11comp_targetILNS1_3genE10ELNS1_11target_archE1201ELNS1_3gpuE5ELNS1_3repE0EEENS1_30default_config_static_selectorELNS0_4arch9wavefront6targetE0EEEvS14_.num_vgpr, 0
	.set _ZN7rocprim17ROCPRIM_400000_NS6detail17trampoline_kernelINS0_14default_configENS1_22reduce_config_selectorIN6thrust23THRUST_200600_302600_NS5tupleIblNS6_9null_typeES8_S8_S8_S8_S8_S8_S8_EEEEZNS1_11reduce_implILb1ES3_NS6_12zip_iteratorINS7_INS6_11hip_rocprim26transform_input_iterator_tIbNSD_35transform_pair_of_input_iterators_tIbNS6_6detail15normal_iteratorINS6_10device_ptrIKyEEEESL_NS6_8equal_toIyEEEENSG_9not_fun_tINSD_8identityEEEEENSD_19counting_iterator_tIlEES8_S8_S8_S8_S8_S8_S8_S8_EEEEPS9_S9_NSD_9__find_if7functorIS9_EEEE10hipError_tPvRmT1_T2_T3_mT4_P12ihipStream_tbEUlT_E0_NS1_11comp_targetILNS1_3genE10ELNS1_11target_archE1201ELNS1_3gpuE5ELNS1_3repE0EEENS1_30default_config_static_selectorELNS0_4arch9wavefront6targetE0EEEvS14_.num_agpr, 0
	.set _ZN7rocprim17ROCPRIM_400000_NS6detail17trampoline_kernelINS0_14default_configENS1_22reduce_config_selectorIN6thrust23THRUST_200600_302600_NS5tupleIblNS6_9null_typeES8_S8_S8_S8_S8_S8_S8_EEEEZNS1_11reduce_implILb1ES3_NS6_12zip_iteratorINS7_INS6_11hip_rocprim26transform_input_iterator_tIbNSD_35transform_pair_of_input_iterators_tIbNS6_6detail15normal_iteratorINS6_10device_ptrIKyEEEESL_NS6_8equal_toIyEEEENSG_9not_fun_tINSD_8identityEEEEENSD_19counting_iterator_tIlEES8_S8_S8_S8_S8_S8_S8_S8_EEEEPS9_S9_NSD_9__find_if7functorIS9_EEEE10hipError_tPvRmT1_T2_T3_mT4_P12ihipStream_tbEUlT_E0_NS1_11comp_targetILNS1_3genE10ELNS1_11target_archE1201ELNS1_3gpuE5ELNS1_3repE0EEENS1_30default_config_static_selectorELNS0_4arch9wavefront6targetE0EEEvS14_.numbered_sgpr, 0
	.set _ZN7rocprim17ROCPRIM_400000_NS6detail17trampoline_kernelINS0_14default_configENS1_22reduce_config_selectorIN6thrust23THRUST_200600_302600_NS5tupleIblNS6_9null_typeES8_S8_S8_S8_S8_S8_S8_EEEEZNS1_11reduce_implILb1ES3_NS6_12zip_iteratorINS7_INS6_11hip_rocprim26transform_input_iterator_tIbNSD_35transform_pair_of_input_iterators_tIbNS6_6detail15normal_iteratorINS6_10device_ptrIKyEEEESL_NS6_8equal_toIyEEEENSG_9not_fun_tINSD_8identityEEEEENSD_19counting_iterator_tIlEES8_S8_S8_S8_S8_S8_S8_S8_EEEEPS9_S9_NSD_9__find_if7functorIS9_EEEE10hipError_tPvRmT1_T2_T3_mT4_P12ihipStream_tbEUlT_E0_NS1_11comp_targetILNS1_3genE10ELNS1_11target_archE1201ELNS1_3gpuE5ELNS1_3repE0EEENS1_30default_config_static_selectorELNS0_4arch9wavefront6targetE0EEEvS14_.num_named_barrier, 0
	.set _ZN7rocprim17ROCPRIM_400000_NS6detail17trampoline_kernelINS0_14default_configENS1_22reduce_config_selectorIN6thrust23THRUST_200600_302600_NS5tupleIblNS6_9null_typeES8_S8_S8_S8_S8_S8_S8_EEEEZNS1_11reduce_implILb1ES3_NS6_12zip_iteratorINS7_INS6_11hip_rocprim26transform_input_iterator_tIbNSD_35transform_pair_of_input_iterators_tIbNS6_6detail15normal_iteratorINS6_10device_ptrIKyEEEESL_NS6_8equal_toIyEEEENSG_9not_fun_tINSD_8identityEEEEENSD_19counting_iterator_tIlEES8_S8_S8_S8_S8_S8_S8_S8_EEEEPS9_S9_NSD_9__find_if7functorIS9_EEEE10hipError_tPvRmT1_T2_T3_mT4_P12ihipStream_tbEUlT_E0_NS1_11comp_targetILNS1_3genE10ELNS1_11target_archE1201ELNS1_3gpuE5ELNS1_3repE0EEENS1_30default_config_static_selectorELNS0_4arch9wavefront6targetE0EEEvS14_.private_seg_size, 0
	.set _ZN7rocprim17ROCPRIM_400000_NS6detail17trampoline_kernelINS0_14default_configENS1_22reduce_config_selectorIN6thrust23THRUST_200600_302600_NS5tupleIblNS6_9null_typeES8_S8_S8_S8_S8_S8_S8_EEEEZNS1_11reduce_implILb1ES3_NS6_12zip_iteratorINS7_INS6_11hip_rocprim26transform_input_iterator_tIbNSD_35transform_pair_of_input_iterators_tIbNS6_6detail15normal_iteratorINS6_10device_ptrIKyEEEESL_NS6_8equal_toIyEEEENSG_9not_fun_tINSD_8identityEEEEENSD_19counting_iterator_tIlEES8_S8_S8_S8_S8_S8_S8_S8_EEEEPS9_S9_NSD_9__find_if7functorIS9_EEEE10hipError_tPvRmT1_T2_T3_mT4_P12ihipStream_tbEUlT_E0_NS1_11comp_targetILNS1_3genE10ELNS1_11target_archE1201ELNS1_3gpuE5ELNS1_3repE0EEENS1_30default_config_static_selectorELNS0_4arch9wavefront6targetE0EEEvS14_.uses_vcc, 0
	.set _ZN7rocprim17ROCPRIM_400000_NS6detail17trampoline_kernelINS0_14default_configENS1_22reduce_config_selectorIN6thrust23THRUST_200600_302600_NS5tupleIblNS6_9null_typeES8_S8_S8_S8_S8_S8_S8_EEEEZNS1_11reduce_implILb1ES3_NS6_12zip_iteratorINS7_INS6_11hip_rocprim26transform_input_iterator_tIbNSD_35transform_pair_of_input_iterators_tIbNS6_6detail15normal_iteratorINS6_10device_ptrIKyEEEESL_NS6_8equal_toIyEEEENSG_9not_fun_tINSD_8identityEEEEENSD_19counting_iterator_tIlEES8_S8_S8_S8_S8_S8_S8_S8_EEEEPS9_S9_NSD_9__find_if7functorIS9_EEEE10hipError_tPvRmT1_T2_T3_mT4_P12ihipStream_tbEUlT_E0_NS1_11comp_targetILNS1_3genE10ELNS1_11target_archE1201ELNS1_3gpuE5ELNS1_3repE0EEENS1_30default_config_static_selectorELNS0_4arch9wavefront6targetE0EEEvS14_.uses_flat_scratch, 0
	.set _ZN7rocprim17ROCPRIM_400000_NS6detail17trampoline_kernelINS0_14default_configENS1_22reduce_config_selectorIN6thrust23THRUST_200600_302600_NS5tupleIblNS6_9null_typeES8_S8_S8_S8_S8_S8_S8_EEEEZNS1_11reduce_implILb1ES3_NS6_12zip_iteratorINS7_INS6_11hip_rocprim26transform_input_iterator_tIbNSD_35transform_pair_of_input_iterators_tIbNS6_6detail15normal_iteratorINS6_10device_ptrIKyEEEESL_NS6_8equal_toIyEEEENSG_9not_fun_tINSD_8identityEEEEENSD_19counting_iterator_tIlEES8_S8_S8_S8_S8_S8_S8_S8_EEEEPS9_S9_NSD_9__find_if7functorIS9_EEEE10hipError_tPvRmT1_T2_T3_mT4_P12ihipStream_tbEUlT_E0_NS1_11comp_targetILNS1_3genE10ELNS1_11target_archE1201ELNS1_3gpuE5ELNS1_3repE0EEENS1_30default_config_static_selectorELNS0_4arch9wavefront6targetE0EEEvS14_.has_dyn_sized_stack, 0
	.set _ZN7rocprim17ROCPRIM_400000_NS6detail17trampoline_kernelINS0_14default_configENS1_22reduce_config_selectorIN6thrust23THRUST_200600_302600_NS5tupleIblNS6_9null_typeES8_S8_S8_S8_S8_S8_S8_EEEEZNS1_11reduce_implILb1ES3_NS6_12zip_iteratorINS7_INS6_11hip_rocprim26transform_input_iterator_tIbNSD_35transform_pair_of_input_iterators_tIbNS6_6detail15normal_iteratorINS6_10device_ptrIKyEEEESL_NS6_8equal_toIyEEEENSG_9not_fun_tINSD_8identityEEEEENSD_19counting_iterator_tIlEES8_S8_S8_S8_S8_S8_S8_S8_EEEEPS9_S9_NSD_9__find_if7functorIS9_EEEE10hipError_tPvRmT1_T2_T3_mT4_P12ihipStream_tbEUlT_E0_NS1_11comp_targetILNS1_3genE10ELNS1_11target_archE1201ELNS1_3gpuE5ELNS1_3repE0EEENS1_30default_config_static_selectorELNS0_4arch9wavefront6targetE0EEEvS14_.has_recursion, 0
	.set _ZN7rocprim17ROCPRIM_400000_NS6detail17trampoline_kernelINS0_14default_configENS1_22reduce_config_selectorIN6thrust23THRUST_200600_302600_NS5tupleIblNS6_9null_typeES8_S8_S8_S8_S8_S8_S8_EEEEZNS1_11reduce_implILb1ES3_NS6_12zip_iteratorINS7_INS6_11hip_rocprim26transform_input_iterator_tIbNSD_35transform_pair_of_input_iterators_tIbNS6_6detail15normal_iteratorINS6_10device_ptrIKyEEEESL_NS6_8equal_toIyEEEENSG_9not_fun_tINSD_8identityEEEEENSD_19counting_iterator_tIlEES8_S8_S8_S8_S8_S8_S8_S8_EEEEPS9_S9_NSD_9__find_if7functorIS9_EEEE10hipError_tPvRmT1_T2_T3_mT4_P12ihipStream_tbEUlT_E0_NS1_11comp_targetILNS1_3genE10ELNS1_11target_archE1201ELNS1_3gpuE5ELNS1_3repE0EEENS1_30default_config_static_selectorELNS0_4arch9wavefront6targetE0EEEvS14_.has_indirect_call, 0
	.section	.AMDGPU.csdata,"",@progbits
; Kernel info:
; codeLenInByte = 0
; TotalNumSgprs: 0
; NumVgprs: 0
; ScratchSize: 0
; MemoryBound: 0
; FloatMode: 240
; IeeeMode: 1
; LDSByteSize: 0 bytes/workgroup (compile time only)
; SGPRBlocks: 0
; VGPRBlocks: 0
; NumSGPRsForWavesPerEU: 1
; NumVGPRsForWavesPerEU: 1
; NamedBarCnt: 0
; Occupancy: 16
; WaveLimiterHint : 0
; COMPUTE_PGM_RSRC2:SCRATCH_EN: 0
; COMPUTE_PGM_RSRC2:USER_SGPR: 2
; COMPUTE_PGM_RSRC2:TRAP_HANDLER: 0
; COMPUTE_PGM_RSRC2:TGID_X_EN: 1
; COMPUTE_PGM_RSRC2:TGID_Y_EN: 0
; COMPUTE_PGM_RSRC2:TGID_Z_EN: 0
; COMPUTE_PGM_RSRC2:TIDIG_COMP_CNT: 0
	.section	.text._ZN7rocprim17ROCPRIM_400000_NS6detail17trampoline_kernelINS0_14default_configENS1_22reduce_config_selectorIN6thrust23THRUST_200600_302600_NS5tupleIblNS6_9null_typeES8_S8_S8_S8_S8_S8_S8_EEEEZNS1_11reduce_implILb1ES3_NS6_12zip_iteratorINS7_INS6_11hip_rocprim26transform_input_iterator_tIbNSD_35transform_pair_of_input_iterators_tIbNS6_6detail15normal_iteratorINS6_10device_ptrIKyEEEESL_NS6_8equal_toIyEEEENSG_9not_fun_tINSD_8identityEEEEENSD_19counting_iterator_tIlEES8_S8_S8_S8_S8_S8_S8_S8_EEEEPS9_S9_NSD_9__find_if7functorIS9_EEEE10hipError_tPvRmT1_T2_T3_mT4_P12ihipStream_tbEUlT_E0_NS1_11comp_targetILNS1_3genE10ELNS1_11target_archE1200ELNS1_3gpuE4ELNS1_3repE0EEENS1_30default_config_static_selectorELNS0_4arch9wavefront6targetE0EEEvS14_,"axG",@progbits,_ZN7rocprim17ROCPRIM_400000_NS6detail17trampoline_kernelINS0_14default_configENS1_22reduce_config_selectorIN6thrust23THRUST_200600_302600_NS5tupleIblNS6_9null_typeES8_S8_S8_S8_S8_S8_S8_EEEEZNS1_11reduce_implILb1ES3_NS6_12zip_iteratorINS7_INS6_11hip_rocprim26transform_input_iterator_tIbNSD_35transform_pair_of_input_iterators_tIbNS6_6detail15normal_iteratorINS6_10device_ptrIKyEEEESL_NS6_8equal_toIyEEEENSG_9not_fun_tINSD_8identityEEEEENSD_19counting_iterator_tIlEES8_S8_S8_S8_S8_S8_S8_S8_EEEEPS9_S9_NSD_9__find_if7functorIS9_EEEE10hipError_tPvRmT1_T2_T3_mT4_P12ihipStream_tbEUlT_E0_NS1_11comp_targetILNS1_3genE10ELNS1_11target_archE1200ELNS1_3gpuE4ELNS1_3repE0EEENS1_30default_config_static_selectorELNS0_4arch9wavefront6targetE0EEEvS14_,comdat
	.protected	_ZN7rocprim17ROCPRIM_400000_NS6detail17trampoline_kernelINS0_14default_configENS1_22reduce_config_selectorIN6thrust23THRUST_200600_302600_NS5tupleIblNS6_9null_typeES8_S8_S8_S8_S8_S8_S8_EEEEZNS1_11reduce_implILb1ES3_NS6_12zip_iteratorINS7_INS6_11hip_rocprim26transform_input_iterator_tIbNSD_35transform_pair_of_input_iterators_tIbNS6_6detail15normal_iteratorINS6_10device_ptrIKyEEEESL_NS6_8equal_toIyEEEENSG_9not_fun_tINSD_8identityEEEEENSD_19counting_iterator_tIlEES8_S8_S8_S8_S8_S8_S8_S8_EEEEPS9_S9_NSD_9__find_if7functorIS9_EEEE10hipError_tPvRmT1_T2_T3_mT4_P12ihipStream_tbEUlT_E0_NS1_11comp_targetILNS1_3genE10ELNS1_11target_archE1200ELNS1_3gpuE4ELNS1_3repE0EEENS1_30default_config_static_selectorELNS0_4arch9wavefront6targetE0EEEvS14_ ; -- Begin function _ZN7rocprim17ROCPRIM_400000_NS6detail17trampoline_kernelINS0_14default_configENS1_22reduce_config_selectorIN6thrust23THRUST_200600_302600_NS5tupleIblNS6_9null_typeES8_S8_S8_S8_S8_S8_S8_EEEEZNS1_11reduce_implILb1ES3_NS6_12zip_iteratorINS7_INS6_11hip_rocprim26transform_input_iterator_tIbNSD_35transform_pair_of_input_iterators_tIbNS6_6detail15normal_iteratorINS6_10device_ptrIKyEEEESL_NS6_8equal_toIyEEEENSG_9not_fun_tINSD_8identityEEEEENSD_19counting_iterator_tIlEES8_S8_S8_S8_S8_S8_S8_S8_EEEEPS9_S9_NSD_9__find_if7functorIS9_EEEE10hipError_tPvRmT1_T2_T3_mT4_P12ihipStream_tbEUlT_E0_NS1_11comp_targetILNS1_3genE10ELNS1_11target_archE1200ELNS1_3gpuE4ELNS1_3repE0EEENS1_30default_config_static_selectorELNS0_4arch9wavefront6targetE0EEEvS14_
	.globl	_ZN7rocprim17ROCPRIM_400000_NS6detail17trampoline_kernelINS0_14default_configENS1_22reduce_config_selectorIN6thrust23THRUST_200600_302600_NS5tupleIblNS6_9null_typeES8_S8_S8_S8_S8_S8_S8_EEEEZNS1_11reduce_implILb1ES3_NS6_12zip_iteratorINS7_INS6_11hip_rocprim26transform_input_iterator_tIbNSD_35transform_pair_of_input_iterators_tIbNS6_6detail15normal_iteratorINS6_10device_ptrIKyEEEESL_NS6_8equal_toIyEEEENSG_9not_fun_tINSD_8identityEEEEENSD_19counting_iterator_tIlEES8_S8_S8_S8_S8_S8_S8_S8_EEEEPS9_S9_NSD_9__find_if7functorIS9_EEEE10hipError_tPvRmT1_T2_T3_mT4_P12ihipStream_tbEUlT_E0_NS1_11comp_targetILNS1_3genE10ELNS1_11target_archE1200ELNS1_3gpuE4ELNS1_3repE0EEENS1_30default_config_static_selectorELNS0_4arch9wavefront6targetE0EEEvS14_
	.p2align	8
	.type	_ZN7rocprim17ROCPRIM_400000_NS6detail17trampoline_kernelINS0_14default_configENS1_22reduce_config_selectorIN6thrust23THRUST_200600_302600_NS5tupleIblNS6_9null_typeES8_S8_S8_S8_S8_S8_S8_EEEEZNS1_11reduce_implILb1ES3_NS6_12zip_iteratorINS7_INS6_11hip_rocprim26transform_input_iterator_tIbNSD_35transform_pair_of_input_iterators_tIbNS6_6detail15normal_iteratorINS6_10device_ptrIKyEEEESL_NS6_8equal_toIyEEEENSG_9not_fun_tINSD_8identityEEEEENSD_19counting_iterator_tIlEES8_S8_S8_S8_S8_S8_S8_S8_EEEEPS9_S9_NSD_9__find_if7functorIS9_EEEE10hipError_tPvRmT1_T2_T3_mT4_P12ihipStream_tbEUlT_E0_NS1_11comp_targetILNS1_3genE10ELNS1_11target_archE1200ELNS1_3gpuE4ELNS1_3repE0EEENS1_30default_config_static_selectorELNS0_4arch9wavefront6targetE0EEEvS14_,@function
_ZN7rocprim17ROCPRIM_400000_NS6detail17trampoline_kernelINS0_14default_configENS1_22reduce_config_selectorIN6thrust23THRUST_200600_302600_NS5tupleIblNS6_9null_typeES8_S8_S8_S8_S8_S8_S8_EEEEZNS1_11reduce_implILb1ES3_NS6_12zip_iteratorINS7_INS6_11hip_rocprim26transform_input_iterator_tIbNSD_35transform_pair_of_input_iterators_tIbNS6_6detail15normal_iteratorINS6_10device_ptrIKyEEEESL_NS6_8equal_toIyEEEENSG_9not_fun_tINSD_8identityEEEEENSD_19counting_iterator_tIlEES8_S8_S8_S8_S8_S8_S8_S8_EEEEPS9_S9_NSD_9__find_if7functorIS9_EEEE10hipError_tPvRmT1_T2_T3_mT4_P12ihipStream_tbEUlT_E0_NS1_11comp_targetILNS1_3genE10ELNS1_11target_archE1200ELNS1_3gpuE4ELNS1_3repE0EEENS1_30default_config_static_selectorELNS0_4arch9wavefront6targetE0EEEvS14_: ; @_ZN7rocprim17ROCPRIM_400000_NS6detail17trampoline_kernelINS0_14default_configENS1_22reduce_config_selectorIN6thrust23THRUST_200600_302600_NS5tupleIblNS6_9null_typeES8_S8_S8_S8_S8_S8_S8_EEEEZNS1_11reduce_implILb1ES3_NS6_12zip_iteratorINS7_INS6_11hip_rocprim26transform_input_iterator_tIbNSD_35transform_pair_of_input_iterators_tIbNS6_6detail15normal_iteratorINS6_10device_ptrIKyEEEESL_NS6_8equal_toIyEEEENSG_9not_fun_tINSD_8identityEEEEENSD_19counting_iterator_tIlEES8_S8_S8_S8_S8_S8_S8_S8_EEEEPS9_S9_NSD_9__find_if7functorIS9_EEEE10hipError_tPvRmT1_T2_T3_mT4_P12ihipStream_tbEUlT_E0_NS1_11comp_targetILNS1_3genE10ELNS1_11target_archE1200ELNS1_3gpuE4ELNS1_3repE0EEENS1_30default_config_static_selectorELNS0_4arch9wavefront6targetE0EEEvS14_
; %bb.0:
	.section	.rodata,"a",@progbits
	.p2align	6, 0x0
	.amdhsa_kernel _ZN7rocprim17ROCPRIM_400000_NS6detail17trampoline_kernelINS0_14default_configENS1_22reduce_config_selectorIN6thrust23THRUST_200600_302600_NS5tupleIblNS6_9null_typeES8_S8_S8_S8_S8_S8_S8_EEEEZNS1_11reduce_implILb1ES3_NS6_12zip_iteratorINS7_INS6_11hip_rocprim26transform_input_iterator_tIbNSD_35transform_pair_of_input_iterators_tIbNS6_6detail15normal_iteratorINS6_10device_ptrIKyEEEESL_NS6_8equal_toIyEEEENSG_9not_fun_tINSD_8identityEEEEENSD_19counting_iterator_tIlEES8_S8_S8_S8_S8_S8_S8_S8_EEEEPS9_S9_NSD_9__find_if7functorIS9_EEEE10hipError_tPvRmT1_T2_T3_mT4_P12ihipStream_tbEUlT_E0_NS1_11comp_targetILNS1_3genE10ELNS1_11target_archE1200ELNS1_3gpuE4ELNS1_3repE0EEENS1_30default_config_static_selectorELNS0_4arch9wavefront6targetE0EEEvS14_
		.amdhsa_group_segment_fixed_size 0
		.amdhsa_private_segment_fixed_size 0
		.amdhsa_kernarg_size 104
		.amdhsa_user_sgpr_count 2
		.amdhsa_user_sgpr_dispatch_ptr 0
		.amdhsa_user_sgpr_queue_ptr 0
		.amdhsa_user_sgpr_kernarg_segment_ptr 1
		.amdhsa_user_sgpr_dispatch_id 0
		.amdhsa_user_sgpr_kernarg_preload_length 0
		.amdhsa_user_sgpr_kernarg_preload_offset 0
		.amdhsa_user_sgpr_private_segment_size 0
		.amdhsa_wavefront_size32 1
		.amdhsa_uses_dynamic_stack 0
		.amdhsa_enable_private_segment 0
		.amdhsa_system_sgpr_workgroup_id_x 1
		.amdhsa_system_sgpr_workgroup_id_y 0
		.amdhsa_system_sgpr_workgroup_id_z 0
		.amdhsa_system_sgpr_workgroup_info 0
		.amdhsa_system_vgpr_workitem_id 0
		.amdhsa_next_free_vgpr 1
		.amdhsa_next_free_sgpr 1
		.amdhsa_named_barrier_count 0
		.amdhsa_reserve_vcc 0
		.amdhsa_float_round_mode_32 0
		.amdhsa_float_round_mode_16_64 0
		.amdhsa_float_denorm_mode_32 3
		.amdhsa_float_denorm_mode_16_64 3
		.amdhsa_fp16_overflow 0
		.amdhsa_memory_ordered 1
		.amdhsa_forward_progress 1
		.amdhsa_inst_pref_size 0
		.amdhsa_round_robin_scheduling 0
		.amdhsa_exception_fp_ieee_invalid_op 0
		.amdhsa_exception_fp_denorm_src 0
		.amdhsa_exception_fp_ieee_div_zero 0
		.amdhsa_exception_fp_ieee_overflow 0
		.amdhsa_exception_fp_ieee_underflow 0
		.amdhsa_exception_fp_ieee_inexact 0
		.amdhsa_exception_int_div_zero 0
	.end_amdhsa_kernel
	.section	.text._ZN7rocprim17ROCPRIM_400000_NS6detail17trampoline_kernelINS0_14default_configENS1_22reduce_config_selectorIN6thrust23THRUST_200600_302600_NS5tupleIblNS6_9null_typeES8_S8_S8_S8_S8_S8_S8_EEEEZNS1_11reduce_implILb1ES3_NS6_12zip_iteratorINS7_INS6_11hip_rocprim26transform_input_iterator_tIbNSD_35transform_pair_of_input_iterators_tIbNS6_6detail15normal_iteratorINS6_10device_ptrIKyEEEESL_NS6_8equal_toIyEEEENSG_9not_fun_tINSD_8identityEEEEENSD_19counting_iterator_tIlEES8_S8_S8_S8_S8_S8_S8_S8_EEEEPS9_S9_NSD_9__find_if7functorIS9_EEEE10hipError_tPvRmT1_T2_T3_mT4_P12ihipStream_tbEUlT_E0_NS1_11comp_targetILNS1_3genE10ELNS1_11target_archE1200ELNS1_3gpuE4ELNS1_3repE0EEENS1_30default_config_static_selectorELNS0_4arch9wavefront6targetE0EEEvS14_,"axG",@progbits,_ZN7rocprim17ROCPRIM_400000_NS6detail17trampoline_kernelINS0_14default_configENS1_22reduce_config_selectorIN6thrust23THRUST_200600_302600_NS5tupleIblNS6_9null_typeES8_S8_S8_S8_S8_S8_S8_EEEEZNS1_11reduce_implILb1ES3_NS6_12zip_iteratorINS7_INS6_11hip_rocprim26transform_input_iterator_tIbNSD_35transform_pair_of_input_iterators_tIbNS6_6detail15normal_iteratorINS6_10device_ptrIKyEEEESL_NS6_8equal_toIyEEEENSG_9not_fun_tINSD_8identityEEEEENSD_19counting_iterator_tIlEES8_S8_S8_S8_S8_S8_S8_S8_EEEEPS9_S9_NSD_9__find_if7functorIS9_EEEE10hipError_tPvRmT1_T2_T3_mT4_P12ihipStream_tbEUlT_E0_NS1_11comp_targetILNS1_3genE10ELNS1_11target_archE1200ELNS1_3gpuE4ELNS1_3repE0EEENS1_30default_config_static_selectorELNS0_4arch9wavefront6targetE0EEEvS14_,comdat
.Lfunc_end120:
	.size	_ZN7rocprim17ROCPRIM_400000_NS6detail17trampoline_kernelINS0_14default_configENS1_22reduce_config_selectorIN6thrust23THRUST_200600_302600_NS5tupleIblNS6_9null_typeES8_S8_S8_S8_S8_S8_S8_EEEEZNS1_11reduce_implILb1ES3_NS6_12zip_iteratorINS7_INS6_11hip_rocprim26transform_input_iterator_tIbNSD_35transform_pair_of_input_iterators_tIbNS6_6detail15normal_iteratorINS6_10device_ptrIKyEEEESL_NS6_8equal_toIyEEEENSG_9not_fun_tINSD_8identityEEEEENSD_19counting_iterator_tIlEES8_S8_S8_S8_S8_S8_S8_S8_EEEEPS9_S9_NSD_9__find_if7functorIS9_EEEE10hipError_tPvRmT1_T2_T3_mT4_P12ihipStream_tbEUlT_E0_NS1_11comp_targetILNS1_3genE10ELNS1_11target_archE1200ELNS1_3gpuE4ELNS1_3repE0EEENS1_30default_config_static_selectorELNS0_4arch9wavefront6targetE0EEEvS14_, .Lfunc_end120-_ZN7rocprim17ROCPRIM_400000_NS6detail17trampoline_kernelINS0_14default_configENS1_22reduce_config_selectorIN6thrust23THRUST_200600_302600_NS5tupleIblNS6_9null_typeES8_S8_S8_S8_S8_S8_S8_EEEEZNS1_11reduce_implILb1ES3_NS6_12zip_iteratorINS7_INS6_11hip_rocprim26transform_input_iterator_tIbNSD_35transform_pair_of_input_iterators_tIbNS6_6detail15normal_iteratorINS6_10device_ptrIKyEEEESL_NS6_8equal_toIyEEEENSG_9not_fun_tINSD_8identityEEEEENSD_19counting_iterator_tIlEES8_S8_S8_S8_S8_S8_S8_S8_EEEEPS9_S9_NSD_9__find_if7functorIS9_EEEE10hipError_tPvRmT1_T2_T3_mT4_P12ihipStream_tbEUlT_E0_NS1_11comp_targetILNS1_3genE10ELNS1_11target_archE1200ELNS1_3gpuE4ELNS1_3repE0EEENS1_30default_config_static_selectorELNS0_4arch9wavefront6targetE0EEEvS14_
                                        ; -- End function
	.set _ZN7rocprim17ROCPRIM_400000_NS6detail17trampoline_kernelINS0_14default_configENS1_22reduce_config_selectorIN6thrust23THRUST_200600_302600_NS5tupleIblNS6_9null_typeES8_S8_S8_S8_S8_S8_S8_EEEEZNS1_11reduce_implILb1ES3_NS6_12zip_iteratorINS7_INS6_11hip_rocprim26transform_input_iterator_tIbNSD_35transform_pair_of_input_iterators_tIbNS6_6detail15normal_iteratorINS6_10device_ptrIKyEEEESL_NS6_8equal_toIyEEEENSG_9not_fun_tINSD_8identityEEEEENSD_19counting_iterator_tIlEES8_S8_S8_S8_S8_S8_S8_S8_EEEEPS9_S9_NSD_9__find_if7functorIS9_EEEE10hipError_tPvRmT1_T2_T3_mT4_P12ihipStream_tbEUlT_E0_NS1_11comp_targetILNS1_3genE10ELNS1_11target_archE1200ELNS1_3gpuE4ELNS1_3repE0EEENS1_30default_config_static_selectorELNS0_4arch9wavefront6targetE0EEEvS14_.num_vgpr, 0
	.set _ZN7rocprim17ROCPRIM_400000_NS6detail17trampoline_kernelINS0_14default_configENS1_22reduce_config_selectorIN6thrust23THRUST_200600_302600_NS5tupleIblNS6_9null_typeES8_S8_S8_S8_S8_S8_S8_EEEEZNS1_11reduce_implILb1ES3_NS6_12zip_iteratorINS7_INS6_11hip_rocprim26transform_input_iterator_tIbNSD_35transform_pair_of_input_iterators_tIbNS6_6detail15normal_iteratorINS6_10device_ptrIKyEEEESL_NS6_8equal_toIyEEEENSG_9not_fun_tINSD_8identityEEEEENSD_19counting_iterator_tIlEES8_S8_S8_S8_S8_S8_S8_S8_EEEEPS9_S9_NSD_9__find_if7functorIS9_EEEE10hipError_tPvRmT1_T2_T3_mT4_P12ihipStream_tbEUlT_E0_NS1_11comp_targetILNS1_3genE10ELNS1_11target_archE1200ELNS1_3gpuE4ELNS1_3repE0EEENS1_30default_config_static_selectorELNS0_4arch9wavefront6targetE0EEEvS14_.num_agpr, 0
	.set _ZN7rocprim17ROCPRIM_400000_NS6detail17trampoline_kernelINS0_14default_configENS1_22reduce_config_selectorIN6thrust23THRUST_200600_302600_NS5tupleIblNS6_9null_typeES8_S8_S8_S8_S8_S8_S8_EEEEZNS1_11reduce_implILb1ES3_NS6_12zip_iteratorINS7_INS6_11hip_rocprim26transform_input_iterator_tIbNSD_35transform_pair_of_input_iterators_tIbNS6_6detail15normal_iteratorINS6_10device_ptrIKyEEEESL_NS6_8equal_toIyEEEENSG_9not_fun_tINSD_8identityEEEEENSD_19counting_iterator_tIlEES8_S8_S8_S8_S8_S8_S8_S8_EEEEPS9_S9_NSD_9__find_if7functorIS9_EEEE10hipError_tPvRmT1_T2_T3_mT4_P12ihipStream_tbEUlT_E0_NS1_11comp_targetILNS1_3genE10ELNS1_11target_archE1200ELNS1_3gpuE4ELNS1_3repE0EEENS1_30default_config_static_selectorELNS0_4arch9wavefront6targetE0EEEvS14_.numbered_sgpr, 0
	.set _ZN7rocprim17ROCPRIM_400000_NS6detail17trampoline_kernelINS0_14default_configENS1_22reduce_config_selectorIN6thrust23THRUST_200600_302600_NS5tupleIblNS6_9null_typeES8_S8_S8_S8_S8_S8_S8_EEEEZNS1_11reduce_implILb1ES3_NS6_12zip_iteratorINS7_INS6_11hip_rocprim26transform_input_iterator_tIbNSD_35transform_pair_of_input_iterators_tIbNS6_6detail15normal_iteratorINS6_10device_ptrIKyEEEESL_NS6_8equal_toIyEEEENSG_9not_fun_tINSD_8identityEEEEENSD_19counting_iterator_tIlEES8_S8_S8_S8_S8_S8_S8_S8_EEEEPS9_S9_NSD_9__find_if7functorIS9_EEEE10hipError_tPvRmT1_T2_T3_mT4_P12ihipStream_tbEUlT_E0_NS1_11comp_targetILNS1_3genE10ELNS1_11target_archE1200ELNS1_3gpuE4ELNS1_3repE0EEENS1_30default_config_static_selectorELNS0_4arch9wavefront6targetE0EEEvS14_.num_named_barrier, 0
	.set _ZN7rocprim17ROCPRIM_400000_NS6detail17trampoline_kernelINS0_14default_configENS1_22reduce_config_selectorIN6thrust23THRUST_200600_302600_NS5tupleIblNS6_9null_typeES8_S8_S8_S8_S8_S8_S8_EEEEZNS1_11reduce_implILb1ES3_NS6_12zip_iteratorINS7_INS6_11hip_rocprim26transform_input_iterator_tIbNSD_35transform_pair_of_input_iterators_tIbNS6_6detail15normal_iteratorINS6_10device_ptrIKyEEEESL_NS6_8equal_toIyEEEENSG_9not_fun_tINSD_8identityEEEEENSD_19counting_iterator_tIlEES8_S8_S8_S8_S8_S8_S8_S8_EEEEPS9_S9_NSD_9__find_if7functorIS9_EEEE10hipError_tPvRmT1_T2_T3_mT4_P12ihipStream_tbEUlT_E0_NS1_11comp_targetILNS1_3genE10ELNS1_11target_archE1200ELNS1_3gpuE4ELNS1_3repE0EEENS1_30default_config_static_selectorELNS0_4arch9wavefront6targetE0EEEvS14_.private_seg_size, 0
	.set _ZN7rocprim17ROCPRIM_400000_NS6detail17trampoline_kernelINS0_14default_configENS1_22reduce_config_selectorIN6thrust23THRUST_200600_302600_NS5tupleIblNS6_9null_typeES8_S8_S8_S8_S8_S8_S8_EEEEZNS1_11reduce_implILb1ES3_NS6_12zip_iteratorINS7_INS6_11hip_rocprim26transform_input_iterator_tIbNSD_35transform_pair_of_input_iterators_tIbNS6_6detail15normal_iteratorINS6_10device_ptrIKyEEEESL_NS6_8equal_toIyEEEENSG_9not_fun_tINSD_8identityEEEEENSD_19counting_iterator_tIlEES8_S8_S8_S8_S8_S8_S8_S8_EEEEPS9_S9_NSD_9__find_if7functorIS9_EEEE10hipError_tPvRmT1_T2_T3_mT4_P12ihipStream_tbEUlT_E0_NS1_11comp_targetILNS1_3genE10ELNS1_11target_archE1200ELNS1_3gpuE4ELNS1_3repE0EEENS1_30default_config_static_selectorELNS0_4arch9wavefront6targetE0EEEvS14_.uses_vcc, 0
	.set _ZN7rocprim17ROCPRIM_400000_NS6detail17trampoline_kernelINS0_14default_configENS1_22reduce_config_selectorIN6thrust23THRUST_200600_302600_NS5tupleIblNS6_9null_typeES8_S8_S8_S8_S8_S8_S8_EEEEZNS1_11reduce_implILb1ES3_NS6_12zip_iteratorINS7_INS6_11hip_rocprim26transform_input_iterator_tIbNSD_35transform_pair_of_input_iterators_tIbNS6_6detail15normal_iteratorINS6_10device_ptrIKyEEEESL_NS6_8equal_toIyEEEENSG_9not_fun_tINSD_8identityEEEEENSD_19counting_iterator_tIlEES8_S8_S8_S8_S8_S8_S8_S8_EEEEPS9_S9_NSD_9__find_if7functorIS9_EEEE10hipError_tPvRmT1_T2_T3_mT4_P12ihipStream_tbEUlT_E0_NS1_11comp_targetILNS1_3genE10ELNS1_11target_archE1200ELNS1_3gpuE4ELNS1_3repE0EEENS1_30default_config_static_selectorELNS0_4arch9wavefront6targetE0EEEvS14_.uses_flat_scratch, 0
	.set _ZN7rocprim17ROCPRIM_400000_NS6detail17trampoline_kernelINS0_14default_configENS1_22reduce_config_selectorIN6thrust23THRUST_200600_302600_NS5tupleIblNS6_9null_typeES8_S8_S8_S8_S8_S8_S8_EEEEZNS1_11reduce_implILb1ES3_NS6_12zip_iteratorINS7_INS6_11hip_rocprim26transform_input_iterator_tIbNSD_35transform_pair_of_input_iterators_tIbNS6_6detail15normal_iteratorINS6_10device_ptrIKyEEEESL_NS6_8equal_toIyEEEENSG_9not_fun_tINSD_8identityEEEEENSD_19counting_iterator_tIlEES8_S8_S8_S8_S8_S8_S8_S8_EEEEPS9_S9_NSD_9__find_if7functorIS9_EEEE10hipError_tPvRmT1_T2_T3_mT4_P12ihipStream_tbEUlT_E0_NS1_11comp_targetILNS1_3genE10ELNS1_11target_archE1200ELNS1_3gpuE4ELNS1_3repE0EEENS1_30default_config_static_selectorELNS0_4arch9wavefront6targetE0EEEvS14_.has_dyn_sized_stack, 0
	.set _ZN7rocprim17ROCPRIM_400000_NS6detail17trampoline_kernelINS0_14default_configENS1_22reduce_config_selectorIN6thrust23THRUST_200600_302600_NS5tupleIblNS6_9null_typeES8_S8_S8_S8_S8_S8_S8_EEEEZNS1_11reduce_implILb1ES3_NS6_12zip_iteratorINS7_INS6_11hip_rocprim26transform_input_iterator_tIbNSD_35transform_pair_of_input_iterators_tIbNS6_6detail15normal_iteratorINS6_10device_ptrIKyEEEESL_NS6_8equal_toIyEEEENSG_9not_fun_tINSD_8identityEEEEENSD_19counting_iterator_tIlEES8_S8_S8_S8_S8_S8_S8_S8_EEEEPS9_S9_NSD_9__find_if7functorIS9_EEEE10hipError_tPvRmT1_T2_T3_mT4_P12ihipStream_tbEUlT_E0_NS1_11comp_targetILNS1_3genE10ELNS1_11target_archE1200ELNS1_3gpuE4ELNS1_3repE0EEENS1_30default_config_static_selectorELNS0_4arch9wavefront6targetE0EEEvS14_.has_recursion, 0
	.set _ZN7rocprim17ROCPRIM_400000_NS6detail17trampoline_kernelINS0_14default_configENS1_22reduce_config_selectorIN6thrust23THRUST_200600_302600_NS5tupleIblNS6_9null_typeES8_S8_S8_S8_S8_S8_S8_EEEEZNS1_11reduce_implILb1ES3_NS6_12zip_iteratorINS7_INS6_11hip_rocprim26transform_input_iterator_tIbNSD_35transform_pair_of_input_iterators_tIbNS6_6detail15normal_iteratorINS6_10device_ptrIKyEEEESL_NS6_8equal_toIyEEEENSG_9not_fun_tINSD_8identityEEEEENSD_19counting_iterator_tIlEES8_S8_S8_S8_S8_S8_S8_S8_EEEEPS9_S9_NSD_9__find_if7functorIS9_EEEE10hipError_tPvRmT1_T2_T3_mT4_P12ihipStream_tbEUlT_E0_NS1_11comp_targetILNS1_3genE10ELNS1_11target_archE1200ELNS1_3gpuE4ELNS1_3repE0EEENS1_30default_config_static_selectorELNS0_4arch9wavefront6targetE0EEEvS14_.has_indirect_call, 0
	.section	.AMDGPU.csdata,"",@progbits
; Kernel info:
; codeLenInByte = 0
; TotalNumSgprs: 0
; NumVgprs: 0
; ScratchSize: 0
; MemoryBound: 0
; FloatMode: 240
; IeeeMode: 1
; LDSByteSize: 0 bytes/workgroup (compile time only)
; SGPRBlocks: 0
; VGPRBlocks: 0
; NumSGPRsForWavesPerEU: 1
; NumVGPRsForWavesPerEU: 1
; NamedBarCnt: 0
; Occupancy: 16
; WaveLimiterHint : 0
; COMPUTE_PGM_RSRC2:SCRATCH_EN: 0
; COMPUTE_PGM_RSRC2:USER_SGPR: 2
; COMPUTE_PGM_RSRC2:TRAP_HANDLER: 0
; COMPUTE_PGM_RSRC2:TGID_X_EN: 1
; COMPUTE_PGM_RSRC2:TGID_Y_EN: 0
; COMPUTE_PGM_RSRC2:TGID_Z_EN: 0
; COMPUTE_PGM_RSRC2:TIDIG_COMP_CNT: 0
	.section	.text._ZN7rocprim17ROCPRIM_400000_NS6detail17trampoline_kernelINS0_14default_configENS1_22reduce_config_selectorIN6thrust23THRUST_200600_302600_NS5tupleIblNS6_9null_typeES8_S8_S8_S8_S8_S8_S8_EEEEZNS1_11reduce_implILb1ES3_NS6_12zip_iteratorINS7_INS6_11hip_rocprim26transform_input_iterator_tIbNSD_35transform_pair_of_input_iterators_tIbNS6_6detail15normal_iteratorINS6_10device_ptrIKyEEEESL_NS6_8equal_toIyEEEENSG_9not_fun_tINSD_8identityEEEEENSD_19counting_iterator_tIlEES8_S8_S8_S8_S8_S8_S8_S8_EEEEPS9_S9_NSD_9__find_if7functorIS9_EEEE10hipError_tPvRmT1_T2_T3_mT4_P12ihipStream_tbEUlT_E0_NS1_11comp_targetILNS1_3genE9ELNS1_11target_archE1100ELNS1_3gpuE3ELNS1_3repE0EEENS1_30default_config_static_selectorELNS0_4arch9wavefront6targetE0EEEvS14_,"axG",@progbits,_ZN7rocprim17ROCPRIM_400000_NS6detail17trampoline_kernelINS0_14default_configENS1_22reduce_config_selectorIN6thrust23THRUST_200600_302600_NS5tupleIblNS6_9null_typeES8_S8_S8_S8_S8_S8_S8_EEEEZNS1_11reduce_implILb1ES3_NS6_12zip_iteratorINS7_INS6_11hip_rocprim26transform_input_iterator_tIbNSD_35transform_pair_of_input_iterators_tIbNS6_6detail15normal_iteratorINS6_10device_ptrIKyEEEESL_NS6_8equal_toIyEEEENSG_9not_fun_tINSD_8identityEEEEENSD_19counting_iterator_tIlEES8_S8_S8_S8_S8_S8_S8_S8_EEEEPS9_S9_NSD_9__find_if7functorIS9_EEEE10hipError_tPvRmT1_T2_T3_mT4_P12ihipStream_tbEUlT_E0_NS1_11comp_targetILNS1_3genE9ELNS1_11target_archE1100ELNS1_3gpuE3ELNS1_3repE0EEENS1_30default_config_static_selectorELNS0_4arch9wavefront6targetE0EEEvS14_,comdat
	.protected	_ZN7rocprim17ROCPRIM_400000_NS6detail17trampoline_kernelINS0_14default_configENS1_22reduce_config_selectorIN6thrust23THRUST_200600_302600_NS5tupleIblNS6_9null_typeES8_S8_S8_S8_S8_S8_S8_EEEEZNS1_11reduce_implILb1ES3_NS6_12zip_iteratorINS7_INS6_11hip_rocprim26transform_input_iterator_tIbNSD_35transform_pair_of_input_iterators_tIbNS6_6detail15normal_iteratorINS6_10device_ptrIKyEEEESL_NS6_8equal_toIyEEEENSG_9not_fun_tINSD_8identityEEEEENSD_19counting_iterator_tIlEES8_S8_S8_S8_S8_S8_S8_S8_EEEEPS9_S9_NSD_9__find_if7functorIS9_EEEE10hipError_tPvRmT1_T2_T3_mT4_P12ihipStream_tbEUlT_E0_NS1_11comp_targetILNS1_3genE9ELNS1_11target_archE1100ELNS1_3gpuE3ELNS1_3repE0EEENS1_30default_config_static_selectorELNS0_4arch9wavefront6targetE0EEEvS14_ ; -- Begin function _ZN7rocprim17ROCPRIM_400000_NS6detail17trampoline_kernelINS0_14default_configENS1_22reduce_config_selectorIN6thrust23THRUST_200600_302600_NS5tupleIblNS6_9null_typeES8_S8_S8_S8_S8_S8_S8_EEEEZNS1_11reduce_implILb1ES3_NS6_12zip_iteratorINS7_INS6_11hip_rocprim26transform_input_iterator_tIbNSD_35transform_pair_of_input_iterators_tIbNS6_6detail15normal_iteratorINS6_10device_ptrIKyEEEESL_NS6_8equal_toIyEEEENSG_9not_fun_tINSD_8identityEEEEENSD_19counting_iterator_tIlEES8_S8_S8_S8_S8_S8_S8_S8_EEEEPS9_S9_NSD_9__find_if7functorIS9_EEEE10hipError_tPvRmT1_T2_T3_mT4_P12ihipStream_tbEUlT_E0_NS1_11comp_targetILNS1_3genE9ELNS1_11target_archE1100ELNS1_3gpuE3ELNS1_3repE0EEENS1_30default_config_static_selectorELNS0_4arch9wavefront6targetE0EEEvS14_
	.globl	_ZN7rocprim17ROCPRIM_400000_NS6detail17trampoline_kernelINS0_14default_configENS1_22reduce_config_selectorIN6thrust23THRUST_200600_302600_NS5tupleIblNS6_9null_typeES8_S8_S8_S8_S8_S8_S8_EEEEZNS1_11reduce_implILb1ES3_NS6_12zip_iteratorINS7_INS6_11hip_rocprim26transform_input_iterator_tIbNSD_35transform_pair_of_input_iterators_tIbNS6_6detail15normal_iteratorINS6_10device_ptrIKyEEEESL_NS6_8equal_toIyEEEENSG_9not_fun_tINSD_8identityEEEEENSD_19counting_iterator_tIlEES8_S8_S8_S8_S8_S8_S8_S8_EEEEPS9_S9_NSD_9__find_if7functorIS9_EEEE10hipError_tPvRmT1_T2_T3_mT4_P12ihipStream_tbEUlT_E0_NS1_11comp_targetILNS1_3genE9ELNS1_11target_archE1100ELNS1_3gpuE3ELNS1_3repE0EEENS1_30default_config_static_selectorELNS0_4arch9wavefront6targetE0EEEvS14_
	.p2align	8
	.type	_ZN7rocprim17ROCPRIM_400000_NS6detail17trampoline_kernelINS0_14default_configENS1_22reduce_config_selectorIN6thrust23THRUST_200600_302600_NS5tupleIblNS6_9null_typeES8_S8_S8_S8_S8_S8_S8_EEEEZNS1_11reduce_implILb1ES3_NS6_12zip_iteratorINS7_INS6_11hip_rocprim26transform_input_iterator_tIbNSD_35transform_pair_of_input_iterators_tIbNS6_6detail15normal_iteratorINS6_10device_ptrIKyEEEESL_NS6_8equal_toIyEEEENSG_9not_fun_tINSD_8identityEEEEENSD_19counting_iterator_tIlEES8_S8_S8_S8_S8_S8_S8_S8_EEEEPS9_S9_NSD_9__find_if7functorIS9_EEEE10hipError_tPvRmT1_T2_T3_mT4_P12ihipStream_tbEUlT_E0_NS1_11comp_targetILNS1_3genE9ELNS1_11target_archE1100ELNS1_3gpuE3ELNS1_3repE0EEENS1_30default_config_static_selectorELNS0_4arch9wavefront6targetE0EEEvS14_,@function
_ZN7rocprim17ROCPRIM_400000_NS6detail17trampoline_kernelINS0_14default_configENS1_22reduce_config_selectorIN6thrust23THRUST_200600_302600_NS5tupleIblNS6_9null_typeES8_S8_S8_S8_S8_S8_S8_EEEEZNS1_11reduce_implILb1ES3_NS6_12zip_iteratorINS7_INS6_11hip_rocprim26transform_input_iterator_tIbNSD_35transform_pair_of_input_iterators_tIbNS6_6detail15normal_iteratorINS6_10device_ptrIKyEEEESL_NS6_8equal_toIyEEEENSG_9not_fun_tINSD_8identityEEEEENSD_19counting_iterator_tIlEES8_S8_S8_S8_S8_S8_S8_S8_EEEEPS9_S9_NSD_9__find_if7functorIS9_EEEE10hipError_tPvRmT1_T2_T3_mT4_P12ihipStream_tbEUlT_E0_NS1_11comp_targetILNS1_3genE9ELNS1_11target_archE1100ELNS1_3gpuE3ELNS1_3repE0EEENS1_30default_config_static_selectorELNS0_4arch9wavefront6targetE0EEEvS14_: ; @_ZN7rocprim17ROCPRIM_400000_NS6detail17trampoline_kernelINS0_14default_configENS1_22reduce_config_selectorIN6thrust23THRUST_200600_302600_NS5tupleIblNS6_9null_typeES8_S8_S8_S8_S8_S8_S8_EEEEZNS1_11reduce_implILb1ES3_NS6_12zip_iteratorINS7_INS6_11hip_rocprim26transform_input_iterator_tIbNSD_35transform_pair_of_input_iterators_tIbNS6_6detail15normal_iteratorINS6_10device_ptrIKyEEEESL_NS6_8equal_toIyEEEENSG_9not_fun_tINSD_8identityEEEEENSD_19counting_iterator_tIlEES8_S8_S8_S8_S8_S8_S8_S8_EEEEPS9_S9_NSD_9__find_if7functorIS9_EEEE10hipError_tPvRmT1_T2_T3_mT4_P12ihipStream_tbEUlT_E0_NS1_11comp_targetILNS1_3genE9ELNS1_11target_archE1100ELNS1_3gpuE3ELNS1_3repE0EEENS1_30default_config_static_selectorELNS0_4arch9wavefront6targetE0EEEvS14_
; %bb.0:
	.section	.rodata,"a",@progbits
	.p2align	6, 0x0
	.amdhsa_kernel _ZN7rocprim17ROCPRIM_400000_NS6detail17trampoline_kernelINS0_14default_configENS1_22reduce_config_selectorIN6thrust23THRUST_200600_302600_NS5tupleIblNS6_9null_typeES8_S8_S8_S8_S8_S8_S8_EEEEZNS1_11reduce_implILb1ES3_NS6_12zip_iteratorINS7_INS6_11hip_rocprim26transform_input_iterator_tIbNSD_35transform_pair_of_input_iterators_tIbNS6_6detail15normal_iteratorINS6_10device_ptrIKyEEEESL_NS6_8equal_toIyEEEENSG_9not_fun_tINSD_8identityEEEEENSD_19counting_iterator_tIlEES8_S8_S8_S8_S8_S8_S8_S8_EEEEPS9_S9_NSD_9__find_if7functorIS9_EEEE10hipError_tPvRmT1_T2_T3_mT4_P12ihipStream_tbEUlT_E0_NS1_11comp_targetILNS1_3genE9ELNS1_11target_archE1100ELNS1_3gpuE3ELNS1_3repE0EEENS1_30default_config_static_selectorELNS0_4arch9wavefront6targetE0EEEvS14_
		.amdhsa_group_segment_fixed_size 0
		.amdhsa_private_segment_fixed_size 0
		.amdhsa_kernarg_size 104
		.amdhsa_user_sgpr_count 2
		.amdhsa_user_sgpr_dispatch_ptr 0
		.amdhsa_user_sgpr_queue_ptr 0
		.amdhsa_user_sgpr_kernarg_segment_ptr 1
		.amdhsa_user_sgpr_dispatch_id 0
		.amdhsa_user_sgpr_kernarg_preload_length 0
		.amdhsa_user_sgpr_kernarg_preload_offset 0
		.amdhsa_user_sgpr_private_segment_size 0
		.amdhsa_wavefront_size32 1
		.amdhsa_uses_dynamic_stack 0
		.amdhsa_enable_private_segment 0
		.amdhsa_system_sgpr_workgroup_id_x 1
		.amdhsa_system_sgpr_workgroup_id_y 0
		.amdhsa_system_sgpr_workgroup_id_z 0
		.amdhsa_system_sgpr_workgroup_info 0
		.amdhsa_system_vgpr_workitem_id 0
		.amdhsa_next_free_vgpr 1
		.amdhsa_next_free_sgpr 1
		.amdhsa_named_barrier_count 0
		.amdhsa_reserve_vcc 0
		.amdhsa_float_round_mode_32 0
		.amdhsa_float_round_mode_16_64 0
		.amdhsa_float_denorm_mode_32 3
		.amdhsa_float_denorm_mode_16_64 3
		.amdhsa_fp16_overflow 0
		.amdhsa_memory_ordered 1
		.amdhsa_forward_progress 1
		.amdhsa_inst_pref_size 0
		.amdhsa_round_robin_scheduling 0
		.amdhsa_exception_fp_ieee_invalid_op 0
		.amdhsa_exception_fp_denorm_src 0
		.amdhsa_exception_fp_ieee_div_zero 0
		.amdhsa_exception_fp_ieee_overflow 0
		.amdhsa_exception_fp_ieee_underflow 0
		.amdhsa_exception_fp_ieee_inexact 0
		.amdhsa_exception_int_div_zero 0
	.end_amdhsa_kernel
	.section	.text._ZN7rocprim17ROCPRIM_400000_NS6detail17trampoline_kernelINS0_14default_configENS1_22reduce_config_selectorIN6thrust23THRUST_200600_302600_NS5tupleIblNS6_9null_typeES8_S8_S8_S8_S8_S8_S8_EEEEZNS1_11reduce_implILb1ES3_NS6_12zip_iteratorINS7_INS6_11hip_rocprim26transform_input_iterator_tIbNSD_35transform_pair_of_input_iterators_tIbNS6_6detail15normal_iteratorINS6_10device_ptrIKyEEEESL_NS6_8equal_toIyEEEENSG_9not_fun_tINSD_8identityEEEEENSD_19counting_iterator_tIlEES8_S8_S8_S8_S8_S8_S8_S8_EEEEPS9_S9_NSD_9__find_if7functorIS9_EEEE10hipError_tPvRmT1_T2_T3_mT4_P12ihipStream_tbEUlT_E0_NS1_11comp_targetILNS1_3genE9ELNS1_11target_archE1100ELNS1_3gpuE3ELNS1_3repE0EEENS1_30default_config_static_selectorELNS0_4arch9wavefront6targetE0EEEvS14_,"axG",@progbits,_ZN7rocprim17ROCPRIM_400000_NS6detail17trampoline_kernelINS0_14default_configENS1_22reduce_config_selectorIN6thrust23THRUST_200600_302600_NS5tupleIblNS6_9null_typeES8_S8_S8_S8_S8_S8_S8_EEEEZNS1_11reduce_implILb1ES3_NS6_12zip_iteratorINS7_INS6_11hip_rocprim26transform_input_iterator_tIbNSD_35transform_pair_of_input_iterators_tIbNS6_6detail15normal_iteratorINS6_10device_ptrIKyEEEESL_NS6_8equal_toIyEEEENSG_9not_fun_tINSD_8identityEEEEENSD_19counting_iterator_tIlEES8_S8_S8_S8_S8_S8_S8_S8_EEEEPS9_S9_NSD_9__find_if7functorIS9_EEEE10hipError_tPvRmT1_T2_T3_mT4_P12ihipStream_tbEUlT_E0_NS1_11comp_targetILNS1_3genE9ELNS1_11target_archE1100ELNS1_3gpuE3ELNS1_3repE0EEENS1_30default_config_static_selectorELNS0_4arch9wavefront6targetE0EEEvS14_,comdat
.Lfunc_end121:
	.size	_ZN7rocprim17ROCPRIM_400000_NS6detail17trampoline_kernelINS0_14default_configENS1_22reduce_config_selectorIN6thrust23THRUST_200600_302600_NS5tupleIblNS6_9null_typeES8_S8_S8_S8_S8_S8_S8_EEEEZNS1_11reduce_implILb1ES3_NS6_12zip_iteratorINS7_INS6_11hip_rocprim26transform_input_iterator_tIbNSD_35transform_pair_of_input_iterators_tIbNS6_6detail15normal_iteratorINS6_10device_ptrIKyEEEESL_NS6_8equal_toIyEEEENSG_9not_fun_tINSD_8identityEEEEENSD_19counting_iterator_tIlEES8_S8_S8_S8_S8_S8_S8_S8_EEEEPS9_S9_NSD_9__find_if7functorIS9_EEEE10hipError_tPvRmT1_T2_T3_mT4_P12ihipStream_tbEUlT_E0_NS1_11comp_targetILNS1_3genE9ELNS1_11target_archE1100ELNS1_3gpuE3ELNS1_3repE0EEENS1_30default_config_static_selectorELNS0_4arch9wavefront6targetE0EEEvS14_, .Lfunc_end121-_ZN7rocprim17ROCPRIM_400000_NS6detail17trampoline_kernelINS0_14default_configENS1_22reduce_config_selectorIN6thrust23THRUST_200600_302600_NS5tupleIblNS6_9null_typeES8_S8_S8_S8_S8_S8_S8_EEEEZNS1_11reduce_implILb1ES3_NS6_12zip_iteratorINS7_INS6_11hip_rocprim26transform_input_iterator_tIbNSD_35transform_pair_of_input_iterators_tIbNS6_6detail15normal_iteratorINS6_10device_ptrIKyEEEESL_NS6_8equal_toIyEEEENSG_9not_fun_tINSD_8identityEEEEENSD_19counting_iterator_tIlEES8_S8_S8_S8_S8_S8_S8_S8_EEEEPS9_S9_NSD_9__find_if7functorIS9_EEEE10hipError_tPvRmT1_T2_T3_mT4_P12ihipStream_tbEUlT_E0_NS1_11comp_targetILNS1_3genE9ELNS1_11target_archE1100ELNS1_3gpuE3ELNS1_3repE0EEENS1_30default_config_static_selectorELNS0_4arch9wavefront6targetE0EEEvS14_
                                        ; -- End function
	.set _ZN7rocprim17ROCPRIM_400000_NS6detail17trampoline_kernelINS0_14default_configENS1_22reduce_config_selectorIN6thrust23THRUST_200600_302600_NS5tupleIblNS6_9null_typeES8_S8_S8_S8_S8_S8_S8_EEEEZNS1_11reduce_implILb1ES3_NS6_12zip_iteratorINS7_INS6_11hip_rocprim26transform_input_iterator_tIbNSD_35transform_pair_of_input_iterators_tIbNS6_6detail15normal_iteratorINS6_10device_ptrIKyEEEESL_NS6_8equal_toIyEEEENSG_9not_fun_tINSD_8identityEEEEENSD_19counting_iterator_tIlEES8_S8_S8_S8_S8_S8_S8_S8_EEEEPS9_S9_NSD_9__find_if7functorIS9_EEEE10hipError_tPvRmT1_T2_T3_mT4_P12ihipStream_tbEUlT_E0_NS1_11comp_targetILNS1_3genE9ELNS1_11target_archE1100ELNS1_3gpuE3ELNS1_3repE0EEENS1_30default_config_static_selectorELNS0_4arch9wavefront6targetE0EEEvS14_.num_vgpr, 0
	.set _ZN7rocprim17ROCPRIM_400000_NS6detail17trampoline_kernelINS0_14default_configENS1_22reduce_config_selectorIN6thrust23THRUST_200600_302600_NS5tupleIblNS6_9null_typeES8_S8_S8_S8_S8_S8_S8_EEEEZNS1_11reduce_implILb1ES3_NS6_12zip_iteratorINS7_INS6_11hip_rocprim26transform_input_iterator_tIbNSD_35transform_pair_of_input_iterators_tIbNS6_6detail15normal_iteratorINS6_10device_ptrIKyEEEESL_NS6_8equal_toIyEEEENSG_9not_fun_tINSD_8identityEEEEENSD_19counting_iterator_tIlEES8_S8_S8_S8_S8_S8_S8_S8_EEEEPS9_S9_NSD_9__find_if7functorIS9_EEEE10hipError_tPvRmT1_T2_T3_mT4_P12ihipStream_tbEUlT_E0_NS1_11comp_targetILNS1_3genE9ELNS1_11target_archE1100ELNS1_3gpuE3ELNS1_3repE0EEENS1_30default_config_static_selectorELNS0_4arch9wavefront6targetE0EEEvS14_.num_agpr, 0
	.set _ZN7rocprim17ROCPRIM_400000_NS6detail17trampoline_kernelINS0_14default_configENS1_22reduce_config_selectorIN6thrust23THRUST_200600_302600_NS5tupleIblNS6_9null_typeES8_S8_S8_S8_S8_S8_S8_EEEEZNS1_11reduce_implILb1ES3_NS6_12zip_iteratorINS7_INS6_11hip_rocprim26transform_input_iterator_tIbNSD_35transform_pair_of_input_iterators_tIbNS6_6detail15normal_iteratorINS6_10device_ptrIKyEEEESL_NS6_8equal_toIyEEEENSG_9not_fun_tINSD_8identityEEEEENSD_19counting_iterator_tIlEES8_S8_S8_S8_S8_S8_S8_S8_EEEEPS9_S9_NSD_9__find_if7functorIS9_EEEE10hipError_tPvRmT1_T2_T3_mT4_P12ihipStream_tbEUlT_E0_NS1_11comp_targetILNS1_3genE9ELNS1_11target_archE1100ELNS1_3gpuE3ELNS1_3repE0EEENS1_30default_config_static_selectorELNS0_4arch9wavefront6targetE0EEEvS14_.numbered_sgpr, 0
	.set _ZN7rocprim17ROCPRIM_400000_NS6detail17trampoline_kernelINS0_14default_configENS1_22reduce_config_selectorIN6thrust23THRUST_200600_302600_NS5tupleIblNS6_9null_typeES8_S8_S8_S8_S8_S8_S8_EEEEZNS1_11reduce_implILb1ES3_NS6_12zip_iteratorINS7_INS6_11hip_rocprim26transform_input_iterator_tIbNSD_35transform_pair_of_input_iterators_tIbNS6_6detail15normal_iteratorINS6_10device_ptrIKyEEEESL_NS6_8equal_toIyEEEENSG_9not_fun_tINSD_8identityEEEEENSD_19counting_iterator_tIlEES8_S8_S8_S8_S8_S8_S8_S8_EEEEPS9_S9_NSD_9__find_if7functorIS9_EEEE10hipError_tPvRmT1_T2_T3_mT4_P12ihipStream_tbEUlT_E0_NS1_11comp_targetILNS1_3genE9ELNS1_11target_archE1100ELNS1_3gpuE3ELNS1_3repE0EEENS1_30default_config_static_selectorELNS0_4arch9wavefront6targetE0EEEvS14_.num_named_barrier, 0
	.set _ZN7rocprim17ROCPRIM_400000_NS6detail17trampoline_kernelINS0_14default_configENS1_22reduce_config_selectorIN6thrust23THRUST_200600_302600_NS5tupleIblNS6_9null_typeES8_S8_S8_S8_S8_S8_S8_EEEEZNS1_11reduce_implILb1ES3_NS6_12zip_iteratorINS7_INS6_11hip_rocprim26transform_input_iterator_tIbNSD_35transform_pair_of_input_iterators_tIbNS6_6detail15normal_iteratorINS6_10device_ptrIKyEEEESL_NS6_8equal_toIyEEEENSG_9not_fun_tINSD_8identityEEEEENSD_19counting_iterator_tIlEES8_S8_S8_S8_S8_S8_S8_S8_EEEEPS9_S9_NSD_9__find_if7functorIS9_EEEE10hipError_tPvRmT1_T2_T3_mT4_P12ihipStream_tbEUlT_E0_NS1_11comp_targetILNS1_3genE9ELNS1_11target_archE1100ELNS1_3gpuE3ELNS1_3repE0EEENS1_30default_config_static_selectorELNS0_4arch9wavefront6targetE0EEEvS14_.private_seg_size, 0
	.set _ZN7rocprim17ROCPRIM_400000_NS6detail17trampoline_kernelINS0_14default_configENS1_22reduce_config_selectorIN6thrust23THRUST_200600_302600_NS5tupleIblNS6_9null_typeES8_S8_S8_S8_S8_S8_S8_EEEEZNS1_11reduce_implILb1ES3_NS6_12zip_iteratorINS7_INS6_11hip_rocprim26transform_input_iterator_tIbNSD_35transform_pair_of_input_iterators_tIbNS6_6detail15normal_iteratorINS6_10device_ptrIKyEEEESL_NS6_8equal_toIyEEEENSG_9not_fun_tINSD_8identityEEEEENSD_19counting_iterator_tIlEES8_S8_S8_S8_S8_S8_S8_S8_EEEEPS9_S9_NSD_9__find_if7functorIS9_EEEE10hipError_tPvRmT1_T2_T3_mT4_P12ihipStream_tbEUlT_E0_NS1_11comp_targetILNS1_3genE9ELNS1_11target_archE1100ELNS1_3gpuE3ELNS1_3repE0EEENS1_30default_config_static_selectorELNS0_4arch9wavefront6targetE0EEEvS14_.uses_vcc, 0
	.set _ZN7rocprim17ROCPRIM_400000_NS6detail17trampoline_kernelINS0_14default_configENS1_22reduce_config_selectorIN6thrust23THRUST_200600_302600_NS5tupleIblNS6_9null_typeES8_S8_S8_S8_S8_S8_S8_EEEEZNS1_11reduce_implILb1ES3_NS6_12zip_iteratorINS7_INS6_11hip_rocprim26transform_input_iterator_tIbNSD_35transform_pair_of_input_iterators_tIbNS6_6detail15normal_iteratorINS6_10device_ptrIKyEEEESL_NS6_8equal_toIyEEEENSG_9not_fun_tINSD_8identityEEEEENSD_19counting_iterator_tIlEES8_S8_S8_S8_S8_S8_S8_S8_EEEEPS9_S9_NSD_9__find_if7functorIS9_EEEE10hipError_tPvRmT1_T2_T3_mT4_P12ihipStream_tbEUlT_E0_NS1_11comp_targetILNS1_3genE9ELNS1_11target_archE1100ELNS1_3gpuE3ELNS1_3repE0EEENS1_30default_config_static_selectorELNS0_4arch9wavefront6targetE0EEEvS14_.uses_flat_scratch, 0
	.set _ZN7rocprim17ROCPRIM_400000_NS6detail17trampoline_kernelINS0_14default_configENS1_22reduce_config_selectorIN6thrust23THRUST_200600_302600_NS5tupleIblNS6_9null_typeES8_S8_S8_S8_S8_S8_S8_EEEEZNS1_11reduce_implILb1ES3_NS6_12zip_iteratorINS7_INS6_11hip_rocprim26transform_input_iterator_tIbNSD_35transform_pair_of_input_iterators_tIbNS6_6detail15normal_iteratorINS6_10device_ptrIKyEEEESL_NS6_8equal_toIyEEEENSG_9not_fun_tINSD_8identityEEEEENSD_19counting_iterator_tIlEES8_S8_S8_S8_S8_S8_S8_S8_EEEEPS9_S9_NSD_9__find_if7functorIS9_EEEE10hipError_tPvRmT1_T2_T3_mT4_P12ihipStream_tbEUlT_E0_NS1_11comp_targetILNS1_3genE9ELNS1_11target_archE1100ELNS1_3gpuE3ELNS1_3repE0EEENS1_30default_config_static_selectorELNS0_4arch9wavefront6targetE0EEEvS14_.has_dyn_sized_stack, 0
	.set _ZN7rocprim17ROCPRIM_400000_NS6detail17trampoline_kernelINS0_14default_configENS1_22reduce_config_selectorIN6thrust23THRUST_200600_302600_NS5tupleIblNS6_9null_typeES8_S8_S8_S8_S8_S8_S8_EEEEZNS1_11reduce_implILb1ES3_NS6_12zip_iteratorINS7_INS6_11hip_rocprim26transform_input_iterator_tIbNSD_35transform_pair_of_input_iterators_tIbNS6_6detail15normal_iteratorINS6_10device_ptrIKyEEEESL_NS6_8equal_toIyEEEENSG_9not_fun_tINSD_8identityEEEEENSD_19counting_iterator_tIlEES8_S8_S8_S8_S8_S8_S8_S8_EEEEPS9_S9_NSD_9__find_if7functorIS9_EEEE10hipError_tPvRmT1_T2_T3_mT4_P12ihipStream_tbEUlT_E0_NS1_11comp_targetILNS1_3genE9ELNS1_11target_archE1100ELNS1_3gpuE3ELNS1_3repE0EEENS1_30default_config_static_selectorELNS0_4arch9wavefront6targetE0EEEvS14_.has_recursion, 0
	.set _ZN7rocprim17ROCPRIM_400000_NS6detail17trampoline_kernelINS0_14default_configENS1_22reduce_config_selectorIN6thrust23THRUST_200600_302600_NS5tupleIblNS6_9null_typeES8_S8_S8_S8_S8_S8_S8_EEEEZNS1_11reduce_implILb1ES3_NS6_12zip_iteratorINS7_INS6_11hip_rocprim26transform_input_iterator_tIbNSD_35transform_pair_of_input_iterators_tIbNS6_6detail15normal_iteratorINS6_10device_ptrIKyEEEESL_NS6_8equal_toIyEEEENSG_9not_fun_tINSD_8identityEEEEENSD_19counting_iterator_tIlEES8_S8_S8_S8_S8_S8_S8_S8_EEEEPS9_S9_NSD_9__find_if7functorIS9_EEEE10hipError_tPvRmT1_T2_T3_mT4_P12ihipStream_tbEUlT_E0_NS1_11comp_targetILNS1_3genE9ELNS1_11target_archE1100ELNS1_3gpuE3ELNS1_3repE0EEENS1_30default_config_static_selectorELNS0_4arch9wavefront6targetE0EEEvS14_.has_indirect_call, 0
	.section	.AMDGPU.csdata,"",@progbits
; Kernel info:
; codeLenInByte = 0
; TotalNumSgprs: 0
; NumVgprs: 0
; ScratchSize: 0
; MemoryBound: 0
; FloatMode: 240
; IeeeMode: 1
; LDSByteSize: 0 bytes/workgroup (compile time only)
; SGPRBlocks: 0
; VGPRBlocks: 0
; NumSGPRsForWavesPerEU: 1
; NumVGPRsForWavesPerEU: 1
; NamedBarCnt: 0
; Occupancy: 16
; WaveLimiterHint : 0
; COMPUTE_PGM_RSRC2:SCRATCH_EN: 0
; COMPUTE_PGM_RSRC2:USER_SGPR: 2
; COMPUTE_PGM_RSRC2:TRAP_HANDLER: 0
; COMPUTE_PGM_RSRC2:TGID_X_EN: 1
; COMPUTE_PGM_RSRC2:TGID_Y_EN: 0
; COMPUTE_PGM_RSRC2:TGID_Z_EN: 0
; COMPUTE_PGM_RSRC2:TIDIG_COMP_CNT: 0
	.section	.text._ZN7rocprim17ROCPRIM_400000_NS6detail17trampoline_kernelINS0_14default_configENS1_22reduce_config_selectorIN6thrust23THRUST_200600_302600_NS5tupleIblNS6_9null_typeES8_S8_S8_S8_S8_S8_S8_EEEEZNS1_11reduce_implILb1ES3_NS6_12zip_iteratorINS7_INS6_11hip_rocprim26transform_input_iterator_tIbNSD_35transform_pair_of_input_iterators_tIbNS6_6detail15normal_iteratorINS6_10device_ptrIKyEEEESL_NS6_8equal_toIyEEEENSG_9not_fun_tINSD_8identityEEEEENSD_19counting_iterator_tIlEES8_S8_S8_S8_S8_S8_S8_S8_EEEEPS9_S9_NSD_9__find_if7functorIS9_EEEE10hipError_tPvRmT1_T2_T3_mT4_P12ihipStream_tbEUlT_E0_NS1_11comp_targetILNS1_3genE8ELNS1_11target_archE1030ELNS1_3gpuE2ELNS1_3repE0EEENS1_30default_config_static_selectorELNS0_4arch9wavefront6targetE0EEEvS14_,"axG",@progbits,_ZN7rocprim17ROCPRIM_400000_NS6detail17trampoline_kernelINS0_14default_configENS1_22reduce_config_selectorIN6thrust23THRUST_200600_302600_NS5tupleIblNS6_9null_typeES8_S8_S8_S8_S8_S8_S8_EEEEZNS1_11reduce_implILb1ES3_NS6_12zip_iteratorINS7_INS6_11hip_rocprim26transform_input_iterator_tIbNSD_35transform_pair_of_input_iterators_tIbNS6_6detail15normal_iteratorINS6_10device_ptrIKyEEEESL_NS6_8equal_toIyEEEENSG_9not_fun_tINSD_8identityEEEEENSD_19counting_iterator_tIlEES8_S8_S8_S8_S8_S8_S8_S8_EEEEPS9_S9_NSD_9__find_if7functorIS9_EEEE10hipError_tPvRmT1_T2_T3_mT4_P12ihipStream_tbEUlT_E0_NS1_11comp_targetILNS1_3genE8ELNS1_11target_archE1030ELNS1_3gpuE2ELNS1_3repE0EEENS1_30default_config_static_selectorELNS0_4arch9wavefront6targetE0EEEvS14_,comdat
	.protected	_ZN7rocprim17ROCPRIM_400000_NS6detail17trampoline_kernelINS0_14default_configENS1_22reduce_config_selectorIN6thrust23THRUST_200600_302600_NS5tupleIblNS6_9null_typeES8_S8_S8_S8_S8_S8_S8_EEEEZNS1_11reduce_implILb1ES3_NS6_12zip_iteratorINS7_INS6_11hip_rocprim26transform_input_iterator_tIbNSD_35transform_pair_of_input_iterators_tIbNS6_6detail15normal_iteratorINS6_10device_ptrIKyEEEESL_NS6_8equal_toIyEEEENSG_9not_fun_tINSD_8identityEEEEENSD_19counting_iterator_tIlEES8_S8_S8_S8_S8_S8_S8_S8_EEEEPS9_S9_NSD_9__find_if7functorIS9_EEEE10hipError_tPvRmT1_T2_T3_mT4_P12ihipStream_tbEUlT_E0_NS1_11comp_targetILNS1_3genE8ELNS1_11target_archE1030ELNS1_3gpuE2ELNS1_3repE0EEENS1_30default_config_static_selectorELNS0_4arch9wavefront6targetE0EEEvS14_ ; -- Begin function _ZN7rocprim17ROCPRIM_400000_NS6detail17trampoline_kernelINS0_14default_configENS1_22reduce_config_selectorIN6thrust23THRUST_200600_302600_NS5tupleIblNS6_9null_typeES8_S8_S8_S8_S8_S8_S8_EEEEZNS1_11reduce_implILb1ES3_NS6_12zip_iteratorINS7_INS6_11hip_rocprim26transform_input_iterator_tIbNSD_35transform_pair_of_input_iterators_tIbNS6_6detail15normal_iteratorINS6_10device_ptrIKyEEEESL_NS6_8equal_toIyEEEENSG_9not_fun_tINSD_8identityEEEEENSD_19counting_iterator_tIlEES8_S8_S8_S8_S8_S8_S8_S8_EEEEPS9_S9_NSD_9__find_if7functorIS9_EEEE10hipError_tPvRmT1_T2_T3_mT4_P12ihipStream_tbEUlT_E0_NS1_11comp_targetILNS1_3genE8ELNS1_11target_archE1030ELNS1_3gpuE2ELNS1_3repE0EEENS1_30default_config_static_selectorELNS0_4arch9wavefront6targetE0EEEvS14_
	.globl	_ZN7rocprim17ROCPRIM_400000_NS6detail17trampoline_kernelINS0_14default_configENS1_22reduce_config_selectorIN6thrust23THRUST_200600_302600_NS5tupleIblNS6_9null_typeES8_S8_S8_S8_S8_S8_S8_EEEEZNS1_11reduce_implILb1ES3_NS6_12zip_iteratorINS7_INS6_11hip_rocprim26transform_input_iterator_tIbNSD_35transform_pair_of_input_iterators_tIbNS6_6detail15normal_iteratorINS6_10device_ptrIKyEEEESL_NS6_8equal_toIyEEEENSG_9not_fun_tINSD_8identityEEEEENSD_19counting_iterator_tIlEES8_S8_S8_S8_S8_S8_S8_S8_EEEEPS9_S9_NSD_9__find_if7functorIS9_EEEE10hipError_tPvRmT1_T2_T3_mT4_P12ihipStream_tbEUlT_E0_NS1_11comp_targetILNS1_3genE8ELNS1_11target_archE1030ELNS1_3gpuE2ELNS1_3repE0EEENS1_30default_config_static_selectorELNS0_4arch9wavefront6targetE0EEEvS14_
	.p2align	8
	.type	_ZN7rocprim17ROCPRIM_400000_NS6detail17trampoline_kernelINS0_14default_configENS1_22reduce_config_selectorIN6thrust23THRUST_200600_302600_NS5tupleIblNS6_9null_typeES8_S8_S8_S8_S8_S8_S8_EEEEZNS1_11reduce_implILb1ES3_NS6_12zip_iteratorINS7_INS6_11hip_rocprim26transform_input_iterator_tIbNSD_35transform_pair_of_input_iterators_tIbNS6_6detail15normal_iteratorINS6_10device_ptrIKyEEEESL_NS6_8equal_toIyEEEENSG_9not_fun_tINSD_8identityEEEEENSD_19counting_iterator_tIlEES8_S8_S8_S8_S8_S8_S8_S8_EEEEPS9_S9_NSD_9__find_if7functorIS9_EEEE10hipError_tPvRmT1_T2_T3_mT4_P12ihipStream_tbEUlT_E0_NS1_11comp_targetILNS1_3genE8ELNS1_11target_archE1030ELNS1_3gpuE2ELNS1_3repE0EEENS1_30default_config_static_selectorELNS0_4arch9wavefront6targetE0EEEvS14_,@function
_ZN7rocprim17ROCPRIM_400000_NS6detail17trampoline_kernelINS0_14default_configENS1_22reduce_config_selectorIN6thrust23THRUST_200600_302600_NS5tupleIblNS6_9null_typeES8_S8_S8_S8_S8_S8_S8_EEEEZNS1_11reduce_implILb1ES3_NS6_12zip_iteratorINS7_INS6_11hip_rocprim26transform_input_iterator_tIbNSD_35transform_pair_of_input_iterators_tIbNS6_6detail15normal_iteratorINS6_10device_ptrIKyEEEESL_NS6_8equal_toIyEEEENSG_9not_fun_tINSD_8identityEEEEENSD_19counting_iterator_tIlEES8_S8_S8_S8_S8_S8_S8_S8_EEEEPS9_S9_NSD_9__find_if7functorIS9_EEEE10hipError_tPvRmT1_T2_T3_mT4_P12ihipStream_tbEUlT_E0_NS1_11comp_targetILNS1_3genE8ELNS1_11target_archE1030ELNS1_3gpuE2ELNS1_3repE0EEENS1_30default_config_static_selectorELNS0_4arch9wavefront6targetE0EEEvS14_: ; @_ZN7rocprim17ROCPRIM_400000_NS6detail17trampoline_kernelINS0_14default_configENS1_22reduce_config_selectorIN6thrust23THRUST_200600_302600_NS5tupleIblNS6_9null_typeES8_S8_S8_S8_S8_S8_S8_EEEEZNS1_11reduce_implILb1ES3_NS6_12zip_iteratorINS7_INS6_11hip_rocprim26transform_input_iterator_tIbNSD_35transform_pair_of_input_iterators_tIbNS6_6detail15normal_iteratorINS6_10device_ptrIKyEEEESL_NS6_8equal_toIyEEEENSG_9not_fun_tINSD_8identityEEEEENSD_19counting_iterator_tIlEES8_S8_S8_S8_S8_S8_S8_S8_EEEEPS9_S9_NSD_9__find_if7functorIS9_EEEE10hipError_tPvRmT1_T2_T3_mT4_P12ihipStream_tbEUlT_E0_NS1_11comp_targetILNS1_3genE8ELNS1_11target_archE1030ELNS1_3gpuE2ELNS1_3repE0EEENS1_30default_config_static_selectorELNS0_4arch9wavefront6targetE0EEEvS14_
; %bb.0:
	.section	.rodata,"a",@progbits
	.p2align	6, 0x0
	.amdhsa_kernel _ZN7rocprim17ROCPRIM_400000_NS6detail17trampoline_kernelINS0_14default_configENS1_22reduce_config_selectorIN6thrust23THRUST_200600_302600_NS5tupleIblNS6_9null_typeES8_S8_S8_S8_S8_S8_S8_EEEEZNS1_11reduce_implILb1ES3_NS6_12zip_iteratorINS7_INS6_11hip_rocprim26transform_input_iterator_tIbNSD_35transform_pair_of_input_iterators_tIbNS6_6detail15normal_iteratorINS6_10device_ptrIKyEEEESL_NS6_8equal_toIyEEEENSG_9not_fun_tINSD_8identityEEEEENSD_19counting_iterator_tIlEES8_S8_S8_S8_S8_S8_S8_S8_EEEEPS9_S9_NSD_9__find_if7functorIS9_EEEE10hipError_tPvRmT1_T2_T3_mT4_P12ihipStream_tbEUlT_E0_NS1_11comp_targetILNS1_3genE8ELNS1_11target_archE1030ELNS1_3gpuE2ELNS1_3repE0EEENS1_30default_config_static_selectorELNS0_4arch9wavefront6targetE0EEEvS14_
		.amdhsa_group_segment_fixed_size 0
		.amdhsa_private_segment_fixed_size 0
		.amdhsa_kernarg_size 104
		.amdhsa_user_sgpr_count 2
		.amdhsa_user_sgpr_dispatch_ptr 0
		.amdhsa_user_sgpr_queue_ptr 0
		.amdhsa_user_sgpr_kernarg_segment_ptr 1
		.amdhsa_user_sgpr_dispatch_id 0
		.amdhsa_user_sgpr_kernarg_preload_length 0
		.amdhsa_user_sgpr_kernarg_preload_offset 0
		.amdhsa_user_sgpr_private_segment_size 0
		.amdhsa_wavefront_size32 1
		.amdhsa_uses_dynamic_stack 0
		.amdhsa_enable_private_segment 0
		.amdhsa_system_sgpr_workgroup_id_x 1
		.amdhsa_system_sgpr_workgroup_id_y 0
		.amdhsa_system_sgpr_workgroup_id_z 0
		.amdhsa_system_sgpr_workgroup_info 0
		.amdhsa_system_vgpr_workitem_id 0
		.amdhsa_next_free_vgpr 1
		.amdhsa_next_free_sgpr 1
		.amdhsa_named_barrier_count 0
		.amdhsa_reserve_vcc 0
		.amdhsa_float_round_mode_32 0
		.amdhsa_float_round_mode_16_64 0
		.amdhsa_float_denorm_mode_32 3
		.amdhsa_float_denorm_mode_16_64 3
		.amdhsa_fp16_overflow 0
		.amdhsa_memory_ordered 1
		.amdhsa_forward_progress 1
		.amdhsa_inst_pref_size 0
		.amdhsa_round_robin_scheduling 0
		.amdhsa_exception_fp_ieee_invalid_op 0
		.amdhsa_exception_fp_denorm_src 0
		.amdhsa_exception_fp_ieee_div_zero 0
		.amdhsa_exception_fp_ieee_overflow 0
		.amdhsa_exception_fp_ieee_underflow 0
		.amdhsa_exception_fp_ieee_inexact 0
		.amdhsa_exception_int_div_zero 0
	.end_amdhsa_kernel
	.section	.text._ZN7rocprim17ROCPRIM_400000_NS6detail17trampoline_kernelINS0_14default_configENS1_22reduce_config_selectorIN6thrust23THRUST_200600_302600_NS5tupleIblNS6_9null_typeES8_S8_S8_S8_S8_S8_S8_EEEEZNS1_11reduce_implILb1ES3_NS6_12zip_iteratorINS7_INS6_11hip_rocprim26transform_input_iterator_tIbNSD_35transform_pair_of_input_iterators_tIbNS6_6detail15normal_iteratorINS6_10device_ptrIKyEEEESL_NS6_8equal_toIyEEEENSG_9not_fun_tINSD_8identityEEEEENSD_19counting_iterator_tIlEES8_S8_S8_S8_S8_S8_S8_S8_EEEEPS9_S9_NSD_9__find_if7functorIS9_EEEE10hipError_tPvRmT1_T2_T3_mT4_P12ihipStream_tbEUlT_E0_NS1_11comp_targetILNS1_3genE8ELNS1_11target_archE1030ELNS1_3gpuE2ELNS1_3repE0EEENS1_30default_config_static_selectorELNS0_4arch9wavefront6targetE0EEEvS14_,"axG",@progbits,_ZN7rocprim17ROCPRIM_400000_NS6detail17trampoline_kernelINS0_14default_configENS1_22reduce_config_selectorIN6thrust23THRUST_200600_302600_NS5tupleIblNS6_9null_typeES8_S8_S8_S8_S8_S8_S8_EEEEZNS1_11reduce_implILb1ES3_NS6_12zip_iteratorINS7_INS6_11hip_rocprim26transform_input_iterator_tIbNSD_35transform_pair_of_input_iterators_tIbNS6_6detail15normal_iteratorINS6_10device_ptrIKyEEEESL_NS6_8equal_toIyEEEENSG_9not_fun_tINSD_8identityEEEEENSD_19counting_iterator_tIlEES8_S8_S8_S8_S8_S8_S8_S8_EEEEPS9_S9_NSD_9__find_if7functorIS9_EEEE10hipError_tPvRmT1_T2_T3_mT4_P12ihipStream_tbEUlT_E0_NS1_11comp_targetILNS1_3genE8ELNS1_11target_archE1030ELNS1_3gpuE2ELNS1_3repE0EEENS1_30default_config_static_selectorELNS0_4arch9wavefront6targetE0EEEvS14_,comdat
.Lfunc_end122:
	.size	_ZN7rocprim17ROCPRIM_400000_NS6detail17trampoline_kernelINS0_14default_configENS1_22reduce_config_selectorIN6thrust23THRUST_200600_302600_NS5tupleIblNS6_9null_typeES8_S8_S8_S8_S8_S8_S8_EEEEZNS1_11reduce_implILb1ES3_NS6_12zip_iteratorINS7_INS6_11hip_rocprim26transform_input_iterator_tIbNSD_35transform_pair_of_input_iterators_tIbNS6_6detail15normal_iteratorINS6_10device_ptrIKyEEEESL_NS6_8equal_toIyEEEENSG_9not_fun_tINSD_8identityEEEEENSD_19counting_iterator_tIlEES8_S8_S8_S8_S8_S8_S8_S8_EEEEPS9_S9_NSD_9__find_if7functorIS9_EEEE10hipError_tPvRmT1_T2_T3_mT4_P12ihipStream_tbEUlT_E0_NS1_11comp_targetILNS1_3genE8ELNS1_11target_archE1030ELNS1_3gpuE2ELNS1_3repE0EEENS1_30default_config_static_selectorELNS0_4arch9wavefront6targetE0EEEvS14_, .Lfunc_end122-_ZN7rocprim17ROCPRIM_400000_NS6detail17trampoline_kernelINS0_14default_configENS1_22reduce_config_selectorIN6thrust23THRUST_200600_302600_NS5tupleIblNS6_9null_typeES8_S8_S8_S8_S8_S8_S8_EEEEZNS1_11reduce_implILb1ES3_NS6_12zip_iteratorINS7_INS6_11hip_rocprim26transform_input_iterator_tIbNSD_35transform_pair_of_input_iterators_tIbNS6_6detail15normal_iteratorINS6_10device_ptrIKyEEEESL_NS6_8equal_toIyEEEENSG_9not_fun_tINSD_8identityEEEEENSD_19counting_iterator_tIlEES8_S8_S8_S8_S8_S8_S8_S8_EEEEPS9_S9_NSD_9__find_if7functorIS9_EEEE10hipError_tPvRmT1_T2_T3_mT4_P12ihipStream_tbEUlT_E0_NS1_11comp_targetILNS1_3genE8ELNS1_11target_archE1030ELNS1_3gpuE2ELNS1_3repE0EEENS1_30default_config_static_selectorELNS0_4arch9wavefront6targetE0EEEvS14_
                                        ; -- End function
	.set _ZN7rocprim17ROCPRIM_400000_NS6detail17trampoline_kernelINS0_14default_configENS1_22reduce_config_selectorIN6thrust23THRUST_200600_302600_NS5tupleIblNS6_9null_typeES8_S8_S8_S8_S8_S8_S8_EEEEZNS1_11reduce_implILb1ES3_NS6_12zip_iteratorINS7_INS6_11hip_rocprim26transform_input_iterator_tIbNSD_35transform_pair_of_input_iterators_tIbNS6_6detail15normal_iteratorINS6_10device_ptrIKyEEEESL_NS6_8equal_toIyEEEENSG_9not_fun_tINSD_8identityEEEEENSD_19counting_iterator_tIlEES8_S8_S8_S8_S8_S8_S8_S8_EEEEPS9_S9_NSD_9__find_if7functorIS9_EEEE10hipError_tPvRmT1_T2_T3_mT4_P12ihipStream_tbEUlT_E0_NS1_11comp_targetILNS1_3genE8ELNS1_11target_archE1030ELNS1_3gpuE2ELNS1_3repE0EEENS1_30default_config_static_selectorELNS0_4arch9wavefront6targetE0EEEvS14_.num_vgpr, 0
	.set _ZN7rocprim17ROCPRIM_400000_NS6detail17trampoline_kernelINS0_14default_configENS1_22reduce_config_selectorIN6thrust23THRUST_200600_302600_NS5tupleIblNS6_9null_typeES8_S8_S8_S8_S8_S8_S8_EEEEZNS1_11reduce_implILb1ES3_NS6_12zip_iteratorINS7_INS6_11hip_rocprim26transform_input_iterator_tIbNSD_35transform_pair_of_input_iterators_tIbNS6_6detail15normal_iteratorINS6_10device_ptrIKyEEEESL_NS6_8equal_toIyEEEENSG_9not_fun_tINSD_8identityEEEEENSD_19counting_iterator_tIlEES8_S8_S8_S8_S8_S8_S8_S8_EEEEPS9_S9_NSD_9__find_if7functorIS9_EEEE10hipError_tPvRmT1_T2_T3_mT4_P12ihipStream_tbEUlT_E0_NS1_11comp_targetILNS1_3genE8ELNS1_11target_archE1030ELNS1_3gpuE2ELNS1_3repE0EEENS1_30default_config_static_selectorELNS0_4arch9wavefront6targetE0EEEvS14_.num_agpr, 0
	.set _ZN7rocprim17ROCPRIM_400000_NS6detail17trampoline_kernelINS0_14default_configENS1_22reduce_config_selectorIN6thrust23THRUST_200600_302600_NS5tupleIblNS6_9null_typeES8_S8_S8_S8_S8_S8_S8_EEEEZNS1_11reduce_implILb1ES3_NS6_12zip_iteratorINS7_INS6_11hip_rocprim26transform_input_iterator_tIbNSD_35transform_pair_of_input_iterators_tIbNS6_6detail15normal_iteratorINS6_10device_ptrIKyEEEESL_NS6_8equal_toIyEEEENSG_9not_fun_tINSD_8identityEEEEENSD_19counting_iterator_tIlEES8_S8_S8_S8_S8_S8_S8_S8_EEEEPS9_S9_NSD_9__find_if7functorIS9_EEEE10hipError_tPvRmT1_T2_T3_mT4_P12ihipStream_tbEUlT_E0_NS1_11comp_targetILNS1_3genE8ELNS1_11target_archE1030ELNS1_3gpuE2ELNS1_3repE0EEENS1_30default_config_static_selectorELNS0_4arch9wavefront6targetE0EEEvS14_.numbered_sgpr, 0
	.set _ZN7rocprim17ROCPRIM_400000_NS6detail17trampoline_kernelINS0_14default_configENS1_22reduce_config_selectorIN6thrust23THRUST_200600_302600_NS5tupleIblNS6_9null_typeES8_S8_S8_S8_S8_S8_S8_EEEEZNS1_11reduce_implILb1ES3_NS6_12zip_iteratorINS7_INS6_11hip_rocprim26transform_input_iterator_tIbNSD_35transform_pair_of_input_iterators_tIbNS6_6detail15normal_iteratorINS6_10device_ptrIKyEEEESL_NS6_8equal_toIyEEEENSG_9not_fun_tINSD_8identityEEEEENSD_19counting_iterator_tIlEES8_S8_S8_S8_S8_S8_S8_S8_EEEEPS9_S9_NSD_9__find_if7functorIS9_EEEE10hipError_tPvRmT1_T2_T3_mT4_P12ihipStream_tbEUlT_E0_NS1_11comp_targetILNS1_3genE8ELNS1_11target_archE1030ELNS1_3gpuE2ELNS1_3repE0EEENS1_30default_config_static_selectorELNS0_4arch9wavefront6targetE0EEEvS14_.num_named_barrier, 0
	.set _ZN7rocprim17ROCPRIM_400000_NS6detail17trampoline_kernelINS0_14default_configENS1_22reduce_config_selectorIN6thrust23THRUST_200600_302600_NS5tupleIblNS6_9null_typeES8_S8_S8_S8_S8_S8_S8_EEEEZNS1_11reduce_implILb1ES3_NS6_12zip_iteratorINS7_INS6_11hip_rocprim26transform_input_iterator_tIbNSD_35transform_pair_of_input_iterators_tIbNS6_6detail15normal_iteratorINS6_10device_ptrIKyEEEESL_NS6_8equal_toIyEEEENSG_9not_fun_tINSD_8identityEEEEENSD_19counting_iterator_tIlEES8_S8_S8_S8_S8_S8_S8_S8_EEEEPS9_S9_NSD_9__find_if7functorIS9_EEEE10hipError_tPvRmT1_T2_T3_mT4_P12ihipStream_tbEUlT_E0_NS1_11comp_targetILNS1_3genE8ELNS1_11target_archE1030ELNS1_3gpuE2ELNS1_3repE0EEENS1_30default_config_static_selectorELNS0_4arch9wavefront6targetE0EEEvS14_.private_seg_size, 0
	.set _ZN7rocprim17ROCPRIM_400000_NS6detail17trampoline_kernelINS0_14default_configENS1_22reduce_config_selectorIN6thrust23THRUST_200600_302600_NS5tupleIblNS6_9null_typeES8_S8_S8_S8_S8_S8_S8_EEEEZNS1_11reduce_implILb1ES3_NS6_12zip_iteratorINS7_INS6_11hip_rocprim26transform_input_iterator_tIbNSD_35transform_pair_of_input_iterators_tIbNS6_6detail15normal_iteratorINS6_10device_ptrIKyEEEESL_NS6_8equal_toIyEEEENSG_9not_fun_tINSD_8identityEEEEENSD_19counting_iterator_tIlEES8_S8_S8_S8_S8_S8_S8_S8_EEEEPS9_S9_NSD_9__find_if7functorIS9_EEEE10hipError_tPvRmT1_T2_T3_mT4_P12ihipStream_tbEUlT_E0_NS1_11comp_targetILNS1_3genE8ELNS1_11target_archE1030ELNS1_3gpuE2ELNS1_3repE0EEENS1_30default_config_static_selectorELNS0_4arch9wavefront6targetE0EEEvS14_.uses_vcc, 0
	.set _ZN7rocprim17ROCPRIM_400000_NS6detail17trampoline_kernelINS0_14default_configENS1_22reduce_config_selectorIN6thrust23THRUST_200600_302600_NS5tupleIblNS6_9null_typeES8_S8_S8_S8_S8_S8_S8_EEEEZNS1_11reduce_implILb1ES3_NS6_12zip_iteratorINS7_INS6_11hip_rocprim26transform_input_iterator_tIbNSD_35transform_pair_of_input_iterators_tIbNS6_6detail15normal_iteratorINS6_10device_ptrIKyEEEESL_NS6_8equal_toIyEEEENSG_9not_fun_tINSD_8identityEEEEENSD_19counting_iterator_tIlEES8_S8_S8_S8_S8_S8_S8_S8_EEEEPS9_S9_NSD_9__find_if7functorIS9_EEEE10hipError_tPvRmT1_T2_T3_mT4_P12ihipStream_tbEUlT_E0_NS1_11comp_targetILNS1_3genE8ELNS1_11target_archE1030ELNS1_3gpuE2ELNS1_3repE0EEENS1_30default_config_static_selectorELNS0_4arch9wavefront6targetE0EEEvS14_.uses_flat_scratch, 0
	.set _ZN7rocprim17ROCPRIM_400000_NS6detail17trampoline_kernelINS0_14default_configENS1_22reduce_config_selectorIN6thrust23THRUST_200600_302600_NS5tupleIblNS6_9null_typeES8_S8_S8_S8_S8_S8_S8_EEEEZNS1_11reduce_implILb1ES3_NS6_12zip_iteratorINS7_INS6_11hip_rocprim26transform_input_iterator_tIbNSD_35transform_pair_of_input_iterators_tIbNS6_6detail15normal_iteratorINS6_10device_ptrIKyEEEESL_NS6_8equal_toIyEEEENSG_9not_fun_tINSD_8identityEEEEENSD_19counting_iterator_tIlEES8_S8_S8_S8_S8_S8_S8_S8_EEEEPS9_S9_NSD_9__find_if7functorIS9_EEEE10hipError_tPvRmT1_T2_T3_mT4_P12ihipStream_tbEUlT_E0_NS1_11comp_targetILNS1_3genE8ELNS1_11target_archE1030ELNS1_3gpuE2ELNS1_3repE0EEENS1_30default_config_static_selectorELNS0_4arch9wavefront6targetE0EEEvS14_.has_dyn_sized_stack, 0
	.set _ZN7rocprim17ROCPRIM_400000_NS6detail17trampoline_kernelINS0_14default_configENS1_22reduce_config_selectorIN6thrust23THRUST_200600_302600_NS5tupleIblNS6_9null_typeES8_S8_S8_S8_S8_S8_S8_EEEEZNS1_11reduce_implILb1ES3_NS6_12zip_iteratorINS7_INS6_11hip_rocprim26transform_input_iterator_tIbNSD_35transform_pair_of_input_iterators_tIbNS6_6detail15normal_iteratorINS6_10device_ptrIKyEEEESL_NS6_8equal_toIyEEEENSG_9not_fun_tINSD_8identityEEEEENSD_19counting_iterator_tIlEES8_S8_S8_S8_S8_S8_S8_S8_EEEEPS9_S9_NSD_9__find_if7functorIS9_EEEE10hipError_tPvRmT1_T2_T3_mT4_P12ihipStream_tbEUlT_E0_NS1_11comp_targetILNS1_3genE8ELNS1_11target_archE1030ELNS1_3gpuE2ELNS1_3repE0EEENS1_30default_config_static_selectorELNS0_4arch9wavefront6targetE0EEEvS14_.has_recursion, 0
	.set _ZN7rocprim17ROCPRIM_400000_NS6detail17trampoline_kernelINS0_14default_configENS1_22reduce_config_selectorIN6thrust23THRUST_200600_302600_NS5tupleIblNS6_9null_typeES8_S8_S8_S8_S8_S8_S8_EEEEZNS1_11reduce_implILb1ES3_NS6_12zip_iteratorINS7_INS6_11hip_rocprim26transform_input_iterator_tIbNSD_35transform_pair_of_input_iterators_tIbNS6_6detail15normal_iteratorINS6_10device_ptrIKyEEEESL_NS6_8equal_toIyEEEENSG_9not_fun_tINSD_8identityEEEEENSD_19counting_iterator_tIlEES8_S8_S8_S8_S8_S8_S8_S8_EEEEPS9_S9_NSD_9__find_if7functorIS9_EEEE10hipError_tPvRmT1_T2_T3_mT4_P12ihipStream_tbEUlT_E0_NS1_11comp_targetILNS1_3genE8ELNS1_11target_archE1030ELNS1_3gpuE2ELNS1_3repE0EEENS1_30default_config_static_selectorELNS0_4arch9wavefront6targetE0EEEvS14_.has_indirect_call, 0
	.section	.AMDGPU.csdata,"",@progbits
; Kernel info:
; codeLenInByte = 0
; TotalNumSgprs: 0
; NumVgprs: 0
; ScratchSize: 0
; MemoryBound: 0
; FloatMode: 240
; IeeeMode: 1
; LDSByteSize: 0 bytes/workgroup (compile time only)
; SGPRBlocks: 0
; VGPRBlocks: 0
; NumSGPRsForWavesPerEU: 1
; NumVGPRsForWavesPerEU: 1
; NamedBarCnt: 0
; Occupancy: 16
; WaveLimiterHint : 0
; COMPUTE_PGM_RSRC2:SCRATCH_EN: 0
; COMPUTE_PGM_RSRC2:USER_SGPR: 2
; COMPUTE_PGM_RSRC2:TRAP_HANDLER: 0
; COMPUTE_PGM_RSRC2:TGID_X_EN: 1
; COMPUTE_PGM_RSRC2:TGID_Y_EN: 0
; COMPUTE_PGM_RSRC2:TGID_Z_EN: 0
; COMPUTE_PGM_RSRC2:TIDIG_COMP_CNT: 0
	.section	.text._ZN7rocprim17ROCPRIM_400000_NS6detail17trampoline_kernelINS0_14default_configENS1_22reduce_config_selectorIN6thrust23THRUST_200600_302600_NS5tupleIblNS6_9null_typeES8_S8_S8_S8_S8_S8_S8_EEEEZNS1_11reduce_implILb1ES3_NS6_12zip_iteratorINS7_INS6_11hip_rocprim26transform_input_iterator_tIbNSD_35transform_pair_of_input_iterators_tIbNS6_6detail15normal_iteratorINS6_10device_ptrIKyEEEESL_NS6_8equal_toIyEEEENSG_9not_fun_tINSD_8identityEEEEENSD_19counting_iterator_tIlEES8_S8_S8_S8_S8_S8_S8_S8_EEEEPS9_S9_NSD_9__find_if7functorIS9_EEEE10hipError_tPvRmT1_T2_T3_mT4_P12ihipStream_tbEUlT_E1_NS1_11comp_targetILNS1_3genE0ELNS1_11target_archE4294967295ELNS1_3gpuE0ELNS1_3repE0EEENS1_30default_config_static_selectorELNS0_4arch9wavefront6targetE0EEEvS14_,"axG",@progbits,_ZN7rocprim17ROCPRIM_400000_NS6detail17trampoline_kernelINS0_14default_configENS1_22reduce_config_selectorIN6thrust23THRUST_200600_302600_NS5tupleIblNS6_9null_typeES8_S8_S8_S8_S8_S8_S8_EEEEZNS1_11reduce_implILb1ES3_NS6_12zip_iteratorINS7_INS6_11hip_rocprim26transform_input_iterator_tIbNSD_35transform_pair_of_input_iterators_tIbNS6_6detail15normal_iteratorINS6_10device_ptrIKyEEEESL_NS6_8equal_toIyEEEENSG_9not_fun_tINSD_8identityEEEEENSD_19counting_iterator_tIlEES8_S8_S8_S8_S8_S8_S8_S8_EEEEPS9_S9_NSD_9__find_if7functorIS9_EEEE10hipError_tPvRmT1_T2_T3_mT4_P12ihipStream_tbEUlT_E1_NS1_11comp_targetILNS1_3genE0ELNS1_11target_archE4294967295ELNS1_3gpuE0ELNS1_3repE0EEENS1_30default_config_static_selectorELNS0_4arch9wavefront6targetE0EEEvS14_,comdat
	.protected	_ZN7rocprim17ROCPRIM_400000_NS6detail17trampoline_kernelINS0_14default_configENS1_22reduce_config_selectorIN6thrust23THRUST_200600_302600_NS5tupleIblNS6_9null_typeES8_S8_S8_S8_S8_S8_S8_EEEEZNS1_11reduce_implILb1ES3_NS6_12zip_iteratorINS7_INS6_11hip_rocprim26transform_input_iterator_tIbNSD_35transform_pair_of_input_iterators_tIbNS6_6detail15normal_iteratorINS6_10device_ptrIKyEEEESL_NS6_8equal_toIyEEEENSG_9not_fun_tINSD_8identityEEEEENSD_19counting_iterator_tIlEES8_S8_S8_S8_S8_S8_S8_S8_EEEEPS9_S9_NSD_9__find_if7functorIS9_EEEE10hipError_tPvRmT1_T2_T3_mT4_P12ihipStream_tbEUlT_E1_NS1_11comp_targetILNS1_3genE0ELNS1_11target_archE4294967295ELNS1_3gpuE0ELNS1_3repE0EEENS1_30default_config_static_selectorELNS0_4arch9wavefront6targetE0EEEvS14_ ; -- Begin function _ZN7rocprim17ROCPRIM_400000_NS6detail17trampoline_kernelINS0_14default_configENS1_22reduce_config_selectorIN6thrust23THRUST_200600_302600_NS5tupleIblNS6_9null_typeES8_S8_S8_S8_S8_S8_S8_EEEEZNS1_11reduce_implILb1ES3_NS6_12zip_iteratorINS7_INS6_11hip_rocprim26transform_input_iterator_tIbNSD_35transform_pair_of_input_iterators_tIbNS6_6detail15normal_iteratorINS6_10device_ptrIKyEEEESL_NS6_8equal_toIyEEEENSG_9not_fun_tINSD_8identityEEEEENSD_19counting_iterator_tIlEES8_S8_S8_S8_S8_S8_S8_S8_EEEEPS9_S9_NSD_9__find_if7functorIS9_EEEE10hipError_tPvRmT1_T2_T3_mT4_P12ihipStream_tbEUlT_E1_NS1_11comp_targetILNS1_3genE0ELNS1_11target_archE4294967295ELNS1_3gpuE0ELNS1_3repE0EEENS1_30default_config_static_selectorELNS0_4arch9wavefront6targetE0EEEvS14_
	.globl	_ZN7rocprim17ROCPRIM_400000_NS6detail17trampoline_kernelINS0_14default_configENS1_22reduce_config_selectorIN6thrust23THRUST_200600_302600_NS5tupleIblNS6_9null_typeES8_S8_S8_S8_S8_S8_S8_EEEEZNS1_11reduce_implILb1ES3_NS6_12zip_iteratorINS7_INS6_11hip_rocprim26transform_input_iterator_tIbNSD_35transform_pair_of_input_iterators_tIbNS6_6detail15normal_iteratorINS6_10device_ptrIKyEEEESL_NS6_8equal_toIyEEEENSG_9not_fun_tINSD_8identityEEEEENSD_19counting_iterator_tIlEES8_S8_S8_S8_S8_S8_S8_S8_EEEEPS9_S9_NSD_9__find_if7functorIS9_EEEE10hipError_tPvRmT1_T2_T3_mT4_P12ihipStream_tbEUlT_E1_NS1_11comp_targetILNS1_3genE0ELNS1_11target_archE4294967295ELNS1_3gpuE0ELNS1_3repE0EEENS1_30default_config_static_selectorELNS0_4arch9wavefront6targetE0EEEvS14_
	.p2align	8
	.type	_ZN7rocprim17ROCPRIM_400000_NS6detail17trampoline_kernelINS0_14default_configENS1_22reduce_config_selectorIN6thrust23THRUST_200600_302600_NS5tupleIblNS6_9null_typeES8_S8_S8_S8_S8_S8_S8_EEEEZNS1_11reduce_implILb1ES3_NS6_12zip_iteratorINS7_INS6_11hip_rocprim26transform_input_iterator_tIbNSD_35transform_pair_of_input_iterators_tIbNS6_6detail15normal_iteratorINS6_10device_ptrIKyEEEESL_NS6_8equal_toIyEEEENSG_9not_fun_tINSD_8identityEEEEENSD_19counting_iterator_tIlEES8_S8_S8_S8_S8_S8_S8_S8_EEEEPS9_S9_NSD_9__find_if7functorIS9_EEEE10hipError_tPvRmT1_T2_T3_mT4_P12ihipStream_tbEUlT_E1_NS1_11comp_targetILNS1_3genE0ELNS1_11target_archE4294967295ELNS1_3gpuE0ELNS1_3repE0EEENS1_30default_config_static_selectorELNS0_4arch9wavefront6targetE0EEEvS14_,@function
_ZN7rocprim17ROCPRIM_400000_NS6detail17trampoline_kernelINS0_14default_configENS1_22reduce_config_selectorIN6thrust23THRUST_200600_302600_NS5tupleIblNS6_9null_typeES8_S8_S8_S8_S8_S8_S8_EEEEZNS1_11reduce_implILb1ES3_NS6_12zip_iteratorINS7_INS6_11hip_rocprim26transform_input_iterator_tIbNSD_35transform_pair_of_input_iterators_tIbNS6_6detail15normal_iteratorINS6_10device_ptrIKyEEEESL_NS6_8equal_toIyEEEENSG_9not_fun_tINSD_8identityEEEEENSD_19counting_iterator_tIlEES8_S8_S8_S8_S8_S8_S8_S8_EEEEPS9_S9_NSD_9__find_if7functorIS9_EEEE10hipError_tPvRmT1_T2_T3_mT4_P12ihipStream_tbEUlT_E1_NS1_11comp_targetILNS1_3genE0ELNS1_11target_archE4294967295ELNS1_3gpuE0ELNS1_3repE0EEENS1_30default_config_static_selectorELNS0_4arch9wavefront6targetE0EEEvS14_: ; @_ZN7rocprim17ROCPRIM_400000_NS6detail17trampoline_kernelINS0_14default_configENS1_22reduce_config_selectorIN6thrust23THRUST_200600_302600_NS5tupleIblNS6_9null_typeES8_S8_S8_S8_S8_S8_S8_EEEEZNS1_11reduce_implILb1ES3_NS6_12zip_iteratorINS7_INS6_11hip_rocprim26transform_input_iterator_tIbNSD_35transform_pair_of_input_iterators_tIbNS6_6detail15normal_iteratorINS6_10device_ptrIKyEEEESL_NS6_8equal_toIyEEEENSG_9not_fun_tINSD_8identityEEEEENSD_19counting_iterator_tIlEES8_S8_S8_S8_S8_S8_S8_S8_EEEEPS9_S9_NSD_9__find_if7functorIS9_EEEE10hipError_tPvRmT1_T2_T3_mT4_P12ihipStream_tbEUlT_E1_NS1_11comp_targetILNS1_3genE0ELNS1_11target_archE4294967295ELNS1_3gpuE0ELNS1_3repE0EEENS1_30default_config_static_selectorELNS0_4arch9wavefront6targetE0EEEvS14_
; %bb.0:
	s_clause 0x2
	s_load_b32 s24, s[0:1], 0x4
	s_load_b128 s[16:19], s[0:1], 0x8
	s_load_b128 s[12:15], s[0:1], 0x28
	s_wait_kmcnt 0x0
	s_cmp_lt_i32 s24, 4
	s_cbranch_scc1 .LBB123_14
; %bb.1:
	s_cmp_gt_i32 s24, 7
	s_cbranch_scc0 .LBB123_15
; %bb.2:
	s_cmp_eq_u32 s24, 8
	s_mov_b32 s25, 0
	s_cbranch_scc0 .LBB123_16
; %bb.3:
	s_bfe_u32 s2, ttmp6, 0x4000c
	s_and_b32 s3, ttmp6, 15
	s_add_co_i32 s2, s2, 1
	s_getreg_b32 s4, hwreg(HW_REG_IB_STS2, 6, 4)
	s_mul_i32 s2, ttmp9, s2
	s_mov_b32 s11, 0
	s_add_co_i32 s3, s3, s2
	s_cmp_eq_u32 s4, 0
	s_mov_b32 s7, s11
	s_cselect_b32 s10, ttmp9, s3
	s_lshr_b64 s[2:3], s[14:15], 10
	s_lshl_b32 s6, s10, 10
	s_delay_alu instid0(SALU_CYCLE_1)
	s_lshl_b64 s[4:5], s[6:7], 3
	s_cmp_lg_u64 s[2:3], s[10:11]
	s_add_nc_u64 s[8:9], s[16:17], s[4:5]
	s_add_nc_u64 s[22:23], s[18:19], s[4:5]
	s_add_nc_u64 s[20:21], s[12:13], s[6:7]
	s_cbranch_scc0 .LBB123_29
; %bb.4:
	s_clause 0xf
	global_load_b64 v[2:3], v0, s[22:23] scale_offset
	global_load_b64 v[4:5], v0, s[22:23] offset:1024 scale_offset
	global_load_b64 v[6:7], v0, s[22:23] offset:2048 scale_offset
	;; [unrolled: 1-line block ×3, first 2 shown]
	global_load_b64 v[10:11], v0, s[8:9] scale_offset
	global_load_b64 v[12:13], v0, s[8:9] offset:2048 scale_offset
	global_load_b64 v[14:15], v0, s[8:9] offset:3072 scale_offset
	;; [unrolled: 1-line block ×11, first 2 shown]
	v_dual_mov_b32 v34, 0x80 :: v_dual_mov_b32 v1, 0
	v_mov_b32_e32 v35, 0x180
	s_wait_loadcnt 0xc
	v_cmp_ne_u64_e32 vcc_lo, v[8:9], v[4:5]
	s_wait_loadcnt 0xb
	v_cmp_ne_u64_e64 s2, v[10:11], v[2:3]
	s_wait_loadcnt 0xa
	v_cmp_ne_u64_e64 s3, v[12:13], v[6:7]
	v_dual_mov_b32 v2, 0x280 :: v_dual_mov_b32 v5, v1
	s_wait_loadcnt 0x7
	v_cmp_ne_u64_e64 s4, v[16:17], v[18:19]
	s_wait_loadcnt 0x6
	v_cmp_ne_u64_e64 s5, v[14:15], v[20:21]
	v_cndmask_b32_e32 v4, 0x100, v34, vcc_lo
	s_delay_alu instid0(VALU_DEP_1)
	v_cndmask_b32_e64 v4, v4, 0, s2
	s_or_b32 s2, s2, vcc_lo
	s_wait_loadcnt 0x4
	v_cmp_ne_u64_e32 vcc_lo, v[22:23], v[24:25]
	v_cndmask_b32_e64 v3, 0x200, v35, s5
	s_or_b32 s2, s2, s3
	s_wait_loadcnt 0x2
	v_cmp_ne_u64_e64 s3, v[28:29], v[26:27]
	s_delay_alu instid0(VALU_DEP_2) | instskip(SKIP_2) | instid1(SALU_CYCLE_1)
	v_cndmask_b32_e64 v3, v3, v4, s2
	v_cndmask_b32_e32 v2, 0x300, v2, vcc_lo
	s_or_b32 s2, s2, s5
	s_or_b32 s2, s2, s4
	s_delay_alu instid0(VALU_DEP_1) | instid1(SALU_CYCLE_1)
	v_cndmask_b32_e64 v4, v2, v3, s2
	s_or_b32 s2, s2, vcc_lo
	v_add_nc_u64_e32 v[2:3], s[20:21], v[0:1]
	s_or_b32 vcc_lo, s2, s3
	s_wait_loadcnt 0x0
	v_cmp_ne_u64_e64 s2, v[30:31], v[32:33]
	v_cndmask_b32_e32 v4, 0x380, v4, vcc_lo
	s_delay_alu instid0(VALU_DEP_1) | instskip(SKIP_3) | instid1(VALU_DEP_2)
	v_add_nc_u64_e32 v[2:3], v[2:3], v[4:5]
	s_or_b32 vcc_lo, vcc_lo, s2
	s_mov_b32 s2, exec_lo
	v_cndmask_b32_e64 v8, 0, 1, vcc_lo
	v_mov_b32_dpp v4, v2 quad_perm:[1,0,3,2] row_mask:0xf bank_mask:0xf
	s_delay_alu instid0(VALU_DEP_3) | instskip(NEXT) | instid1(VALU_DEP_3)
	v_mov_b32_dpp v5, v3 quad_perm:[1,0,3,2] row_mask:0xf bank_mask:0xf
	v_mov_b32_dpp v9, v8 quad_perm:[1,0,3,2] row_mask:0xf bank_mask:0xf
	s_delay_alu instid0(VALU_DEP_2) | instskip(NEXT) | instid1(VALU_DEP_1)
	v_min_i64 v[6:7], v[2:3], v[4:5]
	v_dual_cndmask_b32 v4, v4, v6, vcc_lo :: v_dual_bitop2_b32 v9, 1, v9 bitop3:0x40
	s_delay_alu instid0(VALU_DEP_2) | instskip(NEXT) | instid1(VALU_DEP_2)
	v_cndmask_b32_e32 v5, v5, v7, vcc_lo
	v_cmp_eq_u32_e32 vcc_lo, 1, v9
	v_cndmask_b32_e64 v8, v8, 1, vcc_lo
	s_delay_alu instid0(VALU_DEP_1) | instskip(SKIP_2) | instid1(VALU_DEP_3)
	v_dual_cndmask_b32 v3, v3, v5, vcc_lo :: v_dual_bitop2_b32 v9, 1, v8 bitop3:0x40
	v_mov_b32_dpp v10, v8 quad_perm:[2,3,0,1] row_mask:0xf bank_mask:0xf
	v_cndmask_b32_e32 v2, v2, v4, vcc_lo
	v_mov_b32_dpp v5, v3 quad_perm:[2,3,0,1] row_mask:0xf bank_mask:0xf
	s_delay_alu instid0(VALU_DEP_4) | instskip(NEXT) | instid1(VALU_DEP_4)
	v_cmp_eq_u32_e32 vcc_lo, 1, v9
	v_and_b32_e32 v9, 1, v10
	s_delay_alu instid0(VALU_DEP_4) | instskip(NEXT) | instid1(VALU_DEP_1)
	v_mov_b32_dpp v4, v2 quad_perm:[2,3,0,1] row_mask:0xf bank_mask:0xf
	v_min_i64 v[6:7], v[2:3], v[4:5]
	s_delay_alu instid0(VALU_DEP_1) | instskip(NEXT) | instid1(VALU_DEP_4)
	v_dual_cndmask_b32 v4, v4, v6 :: v_dual_cndmask_b32 v5, v5, v7
	v_cmp_eq_u32_e32 vcc_lo, 1, v9
	s_delay_alu instid0(VALU_DEP_2) | instskip(SKIP_1) | instid1(VALU_DEP_4)
	v_cndmask_b32_e32 v2, v2, v4, vcc_lo
	v_cndmask_b32_e64 v8, v8, 1, vcc_lo
	v_cndmask_b32_e32 v3, v3, v5, vcc_lo
	s_delay_alu instid0(VALU_DEP_3) | instskip(NEXT) | instid1(VALU_DEP_3)
	v_mov_b32_dpp v4, v2 row_ror:4 row_mask:0xf bank_mask:0xf
	v_and_b32_e32 v9, 1, v8
	s_delay_alu instid0(VALU_DEP_3) | instskip(SKIP_1) | instid1(VALU_DEP_3)
	v_mov_b32_dpp v5, v3 row_ror:4 row_mask:0xf bank_mask:0xf
	v_mov_b32_dpp v10, v8 row_ror:4 row_mask:0xf bank_mask:0xf
	v_cmp_eq_u32_e32 vcc_lo, 1, v9
	s_delay_alu instid0(VALU_DEP_3) | instskip(NEXT) | instid1(VALU_DEP_1)
	v_min_i64 v[6:7], v[2:3], v[4:5]
	v_dual_cndmask_b32 v5, v5, v7, vcc_lo :: v_dual_bitop2_b32 v9, 1, v10 bitop3:0x40
	s_delay_alu instid0(VALU_DEP_2) | instskip(NEXT) | instid1(VALU_DEP_2)
	v_cndmask_b32_e32 v4, v4, v6, vcc_lo
	v_cmp_eq_u32_e32 vcc_lo, 1, v9
	v_cndmask_b32_e64 v8, v8, 1, vcc_lo
	s_delay_alu instid0(VALU_DEP_1) | instskip(SKIP_2) | instid1(VALU_DEP_3)
	v_dual_cndmask_b32 v3, v3, v5, vcc_lo :: v_dual_bitop2_b32 v9, 1, v8 bitop3:0x40
	v_mov_b32_dpp v10, v8 row_ror:8 row_mask:0xf bank_mask:0xf
	v_cndmask_b32_e32 v2, v2, v4, vcc_lo
	v_mov_b32_dpp v5, v3 row_ror:8 row_mask:0xf bank_mask:0xf
	s_delay_alu instid0(VALU_DEP_4) | instskip(NEXT) | instid1(VALU_DEP_4)
	v_cmp_eq_u32_e32 vcc_lo, 1, v9
	v_and_b32_e32 v9, 1, v10
	s_delay_alu instid0(VALU_DEP_4) | instskip(NEXT) | instid1(VALU_DEP_1)
	v_mov_b32_dpp v4, v2 row_ror:8 row_mask:0xf bank_mask:0xf
	v_min_i64 v[6:7], v[2:3], v[4:5]
	s_delay_alu instid0(VALU_DEP_1) | instskip(NEXT) | instid1(VALU_DEP_4)
	v_dual_cndmask_b32 v4, v4, v6 :: v_dual_cndmask_b32 v5, v5, v7
	v_cmp_eq_u32_e32 vcc_lo, 1, v9
	s_delay_alu instid0(VALU_DEP_2) | instskip(SKIP_1) | instid1(VALU_DEP_4)
	v_cndmask_b32_e32 v2, v2, v4, vcc_lo
	v_cndmask_b32_e64 v8, v8, 1, vcc_lo
	v_cndmask_b32_e32 v3, v3, v5, vcc_lo
	ds_swizzle_b32 v4, v2 offset:swizzle(BROADCAST,32,15)
	v_and_b32_e32 v10, 1, v8
	ds_swizzle_b32 v5, v3 offset:swizzle(BROADCAST,32,15)
	ds_swizzle_b32 v9, v8 offset:swizzle(BROADCAST,32,15)
	v_cmp_eq_u32_e32 vcc_lo, 1, v10
	s_wait_dscnt 0x1
	v_min_i64 v[6:7], v[2:3], v[4:5]
	s_wait_dscnt 0x0
	s_delay_alu instid0(VALU_DEP_1) | instskip(NEXT) | instid1(VALU_DEP_2)
	v_dual_cndmask_b32 v4, v4, v6, vcc_lo :: v_dual_bitop2_b32 v9, 1, v9 bitop3:0x40
	v_cndmask_b32_e32 v5, v5, v7, vcc_lo
	s_delay_alu instid0(VALU_DEP_2) | instskip(NEXT) | instid1(VALU_DEP_2)
	v_cmp_eq_u32_e32 vcc_lo, 1, v9
	v_dual_cndmask_b32 v2, v2, v4 :: v_dual_cndmask_b32 v3, v3, v5
	v_cndmask_b32_e64 v5, v8, 1, vcc_lo
	ds_bpermute_b32 v2, v1, v2 offset:124
	ds_bpermute_b32 v3, v1, v3 offset:124
	ds_bpermute_b32 v20, v1, v5 offset:124
	v_mbcnt_lo_u32_b32 v1, -1, 0
	s_delay_alu instid0(VALU_DEP_1)
	v_cmpx_eq_u32_e32 0, v1
	s_cbranch_execz .LBB123_6
; %bb.5:
	v_lshrrev_b32_e32 v4, 1, v0
	s_delay_alu instid0(VALU_DEP_1)
	v_and_b32_e32 v4, 48, v4
	s_wait_dscnt 0x0
	ds_store_b8 v4, v20 offset:192
	ds_store_b64 v4, v[2:3] offset:200
.LBB123_6:
	s_or_b32 exec_lo, exec_lo, s2
	s_delay_alu instid0(SALU_CYCLE_1)
	s_mov_b32 s2, exec_lo
	s_wait_dscnt 0x0
	s_barrier_signal -1
	s_barrier_wait -1
	v_cmpx_gt_u32_e32 32, v0
	s_cbranch_execz .LBB123_12
; %bb.7:
	v_and_b32_e32 v2, 3, v1
	s_delay_alu instid0(VALU_DEP_1) | instskip(SKIP_2) | instid1(VALU_DEP_1)
	v_cmp_ne_u32_e32 vcc_lo, 3, v2
	v_lshlrev_b32_e32 v3, 4, v2
	v_add_co_ci_u32_e64 v2, null, 0, v1, vcc_lo
	v_lshlrev_b32_e32 v2, 2, v2
	ds_load_u8 v8, v3 offset:192
	ds_load_b64 v[4:5], v3 offset:200
	s_wait_dscnt 0x1
	v_and_b32_e32 v3, 0xff, v8
	s_wait_dscnt 0x0
	ds_bpermute_b32 v6, v2, v4
	ds_bpermute_b32 v7, v2, v5
	;; [unrolled: 1-line block ×3, first 2 shown]
	s_wait_dscnt 0x0
	v_and_b32_e32 v2, v8, v9
	s_delay_alu instid0(VALU_DEP_1) | instskip(NEXT) | instid1(VALU_DEP_1)
	v_and_b32_e32 v2, 1, v2
	v_cmp_eq_u32_e32 vcc_lo, 1, v2
                                        ; implicit-def: $vgpr2_vgpr3
	s_and_saveexec_b32 s3, vcc_lo
	s_delay_alu instid0(SALU_CYCLE_1)
	s_xor_b32 s3, exec_lo, s3
; %bb.8:
	v_min_i64 v[2:3], v[6:7], v[4:5]
                                        ; implicit-def: $vgpr8
                                        ; implicit-def: $vgpr6_vgpr7
                                        ; implicit-def: $vgpr4_vgpr5
                                        ; implicit-def: $vgpr9
; %bb.9:
	s_or_saveexec_b32 s3, s3
	v_dual_mov_b32 v10, 1 :: v_dual_lshlrev_b32 v1, 2, v1
	s_xor_b32 exec_lo, exec_lo, s3
; %bb.10:
	v_and_b32_e32 v2, 1, v8
	v_and_b32_e32 v8, 0xff, v9
	s_delay_alu instid0(VALU_DEP_2) | instskip(SKIP_1) | instid1(VALU_DEP_3)
	v_cmp_eq_u32_e32 vcc_lo, 1, v2
	v_dual_cndmask_b32 v3, v7, v5 :: v_dual_cndmask_b32 v2, v6, v4
	v_cndmask_b32_e64 v10, v8, 1, vcc_lo
; %bb.11:
	s_or_b32 exec_lo, exec_lo, s3
	s_delay_alu instid0(VALU_DEP_1) | instskip(NEXT) | instid1(VALU_DEP_1)
	v_and_b32_e32 v8, 1, v10
	v_cmp_eq_u32_e32 vcc_lo, 1, v8
	v_or_b32_e32 v1, 8, v1
	ds_bpermute_b32 v4, v1, v2
	ds_bpermute_b32 v5, v1, v3
	s_wait_dscnt 0x0
	v_min_i64 v[6:7], v[4:5], v[2:3]
	v_cndmask_b32_e32 v2, v4, v2, vcc_lo
	ds_bpermute_b32 v1, v1, v10
	v_cndmask_b32_e32 v3, v5, v3, vcc_lo
	s_wait_dscnt 0x0
	v_bitop3_b32 v8, v10, 1, v1 bitop3:0x80
	v_cndmask_b32_e64 v1, v1, 1, vcc_lo
	s_delay_alu instid0(VALU_DEP_2) | instskip(NEXT) | instid1(VALU_DEP_2)
	v_cmp_eq_u32_e32 vcc_lo, 0, v8
	v_dual_cndmask_b32 v20, 1, v1 :: v_dual_cndmask_b32 v3, v7, v3
	v_cndmask_b32_e32 v2, v6, v2, vcc_lo
.LBB123_12:
	s_or_b32 exec_lo, exec_lo, s2
.LBB123_13:
	v_cmp_eq_u32_e64 s2, 0, v0
	s_and_b32 vcc_lo, exec_lo, s25
	s_cbranch_vccnz .LBB123_17
	s_branch .LBB123_118
.LBB123_14:
	s_mov_b32 s2, 0
                                        ; implicit-def: $sgpr10_sgpr11
                                        ; implicit-def: $vgpr2_vgpr3
                                        ; implicit-def: $vgpr20
	s_cbranch_execnz .LBB123_155
	s_branch .LBB123_211
.LBB123_15:
	s_mov_b32 s25, -1
.LBB123_16:
	s_mov_b32 s2, 0
                                        ; implicit-def: $sgpr10_sgpr11
                                        ; implicit-def: $vgpr2_vgpr3
                                        ; implicit-def: $vgpr20
	s_and_b32 vcc_lo, exec_lo, s25
	s_cbranch_vccz .LBB123_118
.LBB123_17:
	s_cmp_eq_u32 s24, 4
	s_cbranch_scc0 .LBB123_28
; %bb.18:
	s_bfe_u32 s2, ttmp6, 0x4000c
	s_and_b32 s3, ttmp6, 15
	s_add_co_i32 s2, s2, 1
	s_getreg_b32 s4, hwreg(HW_REG_IB_STS2, 6, 4)
	s_mul_i32 s2, ttmp9, s2
	s_mov_b32 s11, 0
	s_add_co_i32 s3, s3, s2
	s_cmp_eq_u32 s4, 0
	s_mov_b32 s21, s11
	s_cselect_b32 s10, ttmp9, s3
	s_lshr_b64 s[2:3], s[14:15], 9
	s_lshl_b32 s20, s10, 9
	s_delay_alu instid0(SALU_CYCLE_1)
	s_lshl_b64 s[4:5], s[20:21], 3
	s_cmp_lg_u64 s[2:3], s[10:11]
	s_add_nc_u64 s[6:7], s[16:17], s[4:5]
	s_add_nc_u64 s[8:9], s[18:19], s[4:5]
	s_add_nc_u64 s[4:5], s[12:13], s[20:21]
	s_cbranch_scc0 .LBB123_52
; %bb.19:
	global_load_b64 v[2:3], v0, s[8:9] offset:1024 scale_offset
	s_wait_dscnt 0x0
	s_clause 0x6
	global_load_b64 v[4:5], v0, s[6:7] offset:1024 scale_offset
	global_load_b64 v[6:7], v0, s[6:7] scale_offset
	global_load_b64 v[8:9], v0, s[8:9] scale_offset
	global_load_b64 v[10:11], v0, s[8:9] offset:2048 scale_offset
	global_load_b64 v[12:13], v0, s[6:7] offset:2048 scale_offset
	;; [unrolled: 1-line block ×4, first 2 shown]
	v_mov_b32_e32 v1, 0x80
	s_wait_loadcnt 0x6
	v_cmp_ne_u64_e32 vcc_lo, v[4:5], v[2:3]
	s_wait_loadcnt 0x4
	v_cmp_ne_u64_e64 s2, v[6:7], v[8:9]
	s_wait_loadcnt 0x2
	v_cmp_ne_u64_e64 s3, v[12:13], v[10:11]
	v_dual_cndmask_b32 v2, 0x100, v1 :: v_dual_mov_b32 v1, 0
	s_delay_alu instid0(VALU_DEP_1) | instskip(SKIP_1) | instid1(VALU_DEP_2)
	v_cndmask_b32_e64 v4, v2, 0, s2
	s_or_b32 s2, s2, vcc_lo
	v_add_nc_u64_e32 v[2:3], s[4:5], v[0:1]
	s_or_b32 vcc_lo, s2, s3
	s_delay_alu instid0(VALU_DEP_2) | instskip(SKIP_2) | instid1(VALU_DEP_2)
	v_dual_mov_b32 v5, v1 :: v_dual_cndmask_b32 v4, 0x180, v4
	s_wait_loadcnt 0x0
	v_cmp_ne_u64_e64 s2, v[14:15], v[16:17]
	v_add_nc_u64_e32 v[2:3], v[2:3], v[4:5]
	s_or_b32 vcc_lo, vcc_lo, s2
	s_mov_b32 s2, exec_lo
	v_cndmask_b32_e64 v8, 0, 1, vcc_lo
	s_delay_alu instid0(VALU_DEP_2) | instskip(NEXT) | instid1(VALU_DEP_3)
	v_mov_b32_dpp v4, v2 quad_perm:[1,0,3,2] row_mask:0xf bank_mask:0xf
	v_mov_b32_dpp v5, v3 quad_perm:[1,0,3,2] row_mask:0xf bank_mask:0xf
	s_delay_alu instid0(VALU_DEP_3) | instskip(NEXT) | instid1(VALU_DEP_2)
	v_mov_b32_dpp v9, v8 quad_perm:[1,0,3,2] row_mask:0xf bank_mask:0xf
	v_min_i64 v[6:7], v[2:3], v[4:5]
	s_delay_alu instid0(VALU_DEP_1) | instskip(NEXT) | instid1(VALU_DEP_2)
	v_dual_cndmask_b32 v5, v5, v7, vcc_lo :: v_dual_bitop2_b32 v9, 1, v9 bitop3:0x40
	v_cndmask_b32_e32 v4, v4, v6, vcc_lo
	s_delay_alu instid0(VALU_DEP_2) | instskip(NEXT) | instid1(VALU_DEP_2)
	v_cmp_eq_u32_e32 vcc_lo, 1, v9
	v_dual_cndmask_b32 v3, v3, v5 :: v_dual_cndmask_b32 v2, v2, v4
	v_cndmask_b32_e64 v8, v8, 1, vcc_lo
	s_delay_alu instid0(VALU_DEP_2) | instskip(NEXT) | instid1(VALU_DEP_3)
	v_mov_b32_dpp v5, v3 quad_perm:[2,3,0,1] row_mask:0xf bank_mask:0xf
	v_mov_b32_dpp v4, v2 quad_perm:[2,3,0,1] row_mask:0xf bank_mask:0xf
	s_delay_alu instid0(VALU_DEP_3) | instskip(NEXT) | instid1(VALU_DEP_2)
	v_mov_b32_dpp v10, v8 quad_perm:[2,3,0,1] row_mask:0xf bank_mask:0xf
	v_min_i64 v[6:7], v[2:3], v[4:5]
	v_and_b32_e32 v9, 1, v8
	s_delay_alu instid0(VALU_DEP_1) | instskip(NEXT) | instid1(VALU_DEP_3)
	v_cmp_eq_u32_e32 vcc_lo, 1, v9
	v_dual_cndmask_b32 v5, v5, v7, vcc_lo :: v_dual_bitop2_b32 v9, 1, v10 bitop3:0x40
	s_delay_alu instid0(VALU_DEP_4) | instskip(NEXT) | instid1(VALU_DEP_2)
	v_cndmask_b32_e32 v4, v4, v6, vcc_lo
	v_cmp_eq_u32_e32 vcc_lo, 1, v9
	s_delay_alu instid0(VALU_DEP_2) | instskip(SKIP_1) | instid1(VALU_DEP_2)
	v_dual_cndmask_b32 v3, v3, v5 :: v_dual_cndmask_b32 v2, v2, v4
	v_cndmask_b32_e64 v8, v8, 1, vcc_lo
	v_mov_b32_dpp v5, v3 row_ror:4 row_mask:0xf bank_mask:0xf
	s_delay_alu instid0(VALU_DEP_3) | instskip(NEXT) | instid1(VALU_DEP_3)
	v_mov_b32_dpp v4, v2 row_ror:4 row_mask:0xf bank_mask:0xf
	v_mov_b32_dpp v10, v8 row_ror:4 row_mask:0xf bank_mask:0xf
	s_delay_alu instid0(VALU_DEP_2) | instskip(SKIP_1) | instid1(VALU_DEP_1)
	v_min_i64 v[6:7], v[2:3], v[4:5]
	v_and_b32_e32 v9, 1, v8
	v_cmp_eq_u32_e32 vcc_lo, 1, v9
	s_delay_alu instid0(VALU_DEP_3) | instskip(NEXT) | instid1(VALU_DEP_4)
	v_dual_cndmask_b32 v5, v5, v7, vcc_lo :: v_dual_bitop2_b32 v9, 1, v10 bitop3:0x40
	v_cndmask_b32_e32 v4, v4, v6, vcc_lo
	s_delay_alu instid0(VALU_DEP_2) | instskip(NEXT) | instid1(VALU_DEP_2)
	v_cmp_eq_u32_e32 vcc_lo, 1, v9
	v_dual_cndmask_b32 v3, v3, v5 :: v_dual_cndmask_b32 v2, v2, v4
	v_cndmask_b32_e64 v8, v8, 1, vcc_lo
	s_delay_alu instid0(VALU_DEP_2) | instskip(NEXT) | instid1(VALU_DEP_3)
	v_mov_b32_dpp v5, v3 row_ror:8 row_mask:0xf bank_mask:0xf
	v_mov_b32_dpp v4, v2 row_ror:8 row_mask:0xf bank_mask:0xf
	s_delay_alu instid0(VALU_DEP_3) | instskip(NEXT) | instid1(VALU_DEP_2)
	v_mov_b32_dpp v10, v8 row_ror:8 row_mask:0xf bank_mask:0xf
	v_min_i64 v[6:7], v[2:3], v[4:5]
	v_and_b32_e32 v9, 1, v8
	s_delay_alu instid0(VALU_DEP_1) | instskip(NEXT) | instid1(VALU_DEP_3)
	v_cmp_eq_u32_e32 vcc_lo, 1, v9
	v_dual_cndmask_b32 v5, v5, v7, vcc_lo :: v_dual_bitop2_b32 v9, 1, v10 bitop3:0x40
	s_delay_alu instid0(VALU_DEP_4) | instskip(NEXT) | instid1(VALU_DEP_2)
	v_cndmask_b32_e32 v4, v4, v6, vcc_lo
	v_cmp_eq_u32_e32 vcc_lo, 1, v9
	s_delay_alu instid0(VALU_DEP_2)
	v_dual_cndmask_b32 v3, v3, v5 :: v_dual_cndmask_b32 v2, v2, v4
	v_cndmask_b32_e64 v8, v8, 1, vcc_lo
	ds_swizzle_b32 v5, v3 offset:swizzle(BROADCAST,32,15)
	ds_swizzle_b32 v4, v2 offset:swizzle(BROADCAST,32,15)
	;; [unrolled: 1-line block ×3, first 2 shown]
	s_wait_dscnt 0x1
	v_min_i64 v[6:7], v[2:3], v[4:5]
	v_and_b32_e32 v10, 1, v8
	s_delay_alu instid0(VALU_DEP_1) | instskip(SKIP_1) | instid1(VALU_DEP_3)
	v_cmp_eq_u32_e32 vcc_lo, 1, v10
	s_wait_dscnt 0x0
	v_dual_cndmask_b32 v5, v5, v7, vcc_lo :: v_dual_bitop2_b32 v9, 1, v9 bitop3:0x40
	s_delay_alu instid0(VALU_DEP_4) | instskip(NEXT) | instid1(VALU_DEP_2)
	v_cndmask_b32_e32 v4, v4, v6, vcc_lo
	v_cmp_eq_u32_e32 vcc_lo, 1, v9
	s_delay_alu instid0(VALU_DEP_2)
	v_dual_cndmask_b32 v3, v3, v5 :: v_dual_cndmask_b32 v2, v2, v4
	v_cndmask_b32_e64 v5, v8, 1, vcc_lo
	ds_bpermute_b32 v3, v1, v3 offset:124
	ds_bpermute_b32 v2, v1, v2 offset:124
	;; [unrolled: 1-line block ×3, first 2 shown]
	v_mbcnt_lo_u32_b32 v1, -1, 0
	s_delay_alu instid0(VALU_DEP_1)
	v_cmpx_eq_u32_e32 0, v1
	s_cbranch_execz .LBB123_21
; %bb.20:
	v_lshrrev_b32_e32 v4, 1, v0
	s_delay_alu instid0(VALU_DEP_1)
	v_and_b32_e32 v4, 48, v4
	s_wait_dscnt 0x0
	ds_store_b8 v4, v20 offset:128
	ds_store_b64 v4, v[2:3] offset:136
.LBB123_21:
	s_or_b32 exec_lo, exec_lo, s2
	s_delay_alu instid0(SALU_CYCLE_1)
	s_mov_b32 s2, exec_lo
	s_wait_dscnt 0x0
	s_barrier_signal -1
	s_barrier_wait -1
	v_cmpx_gt_u32_e32 32, v0
	s_cbranch_execz .LBB123_27
; %bb.22:
	v_and_b32_e32 v2, 3, v1
	s_delay_alu instid0(VALU_DEP_1) | instskip(SKIP_2) | instid1(VALU_DEP_1)
	v_cmp_ne_u32_e32 vcc_lo, 3, v2
	v_lshlrev_b32_e32 v3, 4, v2
	v_add_co_ci_u32_e64 v2, null, 0, v1, vcc_lo
	v_lshlrev_b32_e32 v2, 2, v2
	ds_load_u8 v8, v3 offset:128
	ds_load_b64 v[4:5], v3 offset:136
	s_wait_dscnt 0x1
	v_and_b32_e32 v3, 0xff, v8
	s_wait_dscnt 0x0
	ds_bpermute_b32 v6, v2, v4
	ds_bpermute_b32 v7, v2, v5
	;; [unrolled: 1-line block ×3, first 2 shown]
	s_wait_dscnt 0x0
	v_and_b32_e32 v2, v8, v9
	s_delay_alu instid0(VALU_DEP_1) | instskip(NEXT) | instid1(VALU_DEP_1)
	v_and_b32_e32 v2, 1, v2
	v_cmp_eq_u32_e32 vcc_lo, 1, v2
                                        ; implicit-def: $vgpr2_vgpr3
	s_and_saveexec_b32 s3, vcc_lo
	s_delay_alu instid0(SALU_CYCLE_1)
	s_xor_b32 s3, exec_lo, s3
; %bb.23:
	v_min_i64 v[2:3], v[6:7], v[4:5]
                                        ; implicit-def: $vgpr8
                                        ; implicit-def: $vgpr6_vgpr7
                                        ; implicit-def: $vgpr4_vgpr5
                                        ; implicit-def: $vgpr9
; %bb.24:
	s_or_saveexec_b32 s3, s3
	v_dual_mov_b32 v10, 1 :: v_dual_lshlrev_b32 v1, 2, v1
	s_xor_b32 exec_lo, exec_lo, s3
; %bb.25:
	v_and_b32_e32 v2, 1, v8
	v_and_b32_e32 v8, 0xff, v9
	s_delay_alu instid0(VALU_DEP_2) | instskip(SKIP_1) | instid1(VALU_DEP_3)
	v_cmp_eq_u32_e32 vcc_lo, 1, v2
	v_dual_cndmask_b32 v3, v7, v5 :: v_dual_cndmask_b32 v2, v6, v4
	v_cndmask_b32_e64 v10, v8, 1, vcc_lo
; %bb.26:
	s_or_b32 exec_lo, exec_lo, s3
	s_delay_alu instid0(VALU_DEP_1) | instskip(NEXT) | instid1(VALU_DEP_1)
	v_and_b32_e32 v8, 1, v10
	v_cmp_eq_u32_e32 vcc_lo, 1, v8
	v_or_b32_e32 v1, 8, v1
	ds_bpermute_b32 v4, v1, v2
	ds_bpermute_b32 v5, v1, v3
	s_wait_dscnt 0x0
	v_min_i64 v[6:7], v[4:5], v[2:3]
	v_cndmask_b32_e32 v2, v4, v2, vcc_lo
	ds_bpermute_b32 v1, v1, v10
	v_cndmask_b32_e32 v3, v5, v3, vcc_lo
	s_wait_dscnt 0x0
	v_bitop3_b32 v8, v10, 1, v1 bitop3:0x80
	v_cndmask_b32_e64 v1, v1, 1, vcc_lo
	s_delay_alu instid0(VALU_DEP_2) | instskip(NEXT) | instid1(VALU_DEP_2)
	v_cmp_eq_u32_e32 vcc_lo, 0, v8
	v_dual_cndmask_b32 v20, 1, v1 :: v_dual_cndmask_b32 v3, v7, v3
	v_cndmask_b32_e32 v2, v6, v2, vcc_lo
.LBB123_27:
	s_or_b32 exec_lo, exec_lo, s2
	s_branch .LBB123_154
.LBB123_28:
                                        ; implicit-def: $sgpr10_sgpr11
                                        ; implicit-def: $vgpr2_vgpr3
                                        ; implicit-def: $vgpr20
	s_branch .LBB123_211
.LBB123_29:
                                        ; implicit-def: $vgpr2_vgpr3
                                        ; implicit-def: $vgpr20
	s_cbranch_execz .LBB123_13
; %bb.30:
	v_mov_b64_e32 v[16:17], 0
	v_mov_b64_e32 v[2:3], 0
	v_dual_mov_b32 v26, 0 :: v_dual_mov_b32 v20, 0
	s_sub_co_i32 s26, s14, s6
	s_mov_b32 s2, exec_lo
	v_cmpx_gt_u32_e64 s26, v0
	s_cbranch_execz .LBB123_32
; %bb.31:
	s_clause 0x1
	global_load_b64 v[4:5], v0, s[8:9] scale_offset
	global_load_b64 v[6:7], v0, s[22:23] scale_offset
	v_mov_b32_e32 v1, 0
	s_delay_alu instid0(VALU_DEP_1)
	v_add_nc_u64_e32 v[2:3], s[20:21], v[0:1]
	s_wait_loadcnt 0x0
	v_cmp_ne_u64_e32 vcc_lo, v[4:5], v[6:7]
	v_cndmask_b32_e64 v20, 0, 1, vcc_lo
.LBB123_32:
	s_or_b32 exec_lo, exec_lo, s2
	v_or_b32_e32 v4, 0x80, v0
	s_delay_alu instid0(VALU_DEP_1)
	v_cmp_gt_u32_e64 s7, s26, v4
	s_and_saveexec_b32 s2, s7
	s_cbranch_execz .LBB123_34
; %bb.33:
	s_clause 0x1
	global_load_b64 v[6:7], v0, s[8:9] offset:1024 scale_offset
	global_load_b64 v[8:9], v0, s[22:23] offset:1024 scale_offset
	v_mov_b32_e32 v5, 0
	s_delay_alu instid0(VALU_DEP_1)
	v_add_nc_u64_e32 v[16:17], s[20:21], v[4:5]
	s_wait_loadcnt 0x0
	v_cmp_ne_u64_e32 vcc_lo, v[6:7], v[8:9]
	v_cndmask_b32_e64 v26, 0, 1, vcc_lo
.LBB123_34:
	s_or_b32 exec_lo, exec_lo, s2
	v_or_b32_e32 v4, 0x100, v0
	v_mov_b64_e32 v[12:13], 0
	v_mov_b64_e32 v[14:15], 0
	v_dual_mov_b32 v24, 0 :: v_dual_mov_b32 v25, 0
	s_delay_alu instid0(VALU_DEP_4)
	v_cmp_gt_u32_e64 s6, s26, v4
	s_and_saveexec_b32 s2, s6
	s_cbranch_execz .LBB123_36
; %bb.35:
	s_clause 0x1
	global_load_b64 v[6:7], v0, s[8:9] offset:2048 scale_offset
	global_load_b64 v[8:9], v0, s[22:23] offset:2048 scale_offset
	v_mov_b32_e32 v5, 0
	s_delay_alu instid0(VALU_DEP_1)
	v_add_nc_u64_e32 v[14:15], s[20:21], v[4:5]
	s_wait_loadcnt 0x0
	v_cmp_ne_u64_e32 vcc_lo, v[6:7], v[8:9]
	v_cndmask_b32_e64 v25, 0, 1, vcc_lo
.LBB123_36:
	s_or_b32 exec_lo, exec_lo, s2
	v_or_b32_e32 v4, 0x180, v0
	s_delay_alu instid0(VALU_DEP_1)
	v_cmp_gt_u32_e64 s5, s26, v4
	s_and_saveexec_b32 s2, s5
	s_cbranch_execz .LBB123_38
; %bb.37:
	s_clause 0x1
	global_load_b64 v[6:7], v0, s[8:9] offset:3072 scale_offset
	global_load_b64 v[8:9], v0, s[22:23] offset:3072 scale_offset
	v_mov_b32_e32 v5, 0
	s_delay_alu instid0(VALU_DEP_1)
	v_add_nc_u64_e32 v[12:13], s[20:21], v[4:5]
	s_wait_loadcnt 0x0
	v_cmp_ne_u64_e32 vcc_lo, v[6:7], v[8:9]
	v_cndmask_b32_e64 v24, 0, 1, vcc_lo
.LBB123_38:
	s_or_b32 exec_lo, exec_lo, s2
	v_or_b32_e32 v4, 0x200, v0
	v_mov_b64_e32 v[8:9], 0
	v_mov_b64_e32 v[10:11], 0
	v_dual_mov_b32 v22, 0 :: v_dual_mov_b32 v23, 0
	s_delay_alu instid0(VALU_DEP_4)
	v_cmp_gt_u32_e64 s4, s26, v4
	s_and_saveexec_b32 s2, s4
	s_cbranch_execz .LBB123_40
; %bb.39:
	s_clause 0x1
	global_load_b64 v[6:7], v0, s[8:9] offset:4096 scale_offset
	global_load_b64 v[18:19], v0, s[22:23] offset:4096 scale_offset
	v_mov_b32_e32 v5, 0
	s_delay_alu instid0(VALU_DEP_1)
	v_add_nc_u64_e32 v[10:11], s[20:21], v[4:5]
	s_wait_loadcnt 0x0
	v_cmp_ne_u64_e32 vcc_lo, v[6:7], v[18:19]
	v_cndmask_b32_e64 v23, 0, 1, vcc_lo
.LBB123_40:
	;; [unrolled: 37-line block ×3, first 2 shown]
	s_or_b32 exec_lo, exec_lo, s27
	v_or_b32_e32 v18, 0x380, v0
	s_delay_alu instid0(VALU_DEP_1)
	v_cmp_gt_u32_e32 vcc_lo, s26, v18
	s_and_saveexec_b32 s27, vcc_lo
	s_cbranch_execnz .LBB123_63
; %bb.45:
	s_or_b32 exec_lo, exec_lo, s27
	s_and_saveexec_b32 s9, s7
	s_cbranch_execnz .LBB123_64
.LBB123_46:
	s_or_b32 exec_lo, exec_lo, s9
	s_and_saveexec_b32 s8, s6
	s_cbranch_execnz .LBB123_69
.LBB123_47:
	s_or_b32 exec_lo, exec_lo, s8
	s_and_saveexec_b32 s7, s5
	s_cbranch_execnz .LBB123_74
.LBB123_48:
	s_or_b32 exec_lo, exec_lo, s7
	s_and_saveexec_b32 s6, s4
	s_cbranch_execnz .LBB123_79
.LBB123_49:
	s_or_b32 exec_lo, exec_lo, s6
	s_and_saveexec_b32 s5, s3
	s_cbranch_execnz .LBB123_84
.LBB123_50:
	s_or_b32 exec_lo, exec_lo, s5
	s_and_saveexec_b32 s4, s2
	s_cbranch_execnz .LBB123_89
.LBB123_51:
	s_or_b32 exec_lo, exec_lo, s4
	s_and_saveexec_b32 s3, vcc_lo
	s_cbranch_execnz .LBB123_94
	s_branch .LBB123_99
.LBB123_52:
                                        ; implicit-def: $vgpr2_vgpr3
                                        ; implicit-def: $vgpr20
	s_cbranch_execz .LBB123_154
; %bb.53:
	v_mov_b64_e32 v[8:9], 0
	v_mov_b64_e32 v[2:3], 0
	v_dual_mov_b32 v13, 0 :: v_dual_mov_b32 v20, 0
	s_sub_co_i32 s20, s14, s20
	s_mov_b32 s2, exec_lo
	v_cmpx_gt_u32_e64 s20, v0
	s_cbranch_execz .LBB123_55
; %bb.54:
	s_wait_dscnt 0x0
	s_clause 0x1
	global_load_b64 v[4:5], v0, s[6:7] scale_offset
	global_load_b64 v[6:7], v0, s[8:9] scale_offset
	v_mov_b32_e32 v1, 0
	s_delay_alu instid0(VALU_DEP_1)
	v_add_nc_u64_e32 v[2:3], s[4:5], v[0:1]
	s_wait_loadcnt 0x0
	v_cmp_ne_u64_e32 vcc_lo, v[4:5], v[6:7]
	v_cndmask_b32_e64 v20, 0, 1, vcc_lo
.LBB123_55:
	s_or_b32 exec_lo, exec_lo, s2
	s_wait_dscnt 0x1
	v_or_b32_e32 v4, 0x80, v0
	s_delay_alu instid0(VALU_DEP_1)
	v_cmp_gt_u32_e64 s3, s20, v4
	s_and_saveexec_b32 s2, s3
	s_cbranch_execz .LBB123_57
; %bb.56:
	s_clause 0x1
	global_load_b64 v[6:7], v0, s[6:7] offset:1024 scale_offset
	global_load_b64 v[10:11], v0, s[8:9] offset:1024 scale_offset
	s_wait_dscnt 0x0
	v_mov_b32_e32 v5, 0
	s_delay_alu instid0(VALU_DEP_1)
	v_add_nc_u64_e32 v[8:9], s[4:5], v[4:5]
	s_wait_loadcnt 0x0
	v_cmp_ne_u64_e32 vcc_lo, v[6:7], v[10:11]
	v_cndmask_b32_e64 v13, 0, 1, vcc_lo
.LBB123_57:
	s_or_b32 exec_lo, exec_lo, s2
	v_or_b32_e32 v10, 0x100, v0
	s_wait_dscnt 0x0
	v_mov_b64_e32 v[4:5], 0
	v_mov_b64_e32 v[6:7], 0
	v_dual_mov_b32 v1, 0 :: v_dual_mov_b32 v12, 0
	v_cmp_gt_u32_e64 s2, s20, v10
	s_and_saveexec_b32 s21, s2
	s_cbranch_execz .LBB123_59
; %bb.58:
	s_clause 0x1
	global_load_b64 v[14:15], v0, s[6:7] offset:2048 scale_offset
	global_load_b64 v[16:17], v0, s[8:9] offset:2048 scale_offset
	v_mov_b32_e32 v11, 0
	s_delay_alu instid0(VALU_DEP_1)
	v_add_nc_u64_e32 v[6:7], s[4:5], v[10:11]
	s_wait_loadcnt 0x0
	v_cmp_ne_u64_e32 vcc_lo, v[14:15], v[16:17]
	v_cndmask_b32_e64 v12, 0, 1, vcc_lo
.LBB123_59:
	s_or_b32 exec_lo, exec_lo, s21
	v_or_b32_e32 v10, 0x180, v0
	s_delay_alu instid0(VALU_DEP_1)
	v_cmp_gt_u32_e32 vcc_lo, s20, v10
	s_and_saveexec_b32 s21, vcc_lo
	s_cbranch_execnz .LBB123_119
; %bb.60:
	s_or_b32 exec_lo, exec_lo, s21
	s_and_saveexec_b32 s5, s3
	s_cbranch_execnz .LBB123_120
.LBB123_61:
	s_or_b32 exec_lo, exec_lo, s5
	s_and_saveexec_b32 s4, s2
	s_cbranch_execnz .LBB123_125
.LBB123_62:
	s_or_b32 exec_lo, exec_lo, s4
	s_and_saveexec_b32 s3, vcc_lo
	s_cbranch_execnz .LBB123_130
	s_branch .LBB123_135
.LBB123_63:
	s_clause 0x1
	global_load_b64 v[28:29], v0, s[8:9] offset:7168 scale_offset
	global_load_b64 v[30:31], v0, s[22:23] offset:7168 scale_offset
	v_mov_b32_e32 v19, 0
	s_delay_alu instid0(VALU_DEP_1) | instskip(SKIP_2) | instid1(VALU_DEP_1)
	v_add_nc_u64_e32 v[4:5], s[20:21], v[18:19]
	s_wait_loadcnt 0x0
	v_cmp_ne_u64_e64 s8, v[28:29], v[30:31]
	v_cndmask_b32_e64 v1, 0, 1, s8
	s_or_b32 exec_lo, exec_lo, s27
	s_and_saveexec_b32 s9, s7
	s_cbranch_execz .LBB123_46
.LBB123_64:
	v_and_b32_e32 v18, 1, v20
	v_and_b32_e32 v19, 1, v26
                                        ; implicit-def: $vgpr20
	s_delay_alu instid0(VALU_DEP_2) | instskip(NEXT) | instid1(VALU_DEP_2)
	v_cmp_eq_u32_e64 s7, 1, v18
	v_cmp_eq_u32_e64 s8, 1, v19
	s_and_b32 s8, s7, s8
	s_delay_alu instid0(SALU_CYCLE_1) | instskip(NEXT) | instid1(SALU_CYCLE_1)
	s_xor_b32 s8, s8, -1
	s_and_saveexec_b32 s20, s8
	s_delay_alu instid0(SALU_CYCLE_1)
	s_xor_b32 s8, exec_lo, s20
; %bb.65:
	v_and_b32_e32 v18, 0xffff, v26
	v_dual_cndmask_b32 v3, v17, v3, s7 :: v_dual_cndmask_b32 v2, v16, v2, s7
                                        ; implicit-def: $vgpr16_vgpr17
	s_delay_alu instid0(VALU_DEP_2)
	v_cndmask_b32_e64 v20, v18, 1, s7
; %bb.66:
	s_and_not1_saveexec_b32 s7, s8
	s_cbranch_execz .LBB123_68
; %bb.67:
	s_delay_alu instid0(VALU_DEP_2)
	v_min_i64 v[2:3], v[16:17], v[2:3]
	v_mov_b32_e32 v20, 1
.LBB123_68:
	s_or_b32 exec_lo, exec_lo, s7
	s_delay_alu instid0(SALU_CYCLE_1)
	s_or_b32 exec_lo, exec_lo, s9
	s_and_saveexec_b32 s8, s6
	s_cbranch_execz .LBB123_47
.LBB123_69:
	v_and_b32_e32 v16, 1, v20
	v_and_b32_e32 v17, 1, v25
                                        ; implicit-def: $vgpr20
	s_delay_alu instid0(VALU_DEP_2) | instskip(NEXT) | instid1(VALU_DEP_2)
	v_cmp_eq_u32_e64 s6, 1, v16
	v_cmp_eq_u32_e64 s7, 1, v17
	s_and_b32 s7, s6, s7
	s_delay_alu instid0(SALU_CYCLE_1) | instskip(NEXT) | instid1(SALU_CYCLE_1)
	s_xor_b32 s7, s7, -1
	s_and_saveexec_b32 s9, s7
	s_delay_alu instid0(SALU_CYCLE_1)
	s_xor_b32 s7, exec_lo, s9
; %bb.70:
	v_and_b32_e32 v16, 0xffff, v25
	v_dual_cndmask_b32 v3, v15, v3, s6 :: v_dual_cndmask_b32 v2, v14, v2, s6
                                        ; implicit-def: $vgpr14_vgpr15
	s_delay_alu instid0(VALU_DEP_2)
	v_cndmask_b32_e64 v20, v16, 1, s6
; %bb.71:
	s_and_not1_saveexec_b32 s6, s7
	s_cbranch_execz .LBB123_73
; %bb.72:
	s_delay_alu instid0(VALU_DEP_2)
	v_min_i64 v[2:3], v[14:15], v[2:3]
	v_mov_b32_e32 v20, 1
.LBB123_73:
	s_or_b32 exec_lo, exec_lo, s6
	s_delay_alu instid0(SALU_CYCLE_1)
	s_or_b32 exec_lo, exec_lo, s8
	s_and_saveexec_b32 s7, s5
	s_cbranch_execz .LBB123_48
.LBB123_74:
	v_and_b32_e32 v14, 1, v20
	v_and_b32_e32 v15, 1, v24
                                        ; implicit-def: $vgpr20
	s_delay_alu instid0(VALU_DEP_2) | instskip(NEXT) | instid1(VALU_DEP_2)
	v_cmp_eq_u32_e64 s5, 1, v14
	v_cmp_eq_u32_e64 s6, 1, v15
	s_and_b32 s6, s5, s6
	s_delay_alu instid0(SALU_CYCLE_1) | instskip(NEXT) | instid1(SALU_CYCLE_1)
	s_xor_b32 s6, s6, -1
	s_and_saveexec_b32 s8, s6
	s_delay_alu instid0(SALU_CYCLE_1)
	s_xor_b32 s6, exec_lo, s8
; %bb.75:
	v_and_b32_e32 v14, 0xffff, v24
	v_dual_cndmask_b32 v3, v13, v3, s5 :: v_dual_cndmask_b32 v2, v12, v2, s5
                                        ; implicit-def: $vgpr12_vgpr13
	s_delay_alu instid0(VALU_DEP_2)
	v_cndmask_b32_e64 v20, v14, 1, s5
; %bb.76:
	s_and_not1_saveexec_b32 s5, s6
	s_cbranch_execz .LBB123_78
; %bb.77:
	s_delay_alu instid0(VALU_DEP_2)
	v_min_i64 v[2:3], v[12:13], v[2:3]
	v_mov_b32_e32 v20, 1
.LBB123_78:
	s_or_b32 exec_lo, exec_lo, s5
	s_delay_alu instid0(SALU_CYCLE_1)
	s_or_b32 exec_lo, exec_lo, s7
	s_and_saveexec_b32 s6, s4
	s_cbranch_execz .LBB123_49
.LBB123_79:
	v_and_b32_e32 v12, 1, v20
	v_and_b32_e32 v13, 1, v23
                                        ; implicit-def: $vgpr20
	s_delay_alu instid0(VALU_DEP_2) | instskip(NEXT) | instid1(VALU_DEP_2)
	v_cmp_eq_u32_e64 s4, 1, v12
	v_cmp_eq_u32_e64 s5, 1, v13
	s_and_b32 s5, s4, s5
	s_delay_alu instid0(SALU_CYCLE_1) | instskip(NEXT) | instid1(SALU_CYCLE_1)
	s_xor_b32 s5, s5, -1
	s_and_saveexec_b32 s7, s5
	s_delay_alu instid0(SALU_CYCLE_1)
	s_xor_b32 s5, exec_lo, s7
; %bb.80:
	v_and_b32_e32 v12, 0xffff, v23
	v_dual_cndmask_b32 v3, v11, v3, s4 :: v_dual_cndmask_b32 v2, v10, v2, s4
                                        ; implicit-def: $vgpr10_vgpr11
	s_delay_alu instid0(VALU_DEP_2)
	v_cndmask_b32_e64 v20, v12, 1, s4
; %bb.81:
	s_and_not1_saveexec_b32 s4, s5
	s_cbranch_execz .LBB123_83
; %bb.82:
	s_delay_alu instid0(VALU_DEP_2)
	v_min_i64 v[2:3], v[10:11], v[2:3]
	v_mov_b32_e32 v20, 1
.LBB123_83:
	s_or_b32 exec_lo, exec_lo, s4
	s_delay_alu instid0(SALU_CYCLE_1)
	s_or_b32 exec_lo, exec_lo, s6
	s_and_saveexec_b32 s5, s3
	s_cbranch_execz .LBB123_50
.LBB123_84:
	v_and_b32_e32 v10, 1, v20
	v_and_b32_e32 v11, 1, v22
                                        ; implicit-def: $vgpr20
	s_delay_alu instid0(VALU_DEP_2) | instskip(NEXT) | instid1(VALU_DEP_2)
	v_cmp_eq_u32_e64 s3, 1, v10
	v_cmp_eq_u32_e64 s4, 1, v11
	s_and_b32 s4, s3, s4
	s_delay_alu instid0(SALU_CYCLE_1) | instskip(NEXT) | instid1(SALU_CYCLE_1)
	s_xor_b32 s4, s4, -1
	s_and_saveexec_b32 s6, s4
	s_delay_alu instid0(SALU_CYCLE_1)
	s_xor_b32 s4, exec_lo, s6
; %bb.85:
	v_and_b32_e32 v10, 0xffff, v22
	v_dual_cndmask_b32 v3, v9, v3, s3 :: v_dual_cndmask_b32 v2, v8, v2, s3
                                        ; implicit-def: $vgpr8_vgpr9
	s_delay_alu instid0(VALU_DEP_2)
	v_cndmask_b32_e64 v20, v10, 1, s3
; %bb.86:
	s_and_not1_saveexec_b32 s3, s4
	s_cbranch_execz .LBB123_88
; %bb.87:
	s_delay_alu instid0(VALU_DEP_2)
	v_min_i64 v[2:3], v[8:9], v[2:3]
	v_mov_b32_e32 v20, 1
.LBB123_88:
	s_or_b32 exec_lo, exec_lo, s3
	s_delay_alu instid0(SALU_CYCLE_1)
	s_or_b32 exec_lo, exec_lo, s5
	s_and_saveexec_b32 s4, s2
	s_cbranch_execz .LBB123_51
.LBB123_89:
	v_and_b32_e32 v8, 1, v20
	v_and_b32_e32 v9, 1, v21
                                        ; implicit-def: $vgpr20
	s_delay_alu instid0(VALU_DEP_2) | instskip(NEXT) | instid1(VALU_DEP_2)
	v_cmp_eq_u32_e64 s2, 1, v8
	v_cmp_eq_u32_e64 s3, 1, v9
	s_and_b32 s3, s2, s3
	s_delay_alu instid0(SALU_CYCLE_1) | instskip(NEXT) | instid1(SALU_CYCLE_1)
	s_xor_b32 s3, s3, -1
	s_and_saveexec_b32 s5, s3
	s_delay_alu instid0(SALU_CYCLE_1)
	s_xor_b32 s3, exec_lo, s5
; %bb.90:
	v_and_b32_e32 v8, 0xffff, v21
	v_dual_cndmask_b32 v3, v7, v3, s2 :: v_dual_cndmask_b32 v2, v6, v2, s2
                                        ; implicit-def: $vgpr6_vgpr7
	s_delay_alu instid0(VALU_DEP_2)
	v_cndmask_b32_e64 v20, v8, 1, s2
; %bb.91:
	s_and_not1_saveexec_b32 s2, s3
	s_cbranch_execz .LBB123_93
; %bb.92:
	s_delay_alu instid0(VALU_DEP_2)
	v_min_i64 v[2:3], v[6:7], v[2:3]
	v_mov_b32_e32 v20, 1
.LBB123_93:
	s_or_b32 exec_lo, exec_lo, s2
	s_delay_alu instid0(SALU_CYCLE_1)
	s_or_b32 exec_lo, exec_lo, s4
	s_and_saveexec_b32 s3, vcc_lo
	s_cbranch_execz .LBB123_99
.LBB123_94:
	v_and_b32_e32 v6, 1, v20
	v_and_b32_e32 v7, 1, v1
                                        ; implicit-def: $vgpr20
	s_delay_alu instid0(VALU_DEP_2) | instskip(NEXT) | instid1(VALU_DEP_2)
	v_cmp_eq_u32_e32 vcc_lo, 1, v6
	v_cmp_eq_u32_e64 s2, 1, v7
	s_and_b32 s2, vcc_lo, s2
	s_delay_alu instid0(SALU_CYCLE_1) | instskip(NEXT) | instid1(SALU_CYCLE_1)
	s_xor_b32 s2, s2, -1
	s_and_saveexec_b32 s4, s2
	s_delay_alu instid0(SALU_CYCLE_1)
	s_xor_b32 s2, exec_lo, s4
; %bb.95:
	v_and_b32_e32 v1, 0xffff, v1
	v_dual_cndmask_b32 v3, v5, v3 :: v_dual_cndmask_b32 v2, v4, v2
                                        ; implicit-def: $vgpr4_vgpr5
	s_delay_alu instid0(VALU_DEP_2)
	v_cndmask_b32_e64 v20, v1, 1, vcc_lo
; %bb.96:
	s_and_not1_saveexec_b32 s2, s2
	s_cbranch_execz .LBB123_98
; %bb.97:
	s_delay_alu instid0(VALU_DEP_2)
	v_min_i64 v[2:3], v[4:5], v[2:3]
	v_mov_b32_e32 v20, 1
.LBB123_98:
	s_or_b32 exec_lo, exec_lo, s2
.LBB123_99:
	s_delay_alu instid0(SALU_CYCLE_1) | instskip(SKIP_4) | instid1(VALU_DEP_2)
	s_or_b32 exec_lo, exec_lo, s3
	v_mbcnt_lo_u32_b32 v1, -1, 0
	v_and_b32_e32 v6, 0x60, v0
	s_min_u32 s3, s26, 0x80
	s_mov_b32 s2, exec_lo
	v_cmp_ne_u32_e32 vcc_lo, 31, v1
	s_delay_alu instid0(VALU_DEP_2) | instskip(SKIP_2) | instid1(VALU_DEP_1)
	v_sub_nc_u32_e64 v6, s3, v6 clamp
	v_add_nc_u32_e32 v8, 1, v1
	v_add_co_ci_u32_e64 v4, null, 0, v1, vcc_lo
	v_lshlrev_b32_e32 v5, 2, v4
	ds_bpermute_b32 v7, v5, v20
	ds_bpermute_b32 v4, v5, v2
	;; [unrolled: 1-line block ×3, first 2 shown]
	v_cmpx_lt_u32_e64 v8, v6
	s_xor_b32 s4, exec_lo, s2
	s_cbranch_execz .LBB123_101
; %bb.100:
	s_wait_dscnt 0x0
	v_min_i64 v[8:9], v[4:5], v[2:3]
	v_and_b32_e32 v10, 1, v20
	s_delay_alu instid0(VALU_DEP_1) | instskip(SKIP_3) | instid1(VALU_DEP_3)
	v_cmp_eq_u32_e32 vcc_lo, 1, v10
	v_and_b32_e32 v10, v7, v20
	v_and_b32_e32 v7, 0xff, v7
	v_dual_cndmask_b32 v2, v4, v2 :: v_dual_cndmask_b32 v3, v5, v3
	v_cmp_eq_u32_e64 s2, 0, v10
	s_delay_alu instid0(VALU_DEP_3) | instskip(NEXT) | instid1(VALU_DEP_1)
	v_cndmask_b32_e64 v4, v7, 1, vcc_lo
	v_dual_cndmask_b32 v20, 1, v4, s2 :: v_dual_cndmask_b32 v3, v9, v3, s2
	s_delay_alu instid0(VALU_DEP_4)
	v_cndmask_b32_e64 v2, v8, v2, s2
.LBB123_101:
	s_or_b32 exec_lo, exec_lo, s4
	v_cmp_gt_u32_e32 vcc_lo, 30, v1
	v_add_nc_u32_e32 v8, 2, v1
	s_mov_b32 s4, exec_lo
	s_wait_dscnt 0x1
	v_cndmask_b32_e64 v4, 0, 2, vcc_lo
	s_wait_dscnt 0x0
	s_delay_alu instid0(VALU_DEP_1)
	v_add_lshl_u32 v5, v4, v1, 2
	ds_bpermute_b32 v7, v5, v20
	ds_bpermute_b32 v4, v5, v2
	ds_bpermute_b32 v5, v5, v3
	v_cmpx_lt_u32_e64 v8, v6
	s_cbranch_execz .LBB123_103
; %bb.102:
	s_wait_dscnt 0x0
	v_min_i64 v[8:9], v[4:5], v[2:3]
	v_and_b32_e32 v10, 1, v20
	s_delay_alu instid0(VALU_DEP_1) | instskip(SKIP_3) | instid1(VALU_DEP_3)
	v_cmp_eq_u32_e32 vcc_lo, 1, v10
	v_bitop3_b32 v10, v20, 1, v7 bitop3:0x80
	v_and_b32_e32 v7, 0xff, v7
	v_cndmask_b32_e32 v2, v4, v2, vcc_lo
	v_cmp_eq_u32_e64 s2, 0, v10
	v_cndmask_b32_e32 v3, v5, v3, vcc_lo
	s_delay_alu instid0(VALU_DEP_4) | instskip(NEXT) | instid1(VALU_DEP_1)
	v_cndmask_b32_e64 v4, v7, 1, vcc_lo
	v_dual_cndmask_b32 v20, 1, v4, s2 :: v_dual_cndmask_b32 v2, v8, v2, s2
	s_delay_alu instid0(VALU_DEP_3)
	v_cndmask_b32_e64 v3, v9, v3, s2
.LBB123_103:
	s_or_b32 exec_lo, exec_lo, s4
	v_cmp_gt_u32_e32 vcc_lo, 28, v1
	v_add_nc_u32_e32 v8, 4, v1
	s_mov_b32 s4, exec_lo
	s_wait_dscnt 0x1
	v_cndmask_b32_e64 v4, 0, 4, vcc_lo
	s_wait_dscnt 0x0
	s_delay_alu instid0(VALU_DEP_1)
	v_add_lshl_u32 v5, v4, v1, 2
	ds_bpermute_b32 v7, v5, v20
	ds_bpermute_b32 v4, v5, v2
	ds_bpermute_b32 v5, v5, v3
	v_cmpx_lt_u32_e64 v8, v6
	s_cbranch_execz .LBB123_105
; %bb.104:
	s_wait_dscnt 0x0
	v_min_i64 v[8:9], v[4:5], v[2:3]
	v_and_b32_e32 v10, 1, v20
	s_delay_alu instid0(VALU_DEP_1) | instskip(SKIP_3) | instid1(VALU_DEP_3)
	v_cmp_eq_u32_e32 vcc_lo, 1, v10
	v_bitop3_b32 v10, v20, 1, v7 bitop3:0x80
	v_and_b32_e32 v7, 0xff, v7
	v_cndmask_b32_e32 v2, v4, v2, vcc_lo
	v_cmp_eq_u32_e64 s2, 0, v10
	v_cndmask_b32_e32 v3, v5, v3, vcc_lo
	s_delay_alu instid0(VALU_DEP_4) | instskip(NEXT) | instid1(VALU_DEP_1)
	v_cndmask_b32_e64 v4, v7, 1, vcc_lo
	v_dual_cndmask_b32 v20, 1, v4, s2 :: v_dual_cndmask_b32 v2, v8, v2, s2
	s_delay_alu instid0(VALU_DEP_3)
	v_cndmask_b32_e64 v3, v9, v3, s2
.LBB123_105:
	;; [unrolled: 31-line block ×3, first 2 shown]
	s_or_b32 exec_lo, exec_lo, s4
	s_wait_dscnt 0x2
	v_dual_lshlrev_b32 v7, 2, v1 :: v_dual_add_nc_u32 v9, 16, v1
	s_wait_dscnt 0x0
	s_delay_alu instid0(VALU_DEP_1) | instskip(NEXT) | instid1(VALU_DEP_2)
	v_or_b32_e32 v5, 64, v7
	v_cmp_lt_u32_e32 vcc_lo, v9, v6
	v_mov_b32_e32 v6, v20
	ds_bpermute_b32 v8, v5, v20
	ds_bpermute_b32 v4, v5, v2
	;; [unrolled: 1-line block ×3, first 2 shown]
	s_and_saveexec_b32 s4, vcc_lo
	s_cbranch_execz .LBB123_109
; %bb.108:
	s_wait_dscnt 0x0
	v_min_i64 v[10:11], v[4:5], v[2:3]
	v_and_b32_e32 v6, 1, v20
	v_bitop3_b32 v9, v20, 1, v8 bitop3:0x80
	s_delay_alu instid0(VALU_DEP_2) | instskip(NEXT) | instid1(VALU_DEP_2)
	v_cmp_eq_u32_e32 vcc_lo, 1, v6
	v_cmp_eq_u32_e64 s2, 0, v9
	v_cndmask_b32_e64 v6, v8, 1, vcc_lo
	v_dual_cndmask_b32 v3, v5, v3 :: v_dual_cndmask_b32 v2, v4, v2
	s_delay_alu instid0(VALU_DEP_2) | instskip(NEXT) | instid1(VALU_DEP_1)
	v_cndmask_b32_e64 v6, 1, v6, s2
	v_and_b32_e32 v20, 0xff, v6
	s_delay_alu instid0(VALU_DEP_3)
	v_dual_cndmask_b32 v3, v11, v3, s2 :: v_dual_cndmask_b32 v2, v10, v2, s2
.LBB123_109:
	s_or_b32 exec_lo, exec_lo, s4
	s_delay_alu instid0(SALU_CYCLE_1)
	s_mov_b32 s2, exec_lo
	v_cmpx_eq_u32_e32 0, v1
	s_cbranch_execz .LBB123_111
; %bb.110:
	s_wait_dscnt 0x1
	v_lshrrev_b32_e32 v4, 1, v0
	s_delay_alu instid0(VALU_DEP_1)
	v_and_b32_e32 v4, 48, v4
	ds_store_b8 v4, v6 offset:256
	ds_store_b64 v4, v[2:3] offset:264
.LBB123_111:
	s_or_b32 exec_lo, exec_lo, s2
	s_delay_alu instid0(SALU_CYCLE_1)
	s_mov_b32 s4, exec_lo
	s_wait_dscnt 0x0
	s_barrier_signal -1
	s_barrier_wait -1
	v_cmpx_gt_u32_e32 4, v0
	s_cbranch_execz .LBB123_117
; %bb.112:
	v_dual_lshlrev_b32 v2, 4, v1 :: v_dual_bitop2_b32 v6, 3, v1 bitop3:0x40
	s_add_co_i32 s3, s3, 31
	s_mov_b32 s5, exec_lo
	s_lshr_b32 s3, s3, 5
	ds_load_u8 v8, v2 offset:256
	ds_load_b64 v[2:3], v2 offset:264
	v_cmp_ne_u32_e32 vcc_lo, 3, v6
	v_add_nc_u32_e32 v9, 1, v6
	v_add_co_ci_u32_e64 v1, null, 0, v1, vcc_lo
	s_delay_alu instid0(VALU_DEP_1)
	v_lshlrev_b32_e32 v5, 2, v1
	s_wait_dscnt 0x1
	v_and_b32_e32 v20, 0xff, v8
	s_wait_dscnt 0x0
	ds_bpermute_b32 v4, v5, v2
	ds_bpermute_b32 v1, v5, v20
	;; [unrolled: 1-line block ×3, first 2 shown]
	v_cmpx_gt_u32_e64 s3, v9
	s_cbranch_execz .LBB123_114
; %bb.113:
	s_wait_dscnt 0x0
	v_min_i64 v[10:11], v[4:5], v[2:3]
	v_and_b32_e32 v8, 1, v8
	s_delay_alu instid0(VALU_DEP_1) | instskip(SKIP_3) | instid1(VALU_DEP_3)
	v_cmp_eq_u32_e32 vcc_lo, 1, v8
	v_bitop3_b32 v8, v20, 1, v1 bitop3:0x80
	v_and_b32_e32 v1, 0xff, v1
	v_cndmask_b32_e32 v2, v4, v2, vcc_lo
	v_cmp_eq_u32_e64 s2, 0, v8
	v_cndmask_b32_e32 v3, v5, v3, vcc_lo
	s_delay_alu instid0(VALU_DEP_4) | instskip(NEXT) | instid1(VALU_DEP_1)
	v_cndmask_b32_e64 v1, v1, 1, vcc_lo
	v_dual_cndmask_b32 v20, 1, v1, s2 :: v_dual_cndmask_b32 v2, v10, v2, s2
	s_delay_alu instid0(VALU_DEP_3)
	v_cndmask_b32_e64 v3, v11, v3, s2
.LBB123_114:
	s_or_b32 exec_lo, exec_lo, s5
	s_wait_dscnt 0x0
	v_dual_add_nc_u32 v6, 2, v6 :: v_dual_bitop2_b32 v5, 8, v7 bitop3:0x54
	ds_bpermute_b32 v1, v5, v20
	ds_bpermute_b32 v4, v5, v2
	ds_bpermute_b32 v5, v5, v3
	v_cmp_gt_u32_e32 vcc_lo, s3, v6
	s_and_saveexec_b32 s3, vcc_lo
	s_cbranch_execz .LBB123_116
; %bb.115:
	s_wait_dscnt 0x0
	v_min_i64 v[6:7], v[4:5], v[2:3]
	v_and_b32_e32 v8, 1, v20
	s_delay_alu instid0(VALU_DEP_1) | instskip(SKIP_2) | instid1(VALU_DEP_2)
	v_cmp_eq_u32_e32 vcc_lo, 1, v8
	v_bitop3_b32 v8, v20, 1, v1 bitop3:0x80
	v_cndmask_b32_e32 v2, v4, v2, vcc_lo
	v_cmp_eq_u32_e64 s2, 0, v8
	v_cndmask_b32_e32 v3, v5, v3, vcc_lo
	v_cndmask_b32_e64 v1, v1, 1, vcc_lo
	s_delay_alu instid0(VALU_DEP_1) | instskip(NEXT) | instid1(VALU_DEP_3)
	v_dual_cndmask_b32 v20, 1, v1, s2 :: v_dual_cndmask_b32 v2, v6, v2, s2
	v_cndmask_b32_e64 v3, v7, v3, s2
.LBB123_116:
	s_or_b32 exec_lo, exec_lo, s3
.LBB123_117:
	s_delay_alu instid0(SALU_CYCLE_1)
	s_or_b32 exec_lo, exec_lo, s4
	v_cmp_eq_u32_e64 s2, 0, v0
	s_and_b32 vcc_lo, exec_lo, s25
	s_cbranch_vccnz .LBB123_17
.LBB123_118:
	s_branch .LBB123_211
.LBB123_119:
	s_clause 0x1
	global_load_b64 v[14:15], v0, s[6:7] offset:3072 scale_offset
	global_load_b64 v[16:17], v0, s[8:9] offset:3072 scale_offset
	v_mov_b32_e32 v11, 0
	s_delay_alu instid0(VALU_DEP_1) | instskip(SKIP_2) | instid1(VALU_DEP_1)
	v_add_nc_u64_e32 v[4:5], s[4:5], v[10:11]
	s_wait_loadcnt 0x0
	v_cmp_ne_u64_e64 s4, v[14:15], v[16:17]
	v_cndmask_b32_e64 v1, 0, 1, s4
	s_or_b32 exec_lo, exec_lo, s21
	s_and_saveexec_b32 s5, s3
	s_cbranch_execz .LBB123_61
.LBB123_120:
	v_and_b32_e32 v10, 1, v20
	v_and_b32_e32 v11, 1, v13
                                        ; implicit-def: $vgpr20
	s_delay_alu instid0(VALU_DEP_2) | instskip(NEXT) | instid1(VALU_DEP_2)
	v_cmp_eq_u32_e64 s3, 1, v10
	v_cmp_eq_u32_e64 s4, 1, v11
	s_and_b32 s4, s3, s4
	s_delay_alu instid0(SALU_CYCLE_1) | instskip(NEXT) | instid1(SALU_CYCLE_1)
	s_xor_b32 s4, s4, -1
	s_and_saveexec_b32 s6, s4
	s_delay_alu instid0(SALU_CYCLE_1)
	s_xor_b32 s4, exec_lo, s6
; %bb.121:
	v_and_b32_e32 v10, 0xffff, v13
	v_dual_cndmask_b32 v3, v9, v3, s3 :: v_dual_cndmask_b32 v2, v8, v2, s3
                                        ; implicit-def: $vgpr8_vgpr9
	s_delay_alu instid0(VALU_DEP_2)
	v_cndmask_b32_e64 v20, v10, 1, s3
; %bb.122:
	s_and_not1_saveexec_b32 s3, s4
	s_cbranch_execz .LBB123_124
; %bb.123:
	s_delay_alu instid0(VALU_DEP_2)
	v_min_i64 v[2:3], v[8:9], v[2:3]
	v_mov_b32_e32 v20, 1
.LBB123_124:
	s_or_b32 exec_lo, exec_lo, s3
	s_delay_alu instid0(SALU_CYCLE_1)
	s_or_b32 exec_lo, exec_lo, s5
	s_and_saveexec_b32 s4, s2
	s_cbranch_execz .LBB123_62
.LBB123_125:
	v_and_b32_e32 v8, 1, v20
	v_and_b32_e32 v9, 1, v12
                                        ; implicit-def: $vgpr20
	s_delay_alu instid0(VALU_DEP_2) | instskip(NEXT) | instid1(VALU_DEP_2)
	v_cmp_eq_u32_e64 s2, 1, v8
	v_cmp_eq_u32_e64 s3, 1, v9
	s_and_b32 s3, s2, s3
	s_delay_alu instid0(SALU_CYCLE_1) | instskip(NEXT) | instid1(SALU_CYCLE_1)
	s_xor_b32 s3, s3, -1
	s_and_saveexec_b32 s5, s3
	s_delay_alu instid0(SALU_CYCLE_1)
	s_xor_b32 s3, exec_lo, s5
; %bb.126:
	v_and_b32_e32 v8, 0xffff, v12
	v_dual_cndmask_b32 v3, v7, v3, s2 :: v_dual_cndmask_b32 v2, v6, v2, s2
                                        ; implicit-def: $vgpr6_vgpr7
	s_delay_alu instid0(VALU_DEP_2)
	v_cndmask_b32_e64 v20, v8, 1, s2
; %bb.127:
	s_and_not1_saveexec_b32 s2, s3
	s_cbranch_execz .LBB123_129
; %bb.128:
	s_delay_alu instid0(VALU_DEP_2)
	v_min_i64 v[2:3], v[6:7], v[2:3]
	v_mov_b32_e32 v20, 1
.LBB123_129:
	s_or_b32 exec_lo, exec_lo, s2
	s_delay_alu instid0(SALU_CYCLE_1)
	s_or_b32 exec_lo, exec_lo, s4
	s_and_saveexec_b32 s3, vcc_lo
	s_cbranch_execz .LBB123_135
.LBB123_130:
	v_and_b32_e32 v6, 1, v20
	v_and_b32_e32 v7, 1, v1
                                        ; implicit-def: $vgpr20
	s_delay_alu instid0(VALU_DEP_2) | instskip(NEXT) | instid1(VALU_DEP_2)
	v_cmp_eq_u32_e32 vcc_lo, 1, v6
	v_cmp_eq_u32_e64 s2, 1, v7
	s_and_b32 s2, vcc_lo, s2
	s_delay_alu instid0(SALU_CYCLE_1) | instskip(NEXT) | instid1(SALU_CYCLE_1)
	s_xor_b32 s2, s2, -1
	s_and_saveexec_b32 s4, s2
	s_delay_alu instid0(SALU_CYCLE_1)
	s_xor_b32 s2, exec_lo, s4
; %bb.131:
	v_and_b32_e32 v1, 0xffff, v1
	v_dual_cndmask_b32 v3, v5, v3 :: v_dual_cndmask_b32 v2, v4, v2
                                        ; implicit-def: $vgpr4_vgpr5
	s_delay_alu instid0(VALU_DEP_2)
	v_cndmask_b32_e64 v20, v1, 1, vcc_lo
; %bb.132:
	s_and_not1_saveexec_b32 s2, s2
	s_cbranch_execz .LBB123_134
; %bb.133:
	s_delay_alu instid0(VALU_DEP_2)
	v_min_i64 v[2:3], v[4:5], v[2:3]
	v_mov_b32_e32 v20, 1
.LBB123_134:
	s_or_b32 exec_lo, exec_lo, s2
.LBB123_135:
	s_delay_alu instid0(SALU_CYCLE_1) | instskip(SKIP_4) | instid1(VALU_DEP_2)
	s_or_b32 exec_lo, exec_lo, s3
	v_mbcnt_lo_u32_b32 v1, -1, 0
	v_and_b32_e32 v6, 0x60, v0
	s_min_u32 s3, s20, 0x80
	s_mov_b32 s2, exec_lo
	v_cmp_ne_u32_e32 vcc_lo, 31, v1
	s_delay_alu instid0(VALU_DEP_2) | instskip(SKIP_2) | instid1(VALU_DEP_1)
	v_sub_nc_u32_e64 v6, s3, v6 clamp
	v_add_nc_u32_e32 v8, 1, v1
	v_add_co_ci_u32_e64 v4, null, 0, v1, vcc_lo
	v_lshlrev_b32_e32 v5, 2, v4
	ds_bpermute_b32 v7, v5, v20
	ds_bpermute_b32 v4, v5, v2
	;; [unrolled: 1-line block ×3, first 2 shown]
	v_cmpx_lt_u32_e64 v8, v6
	s_xor_b32 s4, exec_lo, s2
	s_cbranch_execz .LBB123_137
; %bb.136:
	s_wait_dscnt 0x0
	v_min_i64 v[8:9], v[4:5], v[2:3]
	v_and_b32_e32 v10, 1, v20
	s_delay_alu instid0(VALU_DEP_1) | instskip(SKIP_3) | instid1(VALU_DEP_3)
	v_cmp_eq_u32_e32 vcc_lo, 1, v10
	v_and_b32_e32 v10, v7, v20
	v_and_b32_e32 v7, 0xff, v7
	v_dual_cndmask_b32 v2, v4, v2 :: v_dual_cndmask_b32 v3, v5, v3
	v_cmp_eq_u32_e64 s2, 0, v10
	s_delay_alu instid0(VALU_DEP_3) | instskip(NEXT) | instid1(VALU_DEP_1)
	v_cndmask_b32_e64 v4, v7, 1, vcc_lo
	v_dual_cndmask_b32 v20, 1, v4, s2 :: v_dual_cndmask_b32 v3, v9, v3, s2
	s_delay_alu instid0(VALU_DEP_4)
	v_cndmask_b32_e64 v2, v8, v2, s2
.LBB123_137:
	s_or_b32 exec_lo, exec_lo, s4
	v_cmp_gt_u32_e32 vcc_lo, 30, v1
	v_add_nc_u32_e32 v8, 2, v1
	s_mov_b32 s4, exec_lo
	s_wait_dscnt 0x1
	v_cndmask_b32_e64 v4, 0, 2, vcc_lo
	s_wait_dscnt 0x0
	s_delay_alu instid0(VALU_DEP_1)
	v_add_lshl_u32 v5, v4, v1, 2
	ds_bpermute_b32 v7, v5, v20
	ds_bpermute_b32 v4, v5, v2
	ds_bpermute_b32 v5, v5, v3
	v_cmpx_lt_u32_e64 v8, v6
	s_cbranch_execz .LBB123_139
; %bb.138:
	s_wait_dscnt 0x0
	v_min_i64 v[8:9], v[4:5], v[2:3]
	v_and_b32_e32 v10, 1, v20
	s_delay_alu instid0(VALU_DEP_1) | instskip(SKIP_3) | instid1(VALU_DEP_3)
	v_cmp_eq_u32_e32 vcc_lo, 1, v10
	v_bitop3_b32 v10, v20, 1, v7 bitop3:0x80
	v_and_b32_e32 v7, 0xff, v7
	v_cndmask_b32_e32 v2, v4, v2, vcc_lo
	v_cmp_eq_u32_e64 s2, 0, v10
	v_cndmask_b32_e32 v3, v5, v3, vcc_lo
	s_delay_alu instid0(VALU_DEP_4) | instskip(NEXT) | instid1(VALU_DEP_1)
	v_cndmask_b32_e64 v4, v7, 1, vcc_lo
	v_dual_cndmask_b32 v20, 1, v4, s2 :: v_dual_cndmask_b32 v2, v8, v2, s2
	s_delay_alu instid0(VALU_DEP_3)
	v_cndmask_b32_e64 v3, v9, v3, s2
.LBB123_139:
	s_or_b32 exec_lo, exec_lo, s4
	v_cmp_gt_u32_e32 vcc_lo, 28, v1
	v_add_nc_u32_e32 v8, 4, v1
	s_mov_b32 s4, exec_lo
	s_wait_dscnt 0x1
	v_cndmask_b32_e64 v4, 0, 4, vcc_lo
	s_wait_dscnt 0x0
	s_delay_alu instid0(VALU_DEP_1)
	v_add_lshl_u32 v5, v4, v1, 2
	ds_bpermute_b32 v7, v5, v20
	ds_bpermute_b32 v4, v5, v2
	ds_bpermute_b32 v5, v5, v3
	v_cmpx_lt_u32_e64 v8, v6
	s_cbranch_execz .LBB123_141
; %bb.140:
	s_wait_dscnt 0x0
	v_min_i64 v[8:9], v[4:5], v[2:3]
	v_and_b32_e32 v10, 1, v20
	s_delay_alu instid0(VALU_DEP_1) | instskip(SKIP_3) | instid1(VALU_DEP_3)
	v_cmp_eq_u32_e32 vcc_lo, 1, v10
	v_bitop3_b32 v10, v20, 1, v7 bitop3:0x80
	v_and_b32_e32 v7, 0xff, v7
	v_cndmask_b32_e32 v2, v4, v2, vcc_lo
	v_cmp_eq_u32_e64 s2, 0, v10
	v_cndmask_b32_e32 v3, v5, v3, vcc_lo
	s_delay_alu instid0(VALU_DEP_4) | instskip(NEXT) | instid1(VALU_DEP_1)
	v_cndmask_b32_e64 v4, v7, 1, vcc_lo
	v_dual_cndmask_b32 v20, 1, v4, s2 :: v_dual_cndmask_b32 v2, v8, v2, s2
	s_delay_alu instid0(VALU_DEP_3)
	v_cndmask_b32_e64 v3, v9, v3, s2
.LBB123_141:
	;; [unrolled: 31-line block ×3, first 2 shown]
	s_or_b32 exec_lo, exec_lo, s4
	s_wait_dscnt 0x2
	v_dual_lshlrev_b32 v7, 2, v1 :: v_dual_add_nc_u32 v9, 16, v1
	s_wait_dscnt 0x0
	s_delay_alu instid0(VALU_DEP_1) | instskip(NEXT) | instid1(VALU_DEP_2)
	v_or_b32_e32 v5, 64, v7
	v_cmp_lt_u32_e32 vcc_lo, v9, v6
	v_mov_b32_e32 v6, v20
	ds_bpermute_b32 v8, v5, v20
	ds_bpermute_b32 v4, v5, v2
	;; [unrolled: 1-line block ×3, first 2 shown]
	s_and_saveexec_b32 s4, vcc_lo
	s_cbranch_execz .LBB123_145
; %bb.144:
	s_wait_dscnt 0x0
	v_min_i64 v[10:11], v[4:5], v[2:3]
	v_and_b32_e32 v6, 1, v20
	v_bitop3_b32 v9, v20, 1, v8 bitop3:0x80
	s_delay_alu instid0(VALU_DEP_2) | instskip(NEXT) | instid1(VALU_DEP_2)
	v_cmp_eq_u32_e32 vcc_lo, 1, v6
	v_cmp_eq_u32_e64 s2, 0, v9
	v_cndmask_b32_e64 v6, v8, 1, vcc_lo
	v_dual_cndmask_b32 v3, v5, v3 :: v_dual_cndmask_b32 v2, v4, v2
	s_delay_alu instid0(VALU_DEP_2) | instskip(NEXT) | instid1(VALU_DEP_1)
	v_cndmask_b32_e64 v6, 1, v6, s2
	v_and_b32_e32 v20, 0xff, v6
	s_delay_alu instid0(VALU_DEP_3)
	v_dual_cndmask_b32 v3, v11, v3, s2 :: v_dual_cndmask_b32 v2, v10, v2, s2
.LBB123_145:
	s_or_b32 exec_lo, exec_lo, s4
	s_delay_alu instid0(SALU_CYCLE_1)
	s_mov_b32 s2, exec_lo
	v_cmpx_eq_u32_e32 0, v1
	s_cbranch_execz .LBB123_147
; %bb.146:
	s_wait_dscnt 0x1
	v_lshrrev_b32_e32 v4, 1, v0
	s_delay_alu instid0(VALU_DEP_1)
	v_and_b32_e32 v4, 48, v4
	ds_store_b8 v4, v6 offset:256
	ds_store_b64 v4, v[2:3] offset:264
.LBB123_147:
	s_or_b32 exec_lo, exec_lo, s2
	s_delay_alu instid0(SALU_CYCLE_1)
	s_mov_b32 s4, exec_lo
	s_wait_dscnt 0x0
	s_barrier_signal -1
	s_barrier_wait -1
	v_cmpx_gt_u32_e32 4, v0
	s_cbranch_execz .LBB123_153
; %bb.148:
	v_dual_lshlrev_b32 v2, 4, v1 :: v_dual_bitop2_b32 v6, 3, v1 bitop3:0x40
	s_add_co_i32 s3, s3, 31
	s_mov_b32 s5, exec_lo
	s_lshr_b32 s3, s3, 5
	ds_load_u8 v8, v2 offset:256
	ds_load_b64 v[2:3], v2 offset:264
	v_cmp_ne_u32_e32 vcc_lo, 3, v6
	v_add_nc_u32_e32 v9, 1, v6
	v_add_co_ci_u32_e64 v1, null, 0, v1, vcc_lo
	s_delay_alu instid0(VALU_DEP_1)
	v_lshlrev_b32_e32 v5, 2, v1
	s_wait_dscnt 0x1
	v_and_b32_e32 v20, 0xff, v8
	s_wait_dscnt 0x0
	ds_bpermute_b32 v4, v5, v2
	ds_bpermute_b32 v1, v5, v20
	;; [unrolled: 1-line block ×3, first 2 shown]
	v_cmpx_gt_u32_e64 s3, v9
	s_cbranch_execz .LBB123_150
; %bb.149:
	s_wait_dscnt 0x0
	v_min_i64 v[10:11], v[4:5], v[2:3]
	v_and_b32_e32 v8, 1, v8
	s_delay_alu instid0(VALU_DEP_1) | instskip(SKIP_3) | instid1(VALU_DEP_3)
	v_cmp_eq_u32_e32 vcc_lo, 1, v8
	v_bitop3_b32 v8, v20, 1, v1 bitop3:0x80
	v_and_b32_e32 v1, 0xff, v1
	v_cndmask_b32_e32 v2, v4, v2, vcc_lo
	v_cmp_eq_u32_e64 s2, 0, v8
	v_cndmask_b32_e32 v3, v5, v3, vcc_lo
	s_delay_alu instid0(VALU_DEP_4) | instskip(NEXT) | instid1(VALU_DEP_1)
	v_cndmask_b32_e64 v1, v1, 1, vcc_lo
	v_dual_cndmask_b32 v20, 1, v1, s2 :: v_dual_cndmask_b32 v2, v10, v2, s2
	s_delay_alu instid0(VALU_DEP_3)
	v_cndmask_b32_e64 v3, v11, v3, s2
.LBB123_150:
	s_or_b32 exec_lo, exec_lo, s5
	s_wait_dscnt 0x0
	v_dual_add_nc_u32 v6, 2, v6 :: v_dual_bitop2_b32 v5, 8, v7 bitop3:0x54
	ds_bpermute_b32 v1, v5, v20
	ds_bpermute_b32 v4, v5, v2
	;; [unrolled: 1-line block ×3, first 2 shown]
	v_cmp_gt_u32_e32 vcc_lo, s3, v6
	s_and_saveexec_b32 s3, vcc_lo
	s_cbranch_execz .LBB123_152
; %bb.151:
	s_wait_dscnt 0x0
	v_min_i64 v[6:7], v[4:5], v[2:3]
	v_and_b32_e32 v8, 1, v20
	s_delay_alu instid0(VALU_DEP_1) | instskip(SKIP_2) | instid1(VALU_DEP_2)
	v_cmp_eq_u32_e32 vcc_lo, 1, v8
	v_bitop3_b32 v8, v20, 1, v1 bitop3:0x80
	v_cndmask_b32_e32 v2, v4, v2, vcc_lo
	v_cmp_eq_u32_e64 s2, 0, v8
	v_cndmask_b32_e32 v3, v5, v3, vcc_lo
	v_cndmask_b32_e64 v1, v1, 1, vcc_lo
	s_delay_alu instid0(VALU_DEP_1) | instskip(NEXT) | instid1(VALU_DEP_3)
	v_dual_cndmask_b32 v20, 1, v1, s2 :: v_dual_cndmask_b32 v2, v6, v2, s2
	v_cndmask_b32_e64 v3, v7, v3, s2
.LBB123_152:
	s_or_b32 exec_lo, exec_lo, s3
.LBB123_153:
	s_delay_alu instid0(SALU_CYCLE_1)
	s_or_b32 exec_lo, exec_lo, s4
.LBB123_154:
	v_cmp_eq_u32_e64 s2, 0, v0
	s_branch .LBB123_211
.LBB123_155:
	s_cmp_gt_i32 s24, 1
	s_cbranch_scc0 .LBB123_167
; %bb.156:
	s_cmp_eq_u32 s24, 2
	s_cbranch_scc0 .LBB123_168
; %bb.157:
	s_bfe_u32 s2, ttmp6, 0x4000c
	s_and_b32 s3, ttmp6, 15
	s_add_co_i32 s2, s2, 1
	s_getreg_b32 s4, hwreg(HW_REG_IB_STS2, 6, 4)
	s_mul_i32 s2, ttmp9, s2
	s_mov_b32 s11, 0
	s_add_co_i32 s3, s3, s2
	s_cmp_eq_u32 s4, 0
	s_mov_b32 s21, s11
	s_cselect_b32 s10, ttmp9, s3
	s_lshr_b64 s[2:3], s[14:15], 8
	s_lshl_b32 s20, s10, 8
	s_delay_alu instid0(SALU_CYCLE_1)
	s_lshl_b64 s[6:7], s[20:21], 3
	s_cmp_lg_u64 s[2:3], s[10:11]
	s_add_nc_u64 s[4:5], s[16:17], s[6:7]
	s_add_nc_u64 s[8:9], s[18:19], s[6:7]
	;; [unrolled: 1-line block ×3, first 2 shown]
	s_cbranch_scc0 .LBB123_169
; %bb.158:
	global_load_b64 v[2:3], v0, s[4:5] scale_offset
	s_wait_dscnt 0x0
	s_clause 0x2
	global_load_b64 v[4:5], v0, s[8:9] scale_offset
	global_load_b64 v[6:7], v0, s[8:9] offset:1024 scale_offset
	global_load_b64 v[8:9], v0, s[4:5] offset:1024 scale_offset
	s_wait_loadcnt 0x2
	v_cmp_ne_u64_e32 vcc_lo, v[2:3], v[4:5]
	v_mov_b32_e32 v1, 0
	s_wait_loadcnt 0x0
	v_cmp_ne_u64_e64 s2, v[8:9], v[6:7]
	s_delay_alu instid0(VALU_DEP_2) | instskip(NEXT) | instid1(VALU_DEP_1)
	v_add_nc_u64_e32 v[10:11], s[6:7], v[0:1]
	v_add_nc_u64_e32 v[12:13], 0x80, v[10:11]
	s_delay_alu instid0(VALU_DEP_1) | instskip(NEXT) | instid1(VALU_DEP_1)
	v_cndmask_b32_e32 v3, v13, v11, vcc_lo
	v_mov_b32_dpp v5, v3 quad_perm:[1,0,3,2] row_mask:0xf bank_mask:0xf
	s_delay_alu instid0(VALU_DEP_3) | instskip(SKIP_3) | instid1(VALU_DEP_2)
	v_cndmask_b32_e32 v2, v12, v10, vcc_lo
	s_or_b32 vcc_lo, vcc_lo, s2
	s_mov_b32 s2, exec_lo
	v_cndmask_b32_e64 v8, 0, 1, vcc_lo
	v_mov_b32_dpp v4, v2 quad_perm:[1,0,3,2] row_mask:0xf bank_mask:0xf
	s_delay_alu instid0(VALU_DEP_2) | instskip(NEXT) | instid1(VALU_DEP_2)
	v_mov_b32_dpp v6, v8 quad_perm:[1,0,3,2] row_mask:0xf bank_mask:0xf
	v_min_i64 v[10:11], v[2:3], v[4:5]
	s_delay_alu instid0(VALU_DEP_1) | instskip(NEXT) | instid1(VALU_DEP_2)
	v_dual_cndmask_b32 v5, v5, v11, vcc_lo :: v_dual_bitop2_b32 v6, 1, v6 bitop3:0x40
	v_cndmask_b32_e32 v4, v4, v10, vcc_lo
	s_delay_alu instid0(VALU_DEP_2) | instskip(SKIP_1) | instid1(VALU_DEP_1)
	v_cmp_eq_u32_e32 vcc_lo, 1, v6
	v_cndmask_b32_e64 v8, v8, 1, vcc_lo
	v_dual_cndmask_b32 v3, v3, v5, vcc_lo :: v_dual_bitop2_b32 v9, 1, v8 bitop3:0x40
	v_mov_b32_dpp v10, v8 quad_perm:[2,3,0,1] row_mask:0xf bank_mask:0xf
	v_cndmask_b32_e32 v2, v2, v4, vcc_lo
	s_delay_alu instid0(VALU_DEP_3) | instskip(NEXT) | instid1(VALU_DEP_4)
	v_mov_b32_dpp v5, v3 quad_perm:[2,3,0,1] row_mask:0xf bank_mask:0xf
	v_cmp_eq_u32_e32 vcc_lo, 1, v9
	s_delay_alu instid0(VALU_DEP_4) | instskip(NEXT) | instid1(VALU_DEP_4)
	v_and_b32_e32 v9, 1, v10
	v_mov_b32_dpp v4, v2 quad_perm:[2,3,0,1] row_mask:0xf bank_mask:0xf
	s_delay_alu instid0(VALU_DEP_1) | instskip(NEXT) | instid1(VALU_DEP_1)
	v_min_i64 v[6:7], v[2:3], v[4:5]
	v_dual_cndmask_b32 v4, v4, v6 :: v_dual_cndmask_b32 v5, v5, v7
	s_delay_alu instid0(VALU_DEP_4) | instskip(NEXT) | instid1(VALU_DEP_2)
	v_cmp_eq_u32_e32 vcc_lo, 1, v9
	v_dual_cndmask_b32 v3, v3, v5 :: v_dual_cndmask_b32 v2, v2, v4
	v_cndmask_b32_e64 v8, v8, 1, vcc_lo
	s_delay_alu instid0(VALU_DEP_2) | instskip(NEXT) | instid1(VALU_DEP_3)
	v_mov_b32_dpp v5, v3 row_ror:4 row_mask:0xf bank_mask:0xf
	v_mov_b32_dpp v4, v2 row_ror:4 row_mask:0xf bank_mask:0xf
	s_delay_alu instid0(VALU_DEP_3) | instskip(NEXT) | instid1(VALU_DEP_2)
	v_mov_b32_dpp v10, v8 row_ror:4 row_mask:0xf bank_mask:0xf
	v_min_i64 v[6:7], v[2:3], v[4:5]
	v_and_b32_e32 v9, 1, v8
	s_delay_alu instid0(VALU_DEP_1) | instskip(NEXT) | instid1(VALU_DEP_3)
	v_cmp_eq_u32_e32 vcc_lo, 1, v9
	v_dual_cndmask_b32 v5, v5, v7, vcc_lo :: v_dual_bitop2_b32 v9, 1, v10 bitop3:0x40
	s_delay_alu instid0(VALU_DEP_4) | instskip(NEXT) | instid1(VALU_DEP_2)
	v_cndmask_b32_e32 v4, v4, v6, vcc_lo
	v_cmp_eq_u32_e32 vcc_lo, 1, v9
	s_delay_alu instid0(VALU_DEP_2) | instskip(SKIP_1) | instid1(VALU_DEP_2)
	v_dual_cndmask_b32 v3, v3, v5 :: v_dual_cndmask_b32 v2, v2, v4
	v_cndmask_b32_e64 v8, v8, 1, vcc_lo
	v_mov_b32_dpp v5, v3 row_ror:8 row_mask:0xf bank_mask:0xf
	s_delay_alu instid0(VALU_DEP_3) | instskip(NEXT) | instid1(VALU_DEP_3)
	v_mov_b32_dpp v4, v2 row_ror:8 row_mask:0xf bank_mask:0xf
	v_mov_b32_dpp v10, v8 row_ror:8 row_mask:0xf bank_mask:0xf
	s_delay_alu instid0(VALU_DEP_2) | instskip(SKIP_1) | instid1(VALU_DEP_1)
	v_min_i64 v[6:7], v[2:3], v[4:5]
	v_and_b32_e32 v9, 1, v8
	v_cmp_eq_u32_e32 vcc_lo, 1, v9
	s_delay_alu instid0(VALU_DEP_3) | instskip(NEXT) | instid1(VALU_DEP_4)
	v_dual_cndmask_b32 v5, v5, v7, vcc_lo :: v_dual_bitop2_b32 v9, 1, v10 bitop3:0x40
	v_cndmask_b32_e32 v4, v4, v6, vcc_lo
	s_delay_alu instid0(VALU_DEP_2) | instskip(NEXT) | instid1(VALU_DEP_2)
	v_cmp_eq_u32_e32 vcc_lo, 1, v9
	v_dual_cndmask_b32 v3, v3, v5 :: v_dual_cndmask_b32 v2, v2, v4
	v_cndmask_b32_e64 v8, v8, 1, vcc_lo
	ds_swizzle_b32 v5, v3 offset:swizzle(BROADCAST,32,15)
	ds_swizzle_b32 v4, v2 offset:swizzle(BROADCAST,32,15)
	;; [unrolled: 1-line block ×3, first 2 shown]
	s_wait_dscnt 0x1
	v_min_i64 v[6:7], v[2:3], v[4:5]
	v_and_b32_e32 v10, 1, v8
	s_delay_alu instid0(VALU_DEP_1) | instskip(SKIP_1) | instid1(VALU_DEP_3)
	v_cmp_eq_u32_e32 vcc_lo, 1, v10
	s_wait_dscnt 0x0
	v_dual_cndmask_b32 v5, v5, v7, vcc_lo :: v_dual_bitop2_b32 v9, 1, v9 bitop3:0x40
	s_delay_alu instid0(VALU_DEP_4) | instskip(NEXT) | instid1(VALU_DEP_2)
	v_cndmask_b32_e32 v4, v4, v6, vcc_lo
	v_cmp_eq_u32_e32 vcc_lo, 1, v9
	s_delay_alu instid0(VALU_DEP_2)
	v_dual_cndmask_b32 v3, v3, v5 :: v_dual_cndmask_b32 v2, v2, v4
	v_cndmask_b32_e64 v5, v8, 1, vcc_lo
	ds_bpermute_b32 v3, v1, v3 offset:124
	ds_bpermute_b32 v2, v1, v2 offset:124
	;; [unrolled: 1-line block ×3, first 2 shown]
	v_mbcnt_lo_u32_b32 v1, -1, 0
	s_delay_alu instid0(VALU_DEP_1)
	v_cmpx_eq_u32_e32 0, v1
	s_cbranch_execz .LBB123_160
; %bb.159:
	v_lshrrev_b32_e32 v4, 1, v0
	s_delay_alu instid0(VALU_DEP_1)
	v_and_b32_e32 v4, 48, v4
	s_wait_dscnt 0x0
	ds_store_b8 v4, v20 offset:64
	ds_store_b64 v4, v[2:3] offset:72
.LBB123_160:
	s_or_b32 exec_lo, exec_lo, s2
	s_delay_alu instid0(SALU_CYCLE_1)
	s_mov_b32 s2, exec_lo
	s_wait_dscnt 0x0
	s_barrier_signal -1
	s_barrier_wait -1
	v_cmpx_gt_u32_e32 32, v0
	s_cbranch_execz .LBB123_166
; %bb.161:
	v_and_b32_e32 v2, 3, v1
	s_delay_alu instid0(VALU_DEP_1) | instskip(SKIP_2) | instid1(VALU_DEP_1)
	v_cmp_ne_u32_e32 vcc_lo, 3, v2
	v_lshlrev_b32_e32 v3, 4, v2
	v_add_co_ci_u32_e64 v2, null, 0, v1, vcc_lo
	v_lshlrev_b32_e32 v2, 2, v2
	ds_load_u8 v8, v3 offset:64
	ds_load_b64 v[4:5], v3 offset:72
	s_wait_dscnt 0x1
	v_and_b32_e32 v3, 0xff, v8
	s_wait_dscnt 0x0
	ds_bpermute_b32 v6, v2, v4
	ds_bpermute_b32 v7, v2, v5
	;; [unrolled: 1-line block ×3, first 2 shown]
	s_wait_dscnt 0x0
	v_and_b32_e32 v2, v8, v9
	s_delay_alu instid0(VALU_DEP_1) | instskip(NEXT) | instid1(VALU_DEP_1)
	v_and_b32_e32 v2, 1, v2
	v_cmp_eq_u32_e32 vcc_lo, 1, v2
                                        ; implicit-def: $vgpr2_vgpr3
	s_and_saveexec_b32 s3, vcc_lo
	s_delay_alu instid0(SALU_CYCLE_1)
	s_xor_b32 s3, exec_lo, s3
; %bb.162:
	v_min_i64 v[2:3], v[6:7], v[4:5]
                                        ; implicit-def: $vgpr8
                                        ; implicit-def: $vgpr6_vgpr7
                                        ; implicit-def: $vgpr4_vgpr5
                                        ; implicit-def: $vgpr9
; %bb.163:
	s_or_saveexec_b32 s3, s3
	v_dual_mov_b32 v10, 1 :: v_dual_lshlrev_b32 v1, 2, v1
	s_xor_b32 exec_lo, exec_lo, s3
; %bb.164:
	v_and_b32_e32 v2, 1, v8
	v_and_b32_e32 v8, 0xff, v9
	s_delay_alu instid0(VALU_DEP_2) | instskip(SKIP_1) | instid1(VALU_DEP_3)
	v_cmp_eq_u32_e32 vcc_lo, 1, v2
	v_dual_cndmask_b32 v3, v7, v5 :: v_dual_cndmask_b32 v2, v6, v4
	v_cndmask_b32_e64 v10, v8, 1, vcc_lo
; %bb.165:
	s_or_b32 exec_lo, exec_lo, s3
	s_delay_alu instid0(VALU_DEP_1) | instskip(NEXT) | instid1(VALU_DEP_1)
	v_and_b32_e32 v8, 1, v10
	v_cmp_eq_u32_e32 vcc_lo, 1, v8
	v_or_b32_e32 v1, 8, v1
	ds_bpermute_b32 v4, v1, v2
	ds_bpermute_b32 v5, v1, v3
	s_wait_dscnt 0x0
	v_min_i64 v[6:7], v[4:5], v[2:3]
	v_cndmask_b32_e32 v2, v4, v2, vcc_lo
	ds_bpermute_b32 v1, v1, v10
	v_cndmask_b32_e32 v3, v5, v3, vcc_lo
	s_wait_dscnt 0x0
	v_bitop3_b32 v8, v10, 1, v1 bitop3:0x80
	v_cndmask_b32_e64 v1, v1, 1, vcc_lo
	s_delay_alu instid0(VALU_DEP_2) | instskip(NEXT) | instid1(VALU_DEP_2)
	v_cmp_eq_u32_e32 vcc_lo, 0, v8
	v_dual_cndmask_b32 v20, 1, v1 :: v_dual_cndmask_b32 v3, v7, v3
	v_cndmask_b32_e32 v2, v6, v2, vcc_lo
.LBB123_166:
	s_or_b32 exec_lo, exec_lo, s2
	s_branch .LBB123_193
.LBB123_167:
                                        ; implicit-def: $sgpr10_sgpr11
                                        ; implicit-def: $vgpr2_vgpr3
                                        ; implicit-def: $vgpr20
	s_cbranch_execnz .LBB123_194
	s_branch .LBB123_211
.LBB123_168:
                                        ; implicit-def: $sgpr10_sgpr11
                                        ; implicit-def: $vgpr2_vgpr3
                                        ; implicit-def: $vgpr20
	s_branch .LBB123_211
.LBB123_169:
                                        ; implicit-def: $vgpr2_vgpr3
                                        ; implicit-def: $vgpr20
	s_cbranch_execz .LBB123_193
; %bb.170:
	s_wait_dscnt 0x0
	v_mov_b64_e32 v[4:5], 0
	v_mov_b64_e32 v[2:3], 0
	v_dual_mov_b32 v7, 0 :: v_dual_mov_b32 v1, 0
	s_sub_co_i32 s20, s14, s20
	s_mov_b32 s2, exec_lo
	v_cmpx_gt_u32_e64 s20, v0
	s_cbranch_execz .LBB123_172
; %bb.171:
	s_clause 0x1
	global_load_b64 v[8:9], v0, s[4:5] scale_offset
	global_load_b64 v[10:11], v0, s[8:9] scale_offset
	v_mov_b32_e32 v1, 0
	s_delay_alu instid0(VALU_DEP_1)
	v_add_nc_u64_e32 v[2:3], s[6:7], v[0:1]
	s_wait_loadcnt 0x0
	v_cmp_ne_u64_e32 vcc_lo, v[8:9], v[10:11]
	v_cndmask_b32_e64 v1, 0, 1, vcc_lo
.LBB123_172:
	s_or_b32 exec_lo, exec_lo, s2
	v_or_b32_e32 v6, 0x80, v0
	s_delay_alu instid0(VALU_DEP_1)
	v_cmp_gt_u32_e32 vcc_lo, s20, v6
	s_and_saveexec_b32 s3, vcc_lo
	s_cbranch_execz .LBB123_174
; %bb.173:
	s_clause 0x1
	global_load_b64 v[8:9], v0, s[4:5] offset:1024 scale_offset
	global_load_b64 v[10:11], v0, s[8:9] offset:1024 scale_offset
	v_mov_b32_e32 v7, 0
	s_delay_alu instid0(VALU_DEP_1) | instskip(SKIP_2) | instid1(VALU_DEP_1)
	v_add_nc_u64_e32 v[4:5], s[6:7], v[6:7]
	s_wait_loadcnt 0x0
	v_cmp_ne_u64_e64 s2, v[8:9], v[10:11]
	v_cndmask_b32_e64 v7, 0, 1, s2
.LBB123_174:
	s_or_b32 exec_lo, exec_lo, s3
	s_delay_alu instid0(VALU_DEP_3) | instskip(NEXT) | instid1(VALU_DEP_2)
	v_min_i64 v[8:9], v[4:5], v[2:3]
	v_and_b32_e32 v6, 1, v7
	v_and_b32_e32 v10, 0xffff, v1
	;; [unrolled: 1-line block ×3, first 2 shown]
	s_mov_b32 s4, exec_lo
	s_delay_alu instid0(VALU_DEP_3) | instskip(SKIP_2) | instid1(VALU_DEP_1)
	v_cmp_eq_u32_e64 s2, 1, v6
	v_and_b32_e32 v6, 1, v1
	v_mbcnt_lo_u32_b32 v1, -1, 0
	v_cmp_ne_u32_e64 s3, 31, v1
	s_delay_alu instid0(VALU_DEP_4) | instskip(NEXT) | instid1(VALU_DEP_4)
	v_dual_cndmask_b32 v9, v3, v9, s2 :: v_dual_cndmask_b32 v8, v2, v8, s2
	v_cmp_eq_u32_e64 s2, 1, v6
	s_delay_alu instid0(VALU_DEP_1) | instskip(NEXT) | instid1(VALU_DEP_4)
	v_cndmask_b32_e64 v6, v7, 1, s2
	v_add_co_ci_u32_e64 v7, null, 0, v1, s3
	s_delay_alu instid0(VALU_DEP_4) | instskip(NEXT) | instid1(VALU_DEP_2)
	v_dual_cndmask_b32 v4, v4, v8, s2 :: v_dual_cndmask_b32 v5, v5, v9, s2
	v_dual_cndmask_b32 v20, v10, v6, vcc_lo :: v_dual_lshlrev_b32 v6, 2, v7
	s_min_u32 s3, s20, 0x80
	s_delay_alu instid0(VALU_DEP_2)
	v_dual_cndmask_b32 v2, v2, v4 :: v_dual_cndmask_b32 v3, v3, v5
	v_add_nc_u32_e32 v8, 1, v1
	ds_bpermute_b32 v7, v6, v20
	ds_bpermute_b32 v4, v6, v2
	;; [unrolled: 1-line block ×3, first 2 shown]
	v_and_b32_e32 v6, 0x60, v0
	s_delay_alu instid0(VALU_DEP_1) | instskip(NEXT) | instid1(VALU_DEP_1)
	v_sub_nc_u32_e64 v6, s3, v6 clamp
	v_cmpx_lt_u32_e64 v8, v6
	s_cbranch_execz .LBB123_176
; %bb.175:
	s_wait_dscnt 0x0
	v_min_i64 v[8:9], v[4:5], v[2:3]
	v_and_b32_e32 v10, 1, v20
	s_delay_alu instid0(VALU_DEP_1) | instskip(SKIP_3) | instid1(VALU_DEP_3)
	v_cmp_eq_u32_e32 vcc_lo, 1, v10
	v_and_b32_e32 v10, v20, v7
	v_and_b32_e32 v7, 0xff, v7
	v_cndmask_b32_e32 v2, v4, v2, vcc_lo
	v_cmp_eq_u32_e64 s2, 0, v10
	v_cndmask_b32_e32 v3, v5, v3, vcc_lo
	s_delay_alu instid0(VALU_DEP_4) | instskip(NEXT) | instid1(VALU_DEP_1)
	v_cndmask_b32_e64 v4, v7, 1, vcc_lo
	v_dual_cndmask_b32 v20, 1, v4, s2 :: v_dual_cndmask_b32 v2, v8, v2, s2
	s_delay_alu instid0(VALU_DEP_3)
	v_cndmask_b32_e64 v3, v9, v3, s2
.LBB123_176:
	s_or_b32 exec_lo, exec_lo, s4
	v_cmp_gt_u32_e32 vcc_lo, 30, v1
	v_add_nc_u32_e32 v8, 2, v1
	s_mov_b32 s4, exec_lo
	s_wait_dscnt 0x1
	v_cndmask_b32_e64 v4, 0, 2, vcc_lo
	s_wait_dscnt 0x0
	s_delay_alu instid0(VALU_DEP_1)
	v_add_lshl_u32 v5, v4, v1, 2
	ds_bpermute_b32 v7, v5, v20
	ds_bpermute_b32 v4, v5, v2
	ds_bpermute_b32 v5, v5, v3
	v_cmpx_lt_u32_e64 v8, v6
	s_cbranch_execz .LBB123_178
; %bb.177:
	s_wait_dscnt 0x0
	v_min_i64 v[8:9], v[4:5], v[2:3]
	v_and_b32_e32 v10, 1, v20
	s_delay_alu instid0(VALU_DEP_1) | instskip(SKIP_3) | instid1(VALU_DEP_3)
	v_cmp_eq_u32_e32 vcc_lo, 1, v10
	v_bitop3_b32 v10, v20, 1, v7 bitop3:0x80
	v_and_b32_e32 v7, 0xff, v7
	v_cndmask_b32_e32 v2, v4, v2, vcc_lo
	v_cmp_eq_u32_e64 s2, 0, v10
	v_cndmask_b32_e32 v3, v5, v3, vcc_lo
	s_delay_alu instid0(VALU_DEP_4) | instskip(NEXT) | instid1(VALU_DEP_1)
	v_cndmask_b32_e64 v4, v7, 1, vcc_lo
	v_dual_cndmask_b32 v20, 1, v4, s2 :: v_dual_cndmask_b32 v2, v8, v2, s2
	s_delay_alu instid0(VALU_DEP_3)
	v_cndmask_b32_e64 v3, v9, v3, s2
.LBB123_178:
	s_or_b32 exec_lo, exec_lo, s4
	v_cmp_gt_u32_e32 vcc_lo, 28, v1
	v_add_nc_u32_e32 v8, 4, v1
	s_mov_b32 s4, exec_lo
	s_wait_dscnt 0x1
	v_cndmask_b32_e64 v4, 0, 4, vcc_lo
	s_wait_dscnt 0x0
	s_delay_alu instid0(VALU_DEP_1)
	v_add_lshl_u32 v5, v4, v1, 2
	ds_bpermute_b32 v7, v5, v20
	ds_bpermute_b32 v4, v5, v2
	ds_bpermute_b32 v5, v5, v3
	v_cmpx_lt_u32_e64 v8, v6
	s_cbranch_execz .LBB123_180
; %bb.179:
	s_wait_dscnt 0x0
	v_min_i64 v[8:9], v[4:5], v[2:3]
	v_and_b32_e32 v10, 1, v20
	s_delay_alu instid0(VALU_DEP_1) | instskip(SKIP_3) | instid1(VALU_DEP_3)
	v_cmp_eq_u32_e32 vcc_lo, 1, v10
	v_bitop3_b32 v10, v20, 1, v7 bitop3:0x80
	v_and_b32_e32 v7, 0xff, v7
	v_cndmask_b32_e32 v2, v4, v2, vcc_lo
	v_cmp_eq_u32_e64 s2, 0, v10
	v_cndmask_b32_e32 v3, v5, v3, vcc_lo
	s_delay_alu instid0(VALU_DEP_4) | instskip(NEXT) | instid1(VALU_DEP_1)
	v_cndmask_b32_e64 v4, v7, 1, vcc_lo
	v_dual_cndmask_b32 v20, 1, v4, s2 :: v_dual_cndmask_b32 v2, v8, v2, s2
	s_delay_alu instid0(VALU_DEP_3)
	v_cndmask_b32_e64 v3, v9, v3, s2
.LBB123_180:
	;; [unrolled: 31-line block ×3, first 2 shown]
	s_or_b32 exec_lo, exec_lo, s4
	s_wait_dscnt 0x2
	v_dual_lshlrev_b32 v7, 2, v1 :: v_dual_add_nc_u32 v9, 16, v1
	s_wait_dscnt 0x0
	s_delay_alu instid0(VALU_DEP_1) | instskip(NEXT) | instid1(VALU_DEP_2)
	v_or_b32_e32 v5, 64, v7
	v_cmp_lt_u32_e32 vcc_lo, v9, v6
	v_mov_b32_e32 v6, v20
	ds_bpermute_b32 v8, v5, v20
	ds_bpermute_b32 v4, v5, v2
	;; [unrolled: 1-line block ×3, first 2 shown]
	s_and_saveexec_b32 s4, vcc_lo
	s_cbranch_execz .LBB123_184
; %bb.183:
	s_wait_dscnt 0x0
	v_min_i64 v[10:11], v[4:5], v[2:3]
	v_and_b32_e32 v6, 1, v20
	v_bitop3_b32 v9, v20, 1, v8 bitop3:0x80
	s_delay_alu instid0(VALU_DEP_2) | instskip(NEXT) | instid1(VALU_DEP_2)
	v_cmp_eq_u32_e32 vcc_lo, 1, v6
	v_cmp_eq_u32_e64 s2, 0, v9
	v_cndmask_b32_e64 v6, v8, 1, vcc_lo
	v_dual_cndmask_b32 v3, v5, v3 :: v_dual_cndmask_b32 v2, v4, v2
	s_delay_alu instid0(VALU_DEP_2) | instskip(NEXT) | instid1(VALU_DEP_1)
	v_cndmask_b32_e64 v6, 1, v6, s2
	v_and_b32_e32 v20, 0xff, v6
	s_delay_alu instid0(VALU_DEP_3)
	v_dual_cndmask_b32 v3, v11, v3, s2 :: v_dual_cndmask_b32 v2, v10, v2, s2
.LBB123_184:
	s_or_b32 exec_lo, exec_lo, s4
	s_delay_alu instid0(SALU_CYCLE_1)
	s_mov_b32 s2, exec_lo
	v_cmpx_eq_u32_e32 0, v1
	s_cbranch_execz .LBB123_186
; %bb.185:
	s_wait_dscnt 0x1
	v_lshrrev_b32_e32 v4, 1, v0
	s_delay_alu instid0(VALU_DEP_1)
	v_and_b32_e32 v4, 48, v4
	ds_store_b8 v4, v6 offset:256
	ds_store_b64 v4, v[2:3] offset:264
.LBB123_186:
	s_or_b32 exec_lo, exec_lo, s2
	s_delay_alu instid0(SALU_CYCLE_1)
	s_mov_b32 s4, exec_lo
	s_wait_dscnt 0x0
	s_barrier_signal -1
	s_barrier_wait -1
	v_cmpx_gt_u32_e32 4, v0
	s_cbranch_execz .LBB123_192
; %bb.187:
	v_dual_lshlrev_b32 v2, 4, v1 :: v_dual_bitop2_b32 v6, 3, v1 bitop3:0x40
	s_add_co_i32 s3, s3, 31
	s_mov_b32 s5, exec_lo
	s_lshr_b32 s3, s3, 5
	ds_load_u8 v8, v2 offset:256
	ds_load_b64 v[2:3], v2 offset:264
	v_cmp_ne_u32_e32 vcc_lo, 3, v6
	v_add_nc_u32_e32 v9, 1, v6
	v_add_co_ci_u32_e64 v1, null, 0, v1, vcc_lo
	s_delay_alu instid0(VALU_DEP_1)
	v_lshlrev_b32_e32 v5, 2, v1
	s_wait_dscnt 0x1
	v_and_b32_e32 v20, 0xff, v8
	s_wait_dscnt 0x0
	ds_bpermute_b32 v4, v5, v2
	ds_bpermute_b32 v1, v5, v20
	;; [unrolled: 1-line block ×3, first 2 shown]
	v_cmpx_gt_u32_e64 s3, v9
	s_cbranch_execz .LBB123_189
; %bb.188:
	s_wait_dscnt 0x0
	v_min_i64 v[10:11], v[4:5], v[2:3]
	v_and_b32_e32 v8, 1, v8
	s_delay_alu instid0(VALU_DEP_1) | instskip(SKIP_3) | instid1(VALU_DEP_3)
	v_cmp_eq_u32_e32 vcc_lo, 1, v8
	v_bitop3_b32 v8, v20, 1, v1 bitop3:0x80
	v_and_b32_e32 v1, 0xff, v1
	v_cndmask_b32_e32 v2, v4, v2, vcc_lo
	v_cmp_eq_u32_e64 s2, 0, v8
	v_cndmask_b32_e32 v3, v5, v3, vcc_lo
	s_delay_alu instid0(VALU_DEP_4) | instskip(NEXT) | instid1(VALU_DEP_1)
	v_cndmask_b32_e64 v1, v1, 1, vcc_lo
	v_dual_cndmask_b32 v20, 1, v1, s2 :: v_dual_cndmask_b32 v2, v10, v2, s2
	s_delay_alu instid0(VALU_DEP_3)
	v_cndmask_b32_e64 v3, v11, v3, s2
.LBB123_189:
	s_or_b32 exec_lo, exec_lo, s5
	s_wait_dscnt 0x0
	v_dual_add_nc_u32 v6, 2, v6 :: v_dual_bitop2_b32 v5, 8, v7 bitop3:0x54
	ds_bpermute_b32 v1, v5, v20
	ds_bpermute_b32 v4, v5, v2
	;; [unrolled: 1-line block ×3, first 2 shown]
	v_cmp_gt_u32_e32 vcc_lo, s3, v6
	s_and_saveexec_b32 s3, vcc_lo
	s_cbranch_execz .LBB123_191
; %bb.190:
	s_wait_dscnt 0x0
	v_min_i64 v[6:7], v[4:5], v[2:3]
	v_and_b32_e32 v8, 1, v20
	s_delay_alu instid0(VALU_DEP_1) | instskip(SKIP_2) | instid1(VALU_DEP_2)
	v_cmp_eq_u32_e32 vcc_lo, 1, v8
	v_bitop3_b32 v8, v20, 1, v1 bitop3:0x80
	v_cndmask_b32_e32 v2, v4, v2, vcc_lo
	v_cmp_eq_u32_e64 s2, 0, v8
	v_cndmask_b32_e32 v3, v5, v3, vcc_lo
	v_cndmask_b32_e64 v1, v1, 1, vcc_lo
	s_delay_alu instid0(VALU_DEP_1) | instskip(NEXT) | instid1(VALU_DEP_3)
	v_dual_cndmask_b32 v20, 1, v1, s2 :: v_dual_cndmask_b32 v2, v6, v2, s2
	v_cndmask_b32_e64 v3, v7, v3, s2
.LBB123_191:
	s_or_b32 exec_lo, exec_lo, s3
.LBB123_192:
	s_delay_alu instid0(SALU_CYCLE_1)
	s_or_b32 exec_lo, exec_lo, s4
.LBB123_193:
	v_cmp_eq_u32_e64 s2, 0, v0
	s_branch .LBB123_211
.LBB123_194:
	s_cmp_eq_u32 s24, 1
	s_cbranch_scc0 .LBB123_210
; %bb.195:
	s_bfe_u32 s2, ttmp6, 0x4000c
	s_and_b32 s3, ttmp6, 15
	s_add_co_i32 s2, s2, 1
	s_getreg_b32 s4, hwreg(HW_REG_IB_STS2, 6, 4)
	s_mul_i32 s2, ttmp9, s2
	s_mov_b32 s5, 0
	s_add_co_i32 s3, s3, s2
	s_cmp_eq_u32 s4, 0
	v_mbcnt_lo_u32_b32 v8, -1, 0
	s_cselect_b32 s10, ttmp9, s3
	s_mov_b32 s11, s5
	s_lshr_b64 s[2:3], s[14:15], 7
	s_lshl_b32 s4, s10, 7
	s_cmp_lg_u64 s[2:3], s[10:11]
	s_cbranch_scc0 .LBB123_214
; %bb.196:
	s_lshl_b64 s[2:3], s[4:5], 3
	s_delay_alu instid0(SALU_CYCLE_1)
	s_add_nc_u64 s[6:7], s[16:17], s[2:3]
	s_add_nc_u64 s[2:3], s[18:19], s[2:3]
	global_load_b64 v[2:3], v0, s[6:7] scale_offset
	s_wait_dscnt 0x0
	global_load_b64 v[4:5], v0, s[2:3] scale_offset
	s_wait_xcnt 0x0
	s_add_nc_u64 s[2:3], s[12:13], s[4:5]
	s_wait_loadcnt 0x0
	v_cmp_ne_u64_e32 vcc_lo, v[2:3], v[4:5]
	v_cndmask_b32_e64 v2, 0, 1, vcc_lo
	s_delay_alu instid0(VALU_DEP_1) | instskip(NEXT) | instid1(VALU_DEP_1)
	v_mov_b32_dpp v2, v2 quad_perm:[1,0,3,2] row_mask:0xf bank_mask:0xf
	v_dual_mov_b32 v1, 0 :: v_dual_bitop2_b32 v2, 1, v2 bitop3:0x40
	s_delay_alu instid0(VALU_DEP_1) | instskip(NEXT) | instid1(VALU_DEP_2)
	v_add_nc_u64_e32 v[6:7], s[2:3], v[0:1]
	v_cmp_eq_u32_e64 s2, 1, v2
	s_delay_alu instid0(VALU_DEP_2) | instskip(NEXT) | instid1(VALU_DEP_3)
	v_mov_b32_dpp v10, v6 quad_perm:[1,0,3,2] row_mask:0xf bank_mask:0xf
	v_mov_b32_dpp v11, v7 quad_perm:[1,0,3,2] row_mask:0xf bank_mask:0xf
	s_delay_alu instid0(VALU_DEP_1) | instskip(NEXT) | instid1(VALU_DEP_1)
	v_min_i64 v[12:13], v[6:7], v[10:11]
	v_dual_cndmask_b32 v4, v10, v12 :: v_dual_cndmask_b32 v3, v11, v13
	s_or_b32 vcc_lo, s2, vcc_lo
	s_delay_alu instid0(SALU_CYCLE_1) | instskip(NEXT) | instid1(VALU_DEP_2)
	v_cndmask_b32_e64 v9, 0, 1, vcc_lo
	v_dual_cndmask_b32 v2, v6, v4, s2 :: v_dual_cndmask_b32 v3, v7, v3, s2
	s_delay_alu instid0(VALU_DEP_2) | instskip(NEXT) | instid1(VALU_DEP_2)
	v_mov_b32_dpp v9, v9 quad_perm:[2,3,0,1] row_mask:0xf bank_mask:0xf
	v_mov_b32_dpp v4, v2 quad_perm:[2,3,0,1] row_mask:0xf bank_mask:0xf
	s_delay_alu instid0(VALU_DEP_3) | instskip(NEXT) | instid1(VALU_DEP_1)
	v_mov_b32_dpp v5, v3 quad_perm:[2,3,0,1] row_mask:0xf bank_mask:0xf
	v_min_i64 v[6:7], v[2:3], v[4:5]
	s_delay_alu instid0(VALU_DEP_1) | instskip(NEXT) | instid1(VALU_DEP_1)
	v_dual_cndmask_b32 v4, v4, v6, vcc_lo :: v_dual_bitop2_b32 v9, 1, v9 bitop3:0x40
	v_cmp_eq_u32_e64 s2, 1, v9
	s_delay_alu instid0(VALU_DEP_1) | instskip(SKIP_1) | instid1(SALU_CYCLE_1)
	v_dual_cndmask_b32 v5, v5, v7, vcc_lo :: v_dual_cndmask_b32 v2, v2, v4, s2
	s_or_b32 vcc_lo, s2, vcc_lo
	v_cndmask_b32_e64 v9, 0, 1, vcc_lo
	s_delay_alu instid0(VALU_DEP_2) | instskip(NEXT) | instid1(VALU_DEP_3)
	v_mov_b32_dpp v4, v2 row_ror:4 row_mask:0xf bank_mask:0xf
	v_cndmask_b32_e64 v3, v3, v5, s2
	s_delay_alu instid0(VALU_DEP_3) | instskip(NEXT) | instid1(VALU_DEP_2)
	v_mov_b32_dpp v9, v9 row_ror:4 row_mask:0xf bank_mask:0xf
	v_mov_b32_dpp v5, v3 row_ror:4 row_mask:0xf bank_mask:0xf
	s_delay_alu instid0(VALU_DEP_1) | instskip(NEXT) | instid1(VALU_DEP_1)
	v_min_i64 v[6:7], v[2:3], v[4:5]
	v_dual_cndmask_b32 v5, v5, v7, vcc_lo :: v_dual_bitop2_b32 v9, 1, v9 bitop3:0x40
	s_delay_alu instid0(VALU_DEP_2) | instskip(NEXT) | instid1(VALU_DEP_2)
	v_cndmask_b32_e32 v4, v4, v6, vcc_lo
	v_cmp_eq_u32_e64 s2, 1, v9
	s_delay_alu instid0(VALU_DEP_1) | instskip(SKIP_1) | instid1(SALU_CYCLE_1)
	v_dual_cndmask_b32 v3, v3, v5, s2 :: v_dual_cndmask_b32 v2, v2, v4, s2
	s_or_b32 vcc_lo, s2, vcc_lo
	v_cndmask_b32_e64 v9, 0, 1, vcc_lo
	s_delay_alu instid0(VALU_DEP_2) | instskip(NEXT) | instid1(VALU_DEP_3)
	v_mov_b32_dpp v5, v3 row_ror:8 row_mask:0xf bank_mask:0xf
	v_mov_b32_dpp v4, v2 row_ror:8 row_mask:0xf bank_mask:0xf
	s_delay_alu instid0(VALU_DEP_3) | instskip(NEXT) | instid1(VALU_DEP_2)
	v_mov_b32_dpp v9, v9 row_ror:8 row_mask:0xf bank_mask:0xf
	v_min_i64 v[6:7], v[2:3], v[4:5]
	s_delay_alu instid0(VALU_DEP_1) | instskip(NEXT) | instid1(VALU_DEP_1)
	v_dual_cndmask_b32 v4, v4, v6, vcc_lo :: v_dual_bitop2_b32 v9, 1, v9 bitop3:0x40
	v_cmp_eq_u32_e64 s2, 1, v9
	s_delay_alu instid0(VALU_DEP_1) | instskip(SKIP_1) | instid1(VALU_DEP_1)
	v_dual_cndmask_b32 v5, v5, v7, vcc_lo :: v_dual_cndmask_b32 v2, v2, v4, s2
	s_or_b32 vcc_lo, s2, vcc_lo
	v_cndmask_b32_e64 v3, v3, v5, s2
	v_cndmask_b32_e64 v9, 0, 1, vcc_lo
	ds_swizzle_b32 v4, v2 offset:swizzle(BROADCAST,32,15)
	ds_swizzle_b32 v5, v3 offset:swizzle(BROADCAST,32,15)
	;; [unrolled: 1-line block ×3, first 2 shown]
	s_wait_dscnt 0x1
	v_min_i64 v[6:7], v[2:3], v[4:5]
	s_wait_dscnt 0x0
	s_delay_alu instid0(VALU_DEP_1) | instskip(NEXT) | instid1(VALU_DEP_1)
	v_dual_cndmask_b32 v4, v4, v6, vcc_lo :: v_dual_bitop2_b32 v9, 1, v9 bitop3:0x40
	v_cmp_eq_u32_e64 s2, 1, v9
	s_delay_alu instid0(VALU_DEP_3) | instskip(SKIP_1) | instid1(VALU_DEP_1)
	v_cndmask_b32_e32 v5, v5, v7, vcc_lo
	s_or_b32 s3, s2, vcc_lo
	v_dual_cndmask_b32 v3, v3, v5, s2 :: v_dual_cndmask_b32 v2, v2, v4, s2
	v_cndmask_b32_e64 v5, 0, 1, s3
	s_mov_b32 s2, exec_lo
	ds_bpermute_b32 v3, v1, v3 offset:124
	ds_bpermute_b32 v2, v1, v2 offset:124
	ds_bpermute_b32 v20, v1, v5 offset:124
	v_cmpx_eq_u32_e32 0, v8
	s_cbranch_execz .LBB123_198
; %bb.197:
	v_lshrrev_b32_e32 v1, 1, v0
	s_delay_alu instid0(VALU_DEP_1)
	v_and_b32_e32 v1, 48, v1
	s_wait_dscnt 0x0
	ds_store_b8 v1, v20
	ds_store_b64 v1, v[2:3] offset:8
.LBB123_198:
	s_or_b32 exec_lo, exec_lo, s2
	s_delay_alu instid0(SALU_CYCLE_1)
	s_mov_b32 s2, exec_lo
	s_wait_dscnt 0x0
	s_barrier_signal -1
	s_barrier_wait -1
	v_cmpx_gt_u32_e32 32, v0
	s_cbranch_execz .LBB123_208
; %bb.199:
	v_and_b32_e32 v1, 3, v8
	s_mov_b32 s3, exec_lo
	s_delay_alu instid0(VALU_DEP_1) | instskip(SKIP_2) | instid1(VALU_DEP_1)
	v_cmp_ne_u32_e32 vcc_lo, 3, v1
	v_lshlrev_b32_e32 v2, 4, v1
	v_add_co_ci_u32_e64 v1, null, 0, v8, vcc_lo
	v_lshlrev_b32_e32 v1, 2, v1
	ds_load_u8 v9, v2
	ds_load_b64 v[2:3], v2 offset:8
	s_wait_dscnt 0x1
	v_and_b32_e32 v4, 0xff, v9
	s_wait_dscnt 0x0
	ds_bpermute_b32 v6, v1, v2
	ds_bpermute_b32 v7, v1, v3
	ds_bpermute_b32 v10, v1, v4
                                        ; implicit-def: $vgpr4_vgpr5
	s_wait_dscnt 0x0
	v_and_b32_e32 v1, v9, v10
	s_delay_alu instid0(VALU_DEP_1) | instskip(NEXT) | instid1(VALU_DEP_1)
	v_and_b32_e32 v1, 1, v1
	v_cmpx_eq_u32_e32 1, v1
	s_xor_b32 s3, exec_lo, s3
; %bb.200:
	v_min_i64 v[4:5], v[6:7], v[2:3]
                                        ; implicit-def: $vgpr9
                                        ; implicit-def: $vgpr6_vgpr7
                                        ; implicit-def: $vgpr2_vgpr3
                                        ; implicit-def: $vgpr10
; %bb.201:
	s_or_saveexec_b32 s3, s3
	v_dual_lshlrev_b32 v11, 2, v8 :: v_dual_mov_b32 v1, 1
	s_xor_b32 exec_lo, exec_lo, s3
; %bb.202:
	v_and_b32_e32 v1, 1, v9
	s_delay_alu instid0(VALU_DEP_1) | instskip(SKIP_2) | instid1(VALU_DEP_2)
	v_cmp_eq_u32_e32 vcc_lo, 1, v1
	v_and_b32_e32 v1, 0xff, v10
	v_dual_cndmask_b32 v5, v7, v3 :: v_dual_cndmask_b32 v4, v6, v2
	v_cndmask_b32_e64 v1, v1, 1, vcc_lo
; %bb.203:
	s_or_b32 exec_lo, exec_lo, s3
	v_or_b32_e32 v2, 8, v11
	ds_bpermute_b32 v9, v2, v1
	ds_bpermute_b32 v6, v2, v4
	ds_bpermute_b32 v7, v2, v5
	s_wait_dscnt 0x2
	v_and_b32_e32 v2, v1, v9
	s_delay_alu instid0(VALU_DEP_1) | instskip(NEXT) | instid1(VALU_DEP_1)
	v_and_b32_e32 v2, 1, v2
	v_cmp_eq_u32_e32 vcc_lo, 1, v2
                                        ; implicit-def: $vgpr2_vgpr3
	s_and_saveexec_b32 s3, vcc_lo
	s_delay_alu instid0(SALU_CYCLE_1)
	s_xor_b32 s3, exec_lo, s3
	s_cbranch_execz .LBB123_205
; %bb.204:
	s_wait_dscnt 0x0
	v_min_i64 v[2:3], v[6:7], v[4:5]
                                        ; implicit-def: $vgpr1
                                        ; implicit-def: $vgpr6_vgpr7
                                        ; implicit-def: $vgpr4_vgpr5
                                        ; implicit-def: $vgpr9
.LBB123_205:
	s_or_saveexec_b32 s3, s3
	v_mov_b32_e32 v20, 1
	s_xor_b32 exec_lo, exec_lo, s3
	s_cbranch_execz .LBB123_207
; %bb.206:
	v_and_b32_e32 v1, 1, v1
	s_delay_alu instid0(VALU_DEP_1)
	v_cmp_eq_u32_e32 vcc_lo, 1, v1
	s_wait_dscnt 0x0
	v_dual_cndmask_b32 v3, v7, v5 :: v_dual_cndmask_b32 v2, v6, v4
	v_cndmask_b32_e64 v20, v9, 1, vcc_lo
.LBB123_207:
	s_or_b32 exec_lo, exec_lo, s3
.LBB123_208:
	s_delay_alu instid0(SALU_CYCLE_1)
	s_or_b32 exec_lo, exec_lo, s2
.LBB123_209:
	v_cmp_eq_u32_e64 s2, 0, v0
	s_and_saveexec_b32 s3, s2
	s_cbranch_execnz .LBB123_212
	s_branch .LBB123_213
.LBB123_210:
                                        ; implicit-def: $sgpr10_sgpr11
                                        ; implicit-def: $vgpr2_vgpr3
                                        ; implicit-def: $vgpr20
.LBB123_211:
	s_delay_alu instid0(VALU_DEP_1)
	s_and_saveexec_b32 s3, s2
	s_cbranch_execz .LBB123_213
.LBB123_212:
	s_clause 0x1
	s_load_b64 s[2:3], s[0:1], 0x48
	s_load_b96 s[4:6], s[0:1], 0x38
	s_cmp_eq_u64 s[14:15], 0
	s_wait_xcnt 0x0
	s_cselect_b32 s0, -1, 0
	s_wait_dscnt 0x2
	s_wait_kmcnt 0x0
	v_min_i64 v[0:1], v[2:3], s[2:3]
	s_wait_dscnt 0x1
	v_and_b32_e32 v4, 1, v20
	s_bitcmp1_b32 s6, 0
	s_delay_alu instid0(VALU_DEP_1) | instskip(NEXT) | instid1(VALU_DEP_3)
	v_cmp_eq_u32_e32 vcc_lo, 1, v4
	v_cndmask_b32_e32 v1, s3, v1, vcc_lo
	s_delay_alu instid0(VALU_DEP_4) | instskip(SKIP_1) | instid1(SALU_CYCLE_1)
	v_cndmask_b32_e32 v0, s2, v0, vcc_lo
	s_cselect_b32 vcc_lo, -1, 0
	v_cndmask_b32_e64 v4, v20, 1, vcc_lo
	s_delay_alu instid0(VALU_DEP_2) | instskip(SKIP_1) | instid1(VALU_DEP_3)
	v_dual_cndmask_b32 v1, v3, v1 :: v_dual_cndmask_b32 v0, v2, v0
	v_mov_b32_e32 v2, 0
	v_cndmask_b32_e64 v3, v4, s6, s0
	s_delay_alu instid0(VALU_DEP_3) | instskip(NEXT) | instid1(VALU_DEP_4)
	v_cndmask_b32_e64 v1, v1, s3, s0
	v_cndmask_b32_e64 v0, v0, s2, s0
	s_lshl_b64 s[0:1], s[10:11], 4
	s_delay_alu instid0(SALU_CYCLE_1)
	s_add_nc_u64 s[0:1], s[4:5], s[0:1]
	s_clause 0x1
	global_store_b8 v2, v3, s[0:1]
	global_store_b64 v2, v[0:1], s[0:1] offset:8
.LBB123_213:
	s_endpgm
.LBB123_214:
                                        ; implicit-def: $vgpr2_vgpr3
                                        ; implicit-def: $vgpr20
	s_cbranch_execz .LBB123_209
; %bb.215:
	v_mov_b64_e32 v[2:3], 0
	s_wait_dscnt 0x1
	v_mov_b32_e32 v6, 0
	s_sub_co_i32 s2, s14, s4
	s_mov_b32 s3, exec_lo
	v_cmpx_gt_u32_e64 s2, v0
	s_cbranch_execz .LBB123_217
; %bb.216:
	s_lshl_b64 s[6:7], s[4:5], 3
	v_mov_b32_e32 v1, 0
	s_add_nc_u64 s[8:9], s[16:17], s[6:7]
	s_add_nc_u64 s[6:7], s[18:19], s[6:7]
	s_wait_dscnt 0x0
	s_clause 0x1
	global_load_b64 v[4:5], v0, s[8:9] scale_offset
	global_load_b64 v[6:7], v0, s[6:7] scale_offset
	s_add_nc_u64 s[4:5], s[12:13], s[4:5]
	s_delay_alu instid0(SALU_CYCLE_1)
	v_add_nc_u64_e32 v[2:3], s[4:5], v[0:1]
	s_wait_loadcnt 0x0
	v_cmp_ne_u64_e32 vcc_lo, v[4:5], v[6:7]
	v_cndmask_b32_e64 v6, 0, 1, vcc_lo
.LBB123_217:
	s_or_b32 exec_lo, exec_lo, s3
	v_cmp_ne_u32_e32 vcc_lo, 31, v8
	s_delay_alu instid0(VALU_DEP_2) | instskip(SKIP_4) | instid1(VALU_DEP_1)
	v_and_b32_e32 v20, 0xffff, v6
	s_min_u32 s3, s2, 0x80
	s_mov_b32 s4, exec_lo
	v_add_nc_u32_e32 v9, 1, v8
	v_add_co_ci_u32_e64 v1, null, 0, v8, vcc_lo
	v_lshlrev_b32_e32 v1, 2, v1
	s_wait_dscnt 0x0
	ds_bpermute_b32 v7, v1, v20
	ds_bpermute_b32 v4, v1, v2
	ds_bpermute_b32 v5, v1, v3
	v_and_b32_e32 v1, 0x60, v0
	s_delay_alu instid0(VALU_DEP_1) | instskip(NEXT) | instid1(VALU_DEP_1)
	v_sub_nc_u32_e64 v1, s3, v1 clamp
	v_cmpx_lt_u32_e64 v9, v1
	s_cbranch_execz .LBB123_219
; %bb.218:
	s_wait_dscnt 0x0
	v_min_i64 v[10:11], v[4:5], v[2:3]
	v_and_b32_e32 v6, 1, v6
	s_delay_alu instid0(VALU_DEP_1) | instskip(SKIP_3) | instid1(VALU_DEP_3)
	v_cmp_eq_u32_e32 vcc_lo, 1, v6
	v_and_b32_e32 v6, v7, v20
	v_and_b32_e32 v7, 0xff, v7
	v_dual_cndmask_b32 v2, v4, v2 :: v_dual_cndmask_b32 v3, v5, v3
	v_cmp_eq_u32_e64 s2, 0, v6
	s_delay_alu instid0(VALU_DEP_3) | instskip(NEXT) | instid1(VALU_DEP_1)
	v_cndmask_b32_e64 v4, v7, 1, vcc_lo
	v_dual_cndmask_b32 v20, 1, v4, s2 :: v_dual_cndmask_b32 v3, v11, v3, s2
	s_delay_alu instid0(VALU_DEP_4)
	v_cndmask_b32_e64 v2, v10, v2, s2
.LBB123_219:
	s_or_b32 exec_lo, exec_lo, s4
	v_cmp_gt_u32_e32 vcc_lo, 30, v8
	s_wait_dscnt 0x2
	v_add_nc_u32_e32 v7, 2, v8
	s_mov_b32 s4, exec_lo
	s_wait_dscnt 0x1
	v_cndmask_b32_e64 v4, 0, 2, vcc_lo
	s_wait_dscnt 0x0
	s_delay_alu instid0(VALU_DEP_1)
	v_add_lshl_u32 v5, v4, v8, 2
	ds_bpermute_b32 v6, v5, v20
	ds_bpermute_b32 v4, v5, v2
	;; [unrolled: 1-line block ×3, first 2 shown]
	v_cmpx_lt_u32_e64 v7, v1
	s_cbranch_execz .LBB123_221
; %bb.220:
	s_wait_dscnt 0x0
	v_min_i64 v[10:11], v[4:5], v[2:3]
	v_and_b32_e32 v7, 1, v20
	s_delay_alu instid0(VALU_DEP_1) | instskip(SKIP_3) | instid1(VALU_DEP_3)
	v_cmp_eq_u32_e32 vcc_lo, 1, v7
	v_bitop3_b32 v7, v20, 1, v6 bitop3:0x80
	v_and_b32_e32 v6, 0xff, v6
	v_cndmask_b32_e32 v2, v4, v2, vcc_lo
	v_cmp_eq_u32_e64 s2, 0, v7
	v_cndmask_b32_e32 v3, v5, v3, vcc_lo
	s_delay_alu instid0(VALU_DEP_4) | instskip(NEXT) | instid1(VALU_DEP_1)
	v_cndmask_b32_e64 v4, v6, 1, vcc_lo
	v_dual_cndmask_b32 v20, 1, v4, s2 :: v_dual_cndmask_b32 v2, v10, v2, s2
	s_delay_alu instid0(VALU_DEP_3)
	v_cndmask_b32_e64 v3, v11, v3, s2
.LBB123_221:
	s_or_b32 exec_lo, exec_lo, s4
	v_cmp_gt_u32_e32 vcc_lo, 28, v8
	v_add_nc_u32_e32 v7, 4, v8
	s_mov_b32 s4, exec_lo
	s_wait_dscnt 0x1
	v_cndmask_b32_e64 v4, 0, 4, vcc_lo
	s_wait_dscnt 0x0
	s_delay_alu instid0(VALU_DEP_1)
	v_add_lshl_u32 v5, v4, v8, 2
	ds_bpermute_b32 v6, v5, v20
	ds_bpermute_b32 v4, v5, v2
	;; [unrolled: 1-line block ×3, first 2 shown]
	v_cmpx_lt_u32_e64 v7, v1
	s_cbranch_execz .LBB123_223
; %bb.222:
	s_wait_dscnt 0x0
	v_min_i64 v[10:11], v[4:5], v[2:3]
	v_and_b32_e32 v7, 1, v20
	s_delay_alu instid0(VALU_DEP_1) | instskip(SKIP_3) | instid1(VALU_DEP_3)
	v_cmp_eq_u32_e32 vcc_lo, 1, v7
	v_bitop3_b32 v7, v20, 1, v6 bitop3:0x80
	v_and_b32_e32 v6, 0xff, v6
	v_cndmask_b32_e32 v2, v4, v2, vcc_lo
	v_cmp_eq_u32_e64 s2, 0, v7
	v_cndmask_b32_e32 v3, v5, v3, vcc_lo
	s_delay_alu instid0(VALU_DEP_4) | instskip(NEXT) | instid1(VALU_DEP_1)
	v_cndmask_b32_e64 v4, v6, 1, vcc_lo
	v_dual_cndmask_b32 v20, 1, v4, s2 :: v_dual_cndmask_b32 v2, v10, v2, s2
	s_delay_alu instid0(VALU_DEP_3)
	v_cndmask_b32_e64 v3, v11, v3, s2
.LBB123_223:
	s_or_b32 exec_lo, exec_lo, s4
	v_cmp_gt_u32_e32 vcc_lo, 24, v8
	v_add_nc_u32_e32 v7, 8, v8
	s_mov_b32 s4, exec_lo
	s_wait_dscnt 0x1
	v_cndmask_b32_e64 v4, 0, 8, vcc_lo
	s_wait_dscnt 0x0
	s_delay_alu instid0(VALU_DEP_1)
	v_add_lshl_u32 v5, v4, v8, 2
	ds_bpermute_b32 v6, v5, v20
	ds_bpermute_b32 v4, v5, v2
	ds_bpermute_b32 v5, v5, v3
	v_cmpx_lt_u32_e64 v7, v1
	s_cbranch_execz .LBB123_225
; %bb.224:
	s_wait_dscnt 0x0
	v_min_i64 v[10:11], v[4:5], v[2:3]
	v_and_b32_e32 v7, 1, v20
	s_delay_alu instid0(VALU_DEP_1) | instskip(SKIP_3) | instid1(VALU_DEP_3)
	v_cmp_eq_u32_e32 vcc_lo, 1, v7
	v_bitop3_b32 v7, v20, 1, v6 bitop3:0x80
	v_and_b32_e32 v6, 0xff, v6
	v_cndmask_b32_e32 v2, v4, v2, vcc_lo
	v_cmp_eq_u32_e64 s2, 0, v7
	v_cndmask_b32_e32 v3, v5, v3, vcc_lo
	s_delay_alu instid0(VALU_DEP_4) | instskip(NEXT) | instid1(VALU_DEP_1)
	v_cndmask_b32_e64 v4, v6, 1, vcc_lo
	v_dual_cndmask_b32 v20, 1, v4, s2 :: v_dual_cndmask_b32 v2, v10, v2, s2
	s_delay_alu instid0(VALU_DEP_3)
	v_cndmask_b32_e64 v3, v11, v3, s2
.LBB123_225:
	s_or_b32 exec_lo, exec_lo, s4
	s_wait_dscnt 0x2
	v_dual_lshlrev_b32 v6, 2, v8 :: v_dual_add_nc_u32 v9, 16, v8
	s_wait_dscnt 0x0
	s_delay_alu instid0(VALU_DEP_1) | instskip(NEXT) | instid1(VALU_DEP_2)
	v_or_b32_e32 v5, 64, v6
	v_cmp_lt_u32_e32 vcc_lo, v9, v1
	v_mov_b32_e32 v1, v20
	ds_bpermute_b32 v7, v5, v20
	ds_bpermute_b32 v4, v5, v2
	ds_bpermute_b32 v5, v5, v3
	s_and_saveexec_b32 s4, vcc_lo
	s_cbranch_execz .LBB123_227
; %bb.226:
	s_wait_dscnt 0x0
	v_min_i64 v[10:11], v[4:5], v[2:3]
	v_and_b32_e32 v1, 1, v20
	v_bitop3_b32 v9, v20, 1, v7 bitop3:0x80
	s_delay_alu instid0(VALU_DEP_2) | instskip(NEXT) | instid1(VALU_DEP_2)
	v_cmp_eq_u32_e32 vcc_lo, 1, v1
	v_cmp_eq_u32_e64 s2, 0, v9
	v_cndmask_b32_e64 v1, v7, 1, vcc_lo
	v_dual_cndmask_b32 v3, v5, v3 :: v_dual_cndmask_b32 v2, v4, v2
	s_delay_alu instid0(VALU_DEP_2) | instskip(NEXT) | instid1(VALU_DEP_1)
	v_cndmask_b32_e64 v1, 1, v1, s2
	v_and_b32_e32 v20, 0xff, v1
	s_delay_alu instid0(VALU_DEP_3)
	v_dual_cndmask_b32 v3, v11, v3, s2 :: v_dual_cndmask_b32 v2, v10, v2, s2
.LBB123_227:
	s_or_b32 exec_lo, exec_lo, s4
	s_delay_alu instid0(SALU_CYCLE_1)
	s_mov_b32 s2, exec_lo
	v_cmpx_eq_u32_e32 0, v8
	s_cbranch_execz .LBB123_229
; %bb.228:
	s_wait_dscnt 0x1
	v_lshrrev_b32_e32 v4, 1, v0
	s_delay_alu instid0(VALU_DEP_1)
	v_and_b32_e32 v4, 48, v4
	ds_store_b8 v4, v1 offset:256
	ds_store_b64 v4, v[2:3] offset:264
.LBB123_229:
	s_or_b32 exec_lo, exec_lo, s2
	s_delay_alu instid0(SALU_CYCLE_1)
	s_mov_b32 s4, exec_lo
	s_wait_dscnt 0x0
	s_barrier_signal -1
	s_barrier_wait -1
	v_cmpx_gt_u32_e32 4, v0
	s_cbranch_execz .LBB123_235
; %bb.230:
	v_lshlrev_b32_e32 v1, 4, v8
	s_add_co_i32 s3, s3, 31
	s_mov_b32 s5, exec_lo
	s_lshr_b32 s3, s3, 5
	ds_load_u8 v7, v1 offset:256
	ds_load_b64 v[2:3], v1 offset:264
	v_and_b32_e32 v1, 3, v8
	s_delay_alu instid0(VALU_DEP_1) | instskip(SKIP_2) | instid1(VALU_DEP_1)
	v_cmp_ne_u32_e32 vcc_lo, 3, v1
	v_add_nc_u32_e32 v9, 1, v1
	v_add_co_ci_u32_e64 v4, null, 0, v8, vcc_lo
	v_lshlrev_b32_e32 v5, 2, v4
	s_wait_dscnt 0x1
	v_and_b32_e32 v20, 0xff, v7
	s_wait_dscnt 0x0
	ds_bpermute_b32 v4, v5, v2
	ds_bpermute_b32 v8, v5, v20
	;; [unrolled: 1-line block ×3, first 2 shown]
	v_cmpx_gt_u32_e64 s3, v9
	s_cbranch_execz .LBB123_232
; %bb.231:
	s_wait_dscnt 0x0
	v_min_i64 v[10:11], v[4:5], v[2:3]
	v_and_b32_e32 v7, 1, v7
	s_delay_alu instid0(VALU_DEP_1) | instskip(SKIP_3) | instid1(VALU_DEP_3)
	v_cmp_eq_u32_e32 vcc_lo, 1, v7
	v_bitop3_b32 v7, v20, 1, v8 bitop3:0x80
	v_and_b32_e32 v8, 0xff, v8
	v_cndmask_b32_e32 v2, v4, v2, vcc_lo
	v_cmp_eq_u32_e64 s2, 0, v7
	v_cndmask_b32_e32 v3, v5, v3, vcc_lo
	s_delay_alu instid0(VALU_DEP_4) | instskip(NEXT) | instid1(VALU_DEP_1)
	v_cndmask_b32_e64 v4, v8, 1, vcc_lo
	v_dual_cndmask_b32 v20, 1, v4, s2 :: v_dual_cndmask_b32 v2, v10, v2, s2
	s_delay_alu instid0(VALU_DEP_3)
	v_cndmask_b32_e64 v3, v11, v3, s2
.LBB123_232:
	s_or_b32 exec_lo, exec_lo, s5
	s_wait_dscnt 0x0
	v_dual_add_nc_u32 v1, 2, v1 :: v_dual_bitop2_b32 v5, 8, v6 bitop3:0x54
	ds_bpermute_b32 v6, v5, v20
	ds_bpermute_b32 v4, v5, v2
	;; [unrolled: 1-line block ×3, first 2 shown]
	v_cmp_gt_u32_e32 vcc_lo, s3, v1
	s_and_saveexec_b32 s3, vcc_lo
	s_cbranch_execz .LBB123_234
; %bb.233:
	s_wait_dscnt 0x0
	v_min_i64 v[8:9], v[4:5], v[2:3]
	v_and_b32_e32 v1, 1, v20
	s_delay_alu instid0(VALU_DEP_1) | instskip(SKIP_2) | instid1(VALU_DEP_2)
	v_cmp_eq_u32_e32 vcc_lo, 1, v1
	v_bitop3_b32 v1, v20, 1, v6 bitop3:0x80
	v_cndmask_b32_e32 v2, v4, v2, vcc_lo
	v_cmp_eq_u32_e64 s2, 0, v1
	v_cndmask_b32_e32 v3, v5, v3, vcc_lo
	v_cndmask_b32_e64 v1, v6, 1, vcc_lo
	s_delay_alu instid0(VALU_DEP_1) | instskip(NEXT) | instid1(VALU_DEP_3)
	v_dual_cndmask_b32 v20, 1, v1, s2 :: v_dual_cndmask_b32 v2, v8, v2, s2
	v_cndmask_b32_e64 v3, v9, v3, s2
.LBB123_234:
	s_or_b32 exec_lo, exec_lo, s3
.LBB123_235:
	s_delay_alu instid0(SALU_CYCLE_1)
	s_or_b32 exec_lo, exec_lo, s4
	v_cmp_eq_u32_e64 s2, 0, v0
	s_and_saveexec_b32 s3, s2
	s_cbranch_execnz .LBB123_212
	s_branch .LBB123_213
	.section	.rodata,"a",@progbits
	.p2align	6, 0x0
	.amdhsa_kernel _ZN7rocprim17ROCPRIM_400000_NS6detail17trampoline_kernelINS0_14default_configENS1_22reduce_config_selectorIN6thrust23THRUST_200600_302600_NS5tupleIblNS6_9null_typeES8_S8_S8_S8_S8_S8_S8_EEEEZNS1_11reduce_implILb1ES3_NS6_12zip_iteratorINS7_INS6_11hip_rocprim26transform_input_iterator_tIbNSD_35transform_pair_of_input_iterators_tIbNS6_6detail15normal_iteratorINS6_10device_ptrIKyEEEESL_NS6_8equal_toIyEEEENSG_9not_fun_tINSD_8identityEEEEENSD_19counting_iterator_tIlEES8_S8_S8_S8_S8_S8_S8_S8_EEEEPS9_S9_NSD_9__find_if7functorIS9_EEEE10hipError_tPvRmT1_T2_T3_mT4_P12ihipStream_tbEUlT_E1_NS1_11comp_targetILNS1_3genE0ELNS1_11target_archE4294967295ELNS1_3gpuE0ELNS1_3repE0EEENS1_30default_config_static_selectorELNS0_4arch9wavefront6targetE0EEEvS14_
		.amdhsa_group_segment_fixed_size 320
		.amdhsa_private_segment_fixed_size 0
		.amdhsa_kernarg_size 88
		.amdhsa_user_sgpr_count 2
		.amdhsa_user_sgpr_dispatch_ptr 0
		.amdhsa_user_sgpr_queue_ptr 0
		.amdhsa_user_sgpr_kernarg_segment_ptr 1
		.amdhsa_user_sgpr_dispatch_id 0
		.amdhsa_user_sgpr_kernarg_preload_length 0
		.amdhsa_user_sgpr_kernarg_preload_offset 0
		.amdhsa_user_sgpr_private_segment_size 0
		.amdhsa_wavefront_size32 1
		.amdhsa_uses_dynamic_stack 0
		.amdhsa_enable_private_segment 0
		.amdhsa_system_sgpr_workgroup_id_x 1
		.amdhsa_system_sgpr_workgroup_id_y 0
		.amdhsa_system_sgpr_workgroup_id_z 0
		.amdhsa_system_sgpr_workgroup_info 0
		.amdhsa_system_vgpr_workitem_id 0
		.amdhsa_next_free_vgpr 36
		.amdhsa_next_free_sgpr 28
		.amdhsa_named_barrier_count 0
		.amdhsa_reserve_vcc 1
		.amdhsa_float_round_mode_32 0
		.amdhsa_float_round_mode_16_64 0
		.amdhsa_float_denorm_mode_32 3
		.amdhsa_float_denorm_mode_16_64 3
		.amdhsa_fp16_overflow 0
		.amdhsa_memory_ordered 1
		.amdhsa_forward_progress 1
		.amdhsa_inst_pref_size 104
		.amdhsa_round_robin_scheduling 0
		.amdhsa_exception_fp_ieee_invalid_op 0
		.amdhsa_exception_fp_denorm_src 0
		.amdhsa_exception_fp_ieee_div_zero 0
		.amdhsa_exception_fp_ieee_overflow 0
		.amdhsa_exception_fp_ieee_underflow 0
		.amdhsa_exception_fp_ieee_inexact 0
		.amdhsa_exception_int_div_zero 0
	.end_amdhsa_kernel
	.section	.text._ZN7rocprim17ROCPRIM_400000_NS6detail17trampoline_kernelINS0_14default_configENS1_22reduce_config_selectorIN6thrust23THRUST_200600_302600_NS5tupleIblNS6_9null_typeES8_S8_S8_S8_S8_S8_S8_EEEEZNS1_11reduce_implILb1ES3_NS6_12zip_iteratorINS7_INS6_11hip_rocprim26transform_input_iterator_tIbNSD_35transform_pair_of_input_iterators_tIbNS6_6detail15normal_iteratorINS6_10device_ptrIKyEEEESL_NS6_8equal_toIyEEEENSG_9not_fun_tINSD_8identityEEEEENSD_19counting_iterator_tIlEES8_S8_S8_S8_S8_S8_S8_S8_EEEEPS9_S9_NSD_9__find_if7functorIS9_EEEE10hipError_tPvRmT1_T2_T3_mT4_P12ihipStream_tbEUlT_E1_NS1_11comp_targetILNS1_3genE0ELNS1_11target_archE4294967295ELNS1_3gpuE0ELNS1_3repE0EEENS1_30default_config_static_selectorELNS0_4arch9wavefront6targetE0EEEvS14_,"axG",@progbits,_ZN7rocprim17ROCPRIM_400000_NS6detail17trampoline_kernelINS0_14default_configENS1_22reduce_config_selectorIN6thrust23THRUST_200600_302600_NS5tupleIblNS6_9null_typeES8_S8_S8_S8_S8_S8_S8_EEEEZNS1_11reduce_implILb1ES3_NS6_12zip_iteratorINS7_INS6_11hip_rocprim26transform_input_iterator_tIbNSD_35transform_pair_of_input_iterators_tIbNS6_6detail15normal_iteratorINS6_10device_ptrIKyEEEESL_NS6_8equal_toIyEEEENSG_9not_fun_tINSD_8identityEEEEENSD_19counting_iterator_tIlEES8_S8_S8_S8_S8_S8_S8_S8_EEEEPS9_S9_NSD_9__find_if7functorIS9_EEEE10hipError_tPvRmT1_T2_T3_mT4_P12ihipStream_tbEUlT_E1_NS1_11comp_targetILNS1_3genE0ELNS1_11target_archE4294967295ELNS1_3gpuE0ELNS1_3repE0EEENS1_30default_config_static_selectorELNS0_4arch9wavefront6targetE0EEEvS14_,comdat
.Lfunc_end123:
	.size	_ZN7rocprim17ROCPRIM_400000_NS6detail17trampoline_kernelINS0_14default_configENS1_22reduce_config_selectorIN6thrust23THRUST_200600_302600_NS5tupleIblNS6_9null_typeES8_S8_S8_S8_S8_S8_S8_EEEEZNS1_11reduce_implILb1ES3_NS6_12zip_iteratorINS7_INS6_11hip_rocprim26transform_input_iterator_tIbNSD_35transform_pair_of_input_iterators_tIbNS6_6detail15normal_iteratorINS6_10device_ptrIKyEEEESL_NS6_8equal_toIyEEEENSG_9not_fun_tINSD_8identityEEEEENSD_19counting_iterator_tIlEES8_S8_S8_S8_S8_S8_S8_S8_EEEEPS9_S9_NSD_9__find_if7functorIS9_EEEE10hipError_tPvRmT1_T2_T3_mT4_P12ihipStream_tbEUlT_E1_NS1_11comp_targetILNS1_3genE0ELNS1_11target_archE4294967295ELNS1_3gpuE0ELNS1_3repE0EEENS1_30default_config_static_selectorELNS0_4arch9wavefront6targetE0EEEvS14_, .Lfunc_end123-_ZN7rocprim17ROCPRIM_400000_NS6detail17trampoline_kernelINS0_14default_configENS1_22reduce_config_selectorIN6thrust23THRUST_200600_302600_NS5tupleIblNS6_9null_typeES8_S8_S8_S8_S8_S8_S8_EEEEZNS1_11reduce_implILb1ES3_NS6_12zip_iteratorINS7_INS6_11hip_rocprim26transform_input_iterator_tIbNSD_35transform_pair_of_input_iterators_tIbNS6_6detail15normal_iteratorINS6_10device_ptrIKyEEEESL_NS6_8equal_toIyEEEENSG_9not_fun_tINSD_8identityEEEEENSD_19counting_iterator_tIlEES8_S8_S8_S8_S8_S8_S8_S8_EEEEPS9_S9_NSD_9__find_if7functorIS9_EEEE10hipError_tPvRmT1_T2_T3_mT4_P12ihipStream_tbEUlT_E1_NS1_11comp_targetILNS1_3genE0ELNS1_11target_archE4294967295ELNS1_3gpuE0ELNS1_3repE0EEENS1_30default_config_static_selectorELNS0_4arch9wavefront6targetE0EEEvS14_
                                        ; -- End function
	.set _ZN7rocprim17ROCPRIM_400000_NS6detail17trampoline_kernelINS0_14default_configENS1_22reduce_config_selectorIN6thrust23THRUST_200600_302600_NS5tupleIblNS6_9null_typeES8_S8_S8_S8_S8_S8_S8_EEEEZNS1_11reduce_implILb1ES3_NS6_12zip_iteratorINS7_INS6_11hip_rocprim26transform_input_iterator_tIbNSD_35transform_pair_of_input_iterators_tIbNS6_6detail15normal_iteratorINS6_10device_ptrIKyEEEESL_NS6_8equal_toIyEEEENSG_9not_fun_tINSD_8identityEEEEENSD_19counting_iterator_tIlEES8_S8_S8_S8_S8_S8_S8_S8_EEEEPS9_S9_NSD_9__find_if7functorIS9_EEEE10hipError_tPvRmT1_T2_T3_mT4_P12ihipStream_tbEUlT_E1_NS1_11comp_targetILNS1_3genE0ELNS1_11target_archE4294967295ELNS1_3gpuE0ELNS1_3repE0EEENS1_30default_config_static_selectorELNS0_4arch9wavefront6targetE0EEEvS14_.num_vgpr, 36
	.set _ZN7rocprim17ROCPRIM_400000_NS6detail17trampoline_kernelINS0_14default_configENS1_22reduce_config_selectorIN6thrust23THRUST_200600_302600_NS5tupleIblNS6_9null_typeES8_S8_S8_S8_S8_S8_S8_EEEEZNS1_11reduce_implILb1ES3_NS6_12zip_iteratorINS7_INS6_11hip_rocprim26transform_input_iterator_tIbNSD_35transform_pair_of_input_iterators_tIbNS6_6detail15normal_iteratorINS6_10device_ptrIKyEEEESL_NS6_8equal_toIyEEEENSG_9not_fun_tINSD_8identityEEEEENSD_19counting_iterator_tIlEES8_S8_S8_S8_S8_S8_S8_S8_EEEEPS9_S9_NSD_9__find_if7functorIS9_EEEE10hipError_tPvRmT1_T2_T3_mT4_P12ihipStream_tbEUlT_E1_NS1_11comp_targetILNS1_3genE0ELNS1_11target_archE4294967295ELNS1_3gpuE0ELNS1_3repE0EEENS1_30default_config_static_selectorELNS0_4arch9wavefront6targetE0EEEvS14_.num_agpr, 0
	.set _ZN7rocprim17ROCPRIM_400000_NS6detail17trampoline_kernelINS0_14default_configENS1_22reduce_config_selectorIN6thrust23THRUST_200600_302600_NS5tupleIblNS6_9null_typeES8_S8_S8_S8_S8_S8_S8_EEEEZNS1_11reduce_implILb1ES3_NS6_12zip_iteratorINS7_INS6_11hip_rocprim26transform_input_iterator_tIbNSD_35transform_pair_of_input_iterators_tIbNS6_6detail15normal_iteratorINS6_10device_ptrIKyEEEESL_NS6_8equal_toIyEEEENSG_9not_fun_tINSD_8identityEEEEENSD_19counting_iterator_tIlEES8_S8_S8_S8_S8_S8_S8_S8_EEEEPS9_S9_NSD_9__find_if7functorIS9_EEEE10hipError_tPvRmT1_T2_T3_mT4_P12ihipStream_tbEUlT_E1_NS1_11comp_targetILNS1_3genE0ELNS1_11target_archE4294967295ELNS1_3gpuE0ELNS1_3repE0EEENS1_30default_config_static_selectorELNS0_4arch9wavefront6targetE0EEEvS14_.numbered_sgpr, 28
	.set _ZN7rocprim17ROCPRIM_400000_NS6detail17trampoline_kernelINS0_14default_configENS1_22reduce_config_selectorIN6thrust23THRUST_200600_302600_NS5tupleIblNS6_9null_typeES8_S8_S8_S8_S8_S8_S8_EEEEZNS1_11reduce_implILb1ES3_NS6_12zip_iteratorINS7_INS6_11hip_rocprim26transform_input_iterator_tIbNSD_35transform_pair_of_input_iterators_tIbNS6_6detail15normal_iteratorINS6_10device_ptrIKyEEEESL_NS6_8equal_toIyEEEENSG_9not_fun_tINSD_8identityEEEEENSD_19counting_iterator_tIlEES8_S8_S8_S8_S8_S8_S8_S8_EEEEPS9_S9_NSD_9__find_if7functorIS9_EEEE10hipError_tPvRmT1_T2_T3_mT4_P12ihipStream_tbEUlT_E1_NS1_11comp_targetILNS1_3genE0ELNS1_11target_archE4294967295ELNS1_3gpuE0ELNS1_3repE0EEENS1_30default_config_static_selectorELNS0_4arch9wavefront6targetE0EEEvS14_.num_named_barrier, 0
	.set _ZN7rocprim17ROCPRIM_400000_NS6detail17trampoline_kernelINS0_14default_configENS1_22reduce_config_selectorIN6thrust23THRUST_200600_302600_NS5tupleIblNS6_9null_typeES8_S8_S8_S8_S8_S8_S8_EEEEZNS1_11reduce_implILb1ES3_NS6_12zip_iteratorINS7_INS6_11hip_rocprim26transform_input_iterator_tIbNSD_35transform_pair_of_input_iterators_tIbNS6_6detail15normal_iteratorINS6_10device_ptrIKyEEEESL_NS6_8equal_toIyEEEENSG_9not_fun_tINSD_8identityEEEEENSD_19counting_iterator_tIlEES8_S8_S8_S8_S8_S8_S8_S8_EEEEPS9_S9_NSD_9__find_if7functorIS9_EEEE10hipError_tPvRmT1_T2_T3_mT4_P12ihipStream_tbEUlT_E1_NS1_11comp_targetILNS1_3genE0ELNS1_11target_archE4294967295ELNS1_3gpuE0ELNS1_3repE0EEENS1_30default_config_static_selectorELNS0_4arch9wavefront6targetE0EEEvS14_.private_seg_size, 0
	.set _ZN7rocprim17ROCPRIM_400000_NS6detail17trampoline_kernelINS0_14default_configENS1_22reduce_config_selectorIN6thrust23THRUST_200600_302600_NS5tupleIblNS6_9null_typeES8_S8_S8_S8_S8_S8_S8_EEEEZNS1_11reduce_implILb1ES3_NS6_12zip_iteratorINS7_INS6_11hip_rocprim26transform_input_iterator_tIbNSD_35transform_pair_of_input_iterators_tIbNS6_6detail15normal_iteratorINS6_10device_ptrIKyEEEESL_NS6_8equal_toIyEEEENSG_9not_fun_tINSD_8identityEEEEENSD_19counting_iterator_tIlEES8_S8_S8_S8_S8_S8_S8_S8_EEEEPS9_S9_NSD_9__find_if7functorIS9_EEEE10hipError_tPvRmT1_T2_T3_mT4_P12ihipStream_tbEUlT_E1_NS1_11comp_targetILNS1_3genE0ELNS1_11target_archE4294967295ELNS1_3gpuE0ELNS1_3repE0EEENS1_30default_config_static_selectorELNS0_4arch9wavefront6targetE0EEEvS14_.uses_vcc, 1
	.set _ZN7rocprim17ROCPRIM_400000_NS6detail17trampoline_kernelINS0_14default_configENS1_22reduce_config_selectorIN6thrust23THRUST_200600_302600_NS5tupleIblNS6_9null_typeES8_S8_S8_S8_S8_S8_S8_EEEEZNS1_11reduce_implILb1ES3_NS6_12zip_iteratorINS7_INS6_11hip_rocprim26transform_input_iterator_tIbNSD_35transform_pair_of_input_iterators_tIbNS6_6detail15normal_iteratorINS6_10device_ptrIKyEEEESL_NS6_8equal_toIyEEEENSG_9not_fun_tINSD_8identityEEEEENSD_19counting_iterator_tIlEES8_S8_S8_S8_S8_S8_S8_S8_EEEEPS9_S9_NSD_9__find_if7functorIS9_EEEE10hipError_tPvRmT1_T2_T3_mT4_P12ihipStream_tbEUlT_E1_NS1_11comp_targetILNS1_3genE0ELNS1_11target_archE4294967295ELNS1_3gpuE0ELNS1_3repE0EEENS1_30default_config_static_selectorELNS0_4arch9wavefront6targetE0EEEvS14_.uses_flat_scratch, 0
	.set _ZN7rocprim17ROCPRIM_400000_NS6detail17trampoline_kernelINS0_14default_configENS1_22reduce_config_selectorIN6thrust23THRUST_200600_302600_NS5tupleIblNS6_9null_typeES8_S8_S8_S8_S8_S8_S8_EEEEZNS1_11reduce_implILb1ES3_NS6_12zip_iteratorINS7_INS6_11hip_rocprim26transform_input_iterator_tIbNSD_35transform_pair_of_input_iterators_tIbNS6_6detail15normal_iteratorINS6_10device_ptrIKyEEEESL_NS6_8equal_toIyEEEENSG_9not_fun_tINSD_8identityEEEEENSD_19counting_iterator_tIlEES8_S8_S8_S8_S8_S8_S8_S8_EEEEPS9_S9_NSD_9__find_if7functorIS9_EEEE10hipError_tPvRmT1_T2_T3_mT4_P12ihipStream_tbEUlT_E1_NS1_11comp_targetILNS1_3genE0ELNS1_11target_archE4294967295ELNS1_3gpuE0ELNS1_3repE0EEENS1_30default_config_static_selectorELNS0_4arch9wavefront6targetE0EEEvS14_.has_dyn_sized_stack, 0
	.set _ZN7rocprim17ROCPRIM_400000_NS6detail17trampoline_kernelINS0_14default_configENS1_22reduce_config_selectorIN6thrust23THRUST_200600_302600_NS5tupleIblNS6_9null_typeES8_S8_S8_S8_S8_S8_S8_EEEEZNS1_11reduce_implILb1ES3_NS6_12zip_iteratorINS7_INS6_11hip_rocprim26transform_input_iterator_tIbNSD_35transform_pair_of_input_iterators_tIbNS6_6detail15normal_iteratorINS6_10device_ptrIKyEEEESL_NS6_8equal_toIyEEEENSG_9not_fun_tINSD_8identityEEEEENSD_19counting_iterator_tIlEES8_S8_S8_S8_S8_S8_S8_S8_EEEEPS9_S9_NSD_9__find_if7functorIS9_EEEE10hipError_tPvRmT1_T2_T3_mT4_P12ihipStream_tbEUlT_E1_NS1_11comp_targetILNS1_3genE0ELNS1_11target_archE4294967295ELNS1_3gpuE0ELNS1_3repE0EEENS1_30default_config_static_selectorELNS0_4arch9wavefront6targetE0EEEvS14_.has_recursion, 0
	.set _ZN7rocprim17ROCPRIM_400000_NS6detail17trampoline_kernelINS0_14default_configENS1_22reduce_config_selectorIN6thrust23THRUST_200600_302600_NS5tupleIblNS6_9null_typeES8_S8_S8_S8_S8_S8_S8_EEEEZNS1_11reduce_implILb1ES3_NS6_12zip_iteratorINS7_INS6_11hip_rocprim26transform_input_iterator_tIbNSD_35transform_pair_of_input_iterators_tIbNS6_6detail15normal_iteratorINS6_10device_ptrIKyEEEESL_NS6_8equal_toIyEEEENSG_9not_fun_tINSD_8identityEEEEENSD_19counting_iterator_tIlEES8_S8_S8_S8_S8_S8_S8_S8_EEEEPS9_S9_NSD_9__find_if7functorIS9_EEEE10hipError_tPvRmT1_T2_T3_mT4_P12ihipStream_tbEUlT_E1_NS1_11comp_targetILNS1_3genE0ELNS1_11target_archE4294967295ELNS1_3gpuE0ELNS1_3repE0EEENS1_30default_config_static_selectorELNS0_4arch9wavefront6targetE0EEEvS14_.has_indirect_call, 0
	.section	.AMDGPU.csdata,"",@progbits
; Kernel info:
; codeLenInByte = 13308
; TotalNumSgprs: 30
; NumVgprs: 36
; ScratchSize: 0
; MemoryBound: 0
; FloatMode: 240
; IeeeMode: 1
; LDSByteSize: 320 bytes/workgroup (compile time only)
; SGPRBlocks: 0
; VGPRBlocks: 2
; NumSGPRsForWavesPerEU: 30
; NumVGPRsForWavesPerEU: 36
; NamedBarCnt: 0
; Occupancy: 16
; WaveLimiterHint : 0
; COMPUTE_PGM_RSRC2:SCRATCH_EN: 0
; COMPUTE_PGM_RSRC2:USER_SGPR: 2
; COMPUTE_PGM_RSRC2:TRAP_HANDLER: 0
; COMPUTE_PGM_RSRC2:TGID_X_EN: 1
; COMPUTE_PGM_RSRC2:TGID_Y_EN: 0
; COMPUTE_PGM_RSRC2:TGID_Z_EN: 0
; COMPUTE_PGM_RSRC2:TIDIG_COMP_CNT: 0
	.section	.text._ZN7rocprim17ROCPRIM_400000_NS6detail17trampoline_kernelINS0_14default_configENS1_22reduce_config_selectorIN6thrust23THRUST_200600_302600_NS5tupleIblNS6_9null_typeES8_S8_S8_S8_S8_S8_S8_EEEEZNS1_11reduce_implILb1ES3_NS6_12zip_iteratorINS7_INS6_11hip_rocprim26transform_input_iterator_tIbNSD_35transform_pair_of_input_iterators_tIbNS6_6detail15normal_iteratorINS6_10device_ptrIKyEEEESL_NS6_8equal_toIyEEEENSG_9not_fun_tINSD_8identityEEEEENSD_19counting_iterator_tIlEES8_S8_S8_S8_S8_S8_S8_S8_EEEEPS9_S9_NSD_9__find_if7functorIS9_EEEE10hipError_tPvRmT1_T2_T3_mT4_P12ihipStream_tbEUlT_E1_NS1_11comp_targetILNS1_3genE5ELNS1_11target_archE942ELNS1_3gpuE9ELNS1_3repE0EEENS1_30default_config_static_selectorELNS0_4arch9wavefront6targetE0EEEvS14_,"axG",@progbits,_ZN7rocprim17ROCPRIM_400000_NS6detail17trampoline_kernelINS0_14default_configENS1_22reduce_config_selectorIN6thrust23THRUST_200600_302600_NS5tupleIblNS6_9null_typeES8_S8_S8_S8_S8_S8_S8_EEEEZNS1_11reduce_implILb1ES3_NS6_12zip_iteratorINS7_INS6_11hip_rocprim26transform_input_iterator_tIbNSD_35transform_pair_of_input_iterators_tIbNS6_6detail15normal_iteratorINS6_10device_ptrIKyEEEESL_NS6_8equal_toIyEEEENSG_9not_fun_tINSD_8identityEEEEENSD_19counting_iterator_tIlEES8_S8_S8_S8_S8_S8_S8_S8_EEEEPS9_S9_NSD_9__find_if7functorIS9_EEEE10hipError_tPvRmT1_T2_T3_mT4_P12ihipStream_tbEUlT_E1_NS1_11comp_targetILNS1_3genE5ELNS1_11target_archE942ELNS1_3gpuE9ELNS1_3repE0EEENS1_30default_config_static_selectorELNS0_4arch9wavefront6targetE0EEEvS14_,comdat
	.protected	_ZN7rocprim17ROCPRIM_400000_NS6detail17trampoline_kernelINS0_14default_configENS1_22reduce_config_selectorIN6thrust23THRUST_200600_302600_NS5tupleIblNS6_9null_typeES8_S8_S8_S8_S8_S8_S8_EEEEZNS1_11reduce_implILb1ES3_NS6_12zip_iteratorINS7_INS6_11hip_rocprim26transform_input_iterator_tIbNSD_35transform_pair_of_input_iterators_tIbNS6_6detail15normal_iteratorINS6_10device_ptrIKyEEEESL_NS6_8equal_toIyEEEENSG_9not_fun_tINSD_8identityEEEEENSD_19counting_iterator_tIlEES8_S8_S8_S8_S8_S8_S8_S8_EEEEPS9_S9_NSD_9__find_if7functorIS9_EEEE10hipError_tPvRmT1_T2_T3_mT4_P12ihipStream_tbEUlT_E1_NS1_11comp_targetILNS1_3genE5ELNS1_11target_archE942ELNS1_3gpuE9ELNS1_3repE0EEENS1_30default_config_static_selectorELNS0_4arch9wavefront6targetE0EEEvS14_ ; -- Begin function _ZN7rocprim17ROCPRIM_400000_NS6detail17trampoline_kernelINS0_14default_configENS1_22reduce_config_selectorIN6thrust23THRUST_200600_302600_NS5tupleIblNS6_9null_typeES8_S8_S8_S8_S8_S8_S8_EEEEZNS1_11reduce_implILb1ES3_NS6_12zip_iteratorINS7_INS6_11hip_rocprim26transform_input_iterator_tIbNSD_35transform_pair_of_input_iterators_tIbNS6_6detail15normal_iteratorINS6_10device_ptrIKyEEEESL_NS6_8equal_toIyEEEENSG_9not_fun_tINSD_8identityEEEEENSD_19counting_iterator_tIlEES8_S8_S8_S8_S8_S8_S8_S8_EEEEPS9_S9_NSD_9__find_if7functorIS9_EEEE10hipError_tPvRmT1_T2_T3_mT4_P12ihipStream_tbEUlT_E1_NS1_11comp_targetILNS1_3genE5ELNS1_11target_archE942ELNS1_3gpuE9ELNS1_3repE0EEENS1_30default_config_static_selectorELNS0_4arch9wavefront6targetE0EEEvS14_
	.globl	_ZN7rocprim17ROCPRIM_400000_NS6detail17trampoline_kernelINS0_14default_configENS1_22reduce_config_selectorIN6thrust23THRUST_200600_302600_NS5tupleIblNS6_9null_typeES8_S8_S8_S8_S8_S8_S8_EEEEZNS1_11reduce_implILb1ES3_NS6_12zip_iteratorINS7_INS6_11hip_rocprim26transform_input_iterator_tIbNSD_35transform_pair_of_input_iterators_tIbNS6_6detail15normal_iteratorINS6_10device_ptrIKyEEEESL_NS6_8equal_toIyEEEENSG_9not_fun_tINSD_8identityEEEEENSD_19counting_iterator_tIlEES8_S8_S8_S8_S8_S8_S8_S8_EEEEPS9_S9_NSD_9__find_if7functorIS9_EEEE10hipError_tPvRmT1_T2_T3_mT4_P12ihipStream_tbEUlT_E1_NS1_11comp_targetILNS1_3genE5ELNS1_11target_archE942ELNS1_3gpuE9ELNS1_3repE0EEENS1_30default_config_static_selectorELNS0_4arch9wavefront6targetE0EEEvS14_
	.p2align	8
	.type	_ZN7rocprim17ROCPRIM_400000_NS6detail17trampoline_kernelINS0_14default_configENS1_22reduce_config_selectorIN6thrust23THRUST_200600_302600_NS5tupleIblNS6_9null_typeES8_S8_S8_S8_S8_S8_S8_EEEEZNS1_11reduce_implILb1ES3_NS6_12zip_iteratorINS7_INS6_11hip_rocprim26transform_input_iterator_tIbNSD_35transform_pair_of_input_iterators_tIbNS6_6detail15normal_iteratorINS6_10device_ptrIKyEEEESL_NS6_8equal_toIyEEEENSG_9not_fun_tINSD_8identityEEEEENSD_19counting_iterator_tIlEES8_S8_S8_S8_S8_S8_S8_S8_EEEEPS9_S9_NSD_9__find_if7functorIS9_EEEE10hipError_tPvRmT1_T2_T3_mT4_P12ihipStream_tbEUlT_E1_NS1_11comp_targetILNS1_3genE5ELNS1_11target_archE942ELNS1_3gpuE9ELNS1_3repE0EEENS1_30default_config_static_selectorELNS0_4arch9wavefront6targetE0EEEvS14_,@function
_ZN7rocprim17ROCPRIM_400000_NS6detail17trampoline_kernelINS0_14default_configENS1_22reduce_config_selectorIN6thrust23THRUST_200600_302600_NS5tupleIblNS6_9null_typeES8_S8_S8_S8_S8_S8_S8_EEEEZNS1_11reduce_implILb1ES3_NS6_12zip_iteratorINS7_INS6_11hip_rocprim26transform_input_iterator_tIbNSD_35transform_pair_of_input_iterators_tIbNS6_6detail15normal_iteratorINS6_10device_ptrIKyEEEESL_NS6_8equal_toIyEEEENSG_9not_fun_tINSD_8identityEEEEENSD_19counting_iterator_tIlEES8_S8_S8_S8_S8_S8_S8_S8_EEEEPS9_S9_NSD_9__find_if7functorIS9_EEEE10hipError_tPvRmT1_T2_T3_mT4_P12ihipStream_tbEUlT_E1_NS1_11comp_targetILNS1_3genE5ELNS1_11target_archE942ELNS1_3gpuE9ELNS1_3repE0EEENS1_30default_config_static_selectorELNS0_4arch9wavefront6targetE0EEEvS14_: ; @_ZN7rocprim17ROCPRIM_400000_NS6detail17trampoline_kernelINS0_14default_configENS1_22reduce_config_selectorIN6thrust23THRUST_200600_302600_NS5tupleIblNS6_9null_typeES8_S8_S8_S8_S8_S8_S8_EEEEZNS1_11reduce_implILb1ES3_NS6_12zip_iteratorINS7_INS6_11hip_rocprim26transform_input_iterator_tIbNSD_35transform_pair_of_input_iterators_tIbNS6_6detail15normal_iteratorINS6_10device_ptrIKyEEEESL_NS6_8equal_toIyEEEENSG_9not_fun_tINSD_8identityEEEEENSD_19counting_iterator_tIlEES8_S8_S8_S8_S8_S8_S8_S8_EEEEPS9_S9_NSD_9__find_if7functorIS9_EEEE10hipError_tPvRmT1_T2_T3_mT4_P12ihipStream_tbEUlT_E1_NS1_11comp_targetILNS1_3genE5ELNS1_11target_archE942ELNS1_3gpuE9ELNS1_3repE0EEENS1_30default_config_static_selectorELNS0_4arch9wavefront6targetE0EEEvS14_
; %bb.0:
	.section	.rodata,"a",@progbits
	.p2align	6, 0x0
	.amdhsa_kernel _ZN7rocprim17ROCPRIM_400000_NS6detail17trampoline_kernelINS0_14default_configENS1_22reduce_config_selectorIN6thrust23THRUST_200600_302600_NS5tupleIblNS6_9null_typeES8_S8_S8_S8_S8_S8_S8_EEEEZNS1_11reduce_implILb1ES3_NS6_12zip_iteratorINS7_INS6_11hip_rocprim26transform_input_iterator_tIbNSD_35transform_pair_of_input_iterators_tIbNS6_6detail15normal_iteratorINS6_10device_ptrIKyEEEESL_NS6_8equal_toIyEEEENSG_9not_fun_tINSD_8identityEEEEENSD_19counting_iterator_tIlEES8_S8_S8_S8_S8_S8_S8_S8_EEEEPS9_S9_NSD_9__find_if7functorIS9_EEEE10hipError_tPvRmT1_T2_T3_mT4_P12ihipStream_tbEUlT_E1_NS1_11comp_targetILNS1_3genE5ELNS1_11target_archE942ELNS1_3gpuE9ELNS1_3repE0EEENS1_30default_config_static_selectorELNS0_4arch9wavefront6targetE0EEEvS14_
		.amdhsa_group_segment_fixed_size 0
		.amdhsa_private_segment_fixed_size 0
		.amdhsa_kernarg_size 88
		.amdhsa_user_sgpr_count 2
		.amdhsa_user_sgpr_dispatch_ptr 0
		.amdhsa_user_sgpr_queue_ptr 0
		.amdhsa_user_sgpr_kernarg_segment_ptr 1
		.amdhsa_user_sgpr_dispatch_id 0
		.amdhsa_user_sgpr_kernarg_preload_length 0
		.amdhsa_user_sgpr_kernarg_preload_offset 0
		.amdhsa_user_sgpr_private_segment_size 0
		.amdhsa_wavefront_size32 1
		.amdhsa_uses_dynamic_stack 0
		.amdhsa_enable_private_segment 0
		.amdhsa_system_sgpr_workgroup_id_x 1
		.amdhsa_system_sgpr_workgroup_id_y 0
		.amdhsa_system_sgpr_workgroup_id_z 0
		.amdhsa_system_sgpr_workgroup_info 0
		.amdhsa_system_vgpr_workitem_id 0
		.amdhsa_next_free_vgpr 1
		.amdhsa_next_free_sgpr 1
		.amdhsa_named_barrier_count 0
		.amdhsa_reserve_vcc 0
		.amdhsa_float_round_mode_32 0
		.amdhsa_float_round_mode_16_64 0
		.amdhsa_float_denorm_mode_32 3
		.amdhsa_float_denorm_mode_16_64 3
		.amdhsa_fp16_overflow 0
		.amdhsa_memory_ordered 1
		.amdhsa_forward_progress 1
		.amdhsa_inst_pref_size 0
		.amdhsa_round_robin_scheduling 0
		.amdhsa_exception_fp_ieee_invalid_op 0
		.amdhsa_exception_fp_denorm_src 0
		.amdhsa_exception_fp_ieee_div_zero 0
		.amdhsa_exception_fp_ieee_overflow 0
		.amdhsa_exception_fp_ieee_underflow 0
		.amdhsa_exception_fp_ieee_inexact 0
		.amdhsa_exception_int_div_zero 0
	.end_amdhsa_kernel
	.section	.text._ZN7rocprim17ROCPRIM_400000_NS6detail17trampoline_kernelINS0_14default_configENS1_22reduce_config_selectorIN6thrust23THRUST_200600_302600_NS5tupleIblNS6_9null_typeES8_S8_S8_S8_S8_S8_S8_EEEEZNS1_11reduce_implILb1ES3_NS6_12zip_iteratorINS7_INS6_11hip_rocprim26transform_input_iterator_tIbNSD_35transform_pair_of_input_iterators_tIbNS6_6detail15normal_iteratorINS6_10device_ptrIKyEEEESL_NS6_8equal_toIyEEEENSG_9not_fun_tINSD_8identityEEEEENSD_19counting_iterator_tIlEES8_S8_S8_S8_S8_S8_S8_S8_EEEEPS9_S9_NSD_9__find_if7functorIS9_EEEE10hipError_tPvRmT1_T2_T3_mT4_P12ihipStream_tbEUlT_E1_NS1_11comp_targetILNS1_3genE5ELNS1_11target_archE942ELNS1_3gpuE9ELNS1_3repE0EEENS1_30default_config_static_selectorELNS0_4arch9wavefront6targetE0EEEvS14_,"axG",@progbits,_ZN7rocprim17ROCPRIM_400000_NS6detail17trampoline_kernelINS0_14default_configENS1_22reduce_config_selectorIN6thrust23THRUST_200600_302600_NS5tupleIblNS6_9null_typeES8_S8_S8_S8_S8_S8_S8_EEEEZNS1_11reduce_implILb1ES3_NS6_12zip_iteratorINS7_INS6_11hip_rocprim26transform_input_iterator_tIbNSD_35transform_pair_of_input_iterators_tIbNS6_6detail15normal_iteratorINS6_10device_ptrIKyEEEESL_NS6_8equal_toIyEEEENSG_9not_fun_tINSD_8identityEEEEENSD_19counting_iterator_tIlEES8_S8_S8_S8_S8_S8_S8_S8_EEEEPS9_S9_NSD_9__find_if7functorIS9_EEEE10hipError_tPvRmT1_T2_T3_mT4_P12ihipStream_tbEUlT_E1_NS1_11comp_targetILNS1_3genE5ELNS1_11target_archE942ELNS1_3gpuE9ELNS1_3repE0EEENS1_30default_config_static_selectorELNS0_4arch9wavefront6targetE0EEEvS14_,comdat
.Lfunc_end124:
	.size	_ZN7rocprim17ROCPRIM_400000_NS6detail17trampoline_kernelINS0_14default_configENS1_22reduce_config_selectorIN6thrust23THRUST_200600_302600_NS5tupleIblNS6_9null_typeES8_S8_S8_S8_S8_S8_S8_EEEEZNS1_11reduce_implILb1ES3_NS6_12zip_iteratorINS7_INS6_11hip_rocprim26transform_input_iterator_tIbNSD_35transform_pair_of_input_iterators_tIbNS6_6detail15normal_iteratorINS6_10device_ptrIKyEEEESL_NS6_8equal_toIyEEEENSG_9not_fun_tINSD_8identityEEEEENSD_19counting_iterator_tIlEES8_S8_S8_S8_S8_S8_S8_S8_EEEEPS9_S9_NSD_9__find_if7functorIS9_EEEE10hipError_tPvRmT1_T2_T3_mT4_P12ihipStream_tbEUlT_E1_NS1_11comp_targetILNS1_3genE5ELNS1_11target_archE942ELNS1_3gpuE9ELNS1_3repE0EEENS1_30default_config_static_selectorELNS0_4arch9wavefront6targetE0EEEvS14_, .Lfunc_end124-_ZN7rocprim17ROCPRIM_400000_NS6detail17trampoline_kernelINS0_14default_configENS1_22reduce_config_selectorIN6thrust23THRUST_200600_302600_NS5tupleIblNS6_9null_typeES8_S8_S8_S8_S8_S8_S8_EEEEZNS1_11reduce_implILb1ES3_NS6_12zip_iteratorINS7_INS6_11hip_rocprim26transform_input_iterator_tIbNSD_35transform_pair_of_input_iterators_tIbNS6_6detail15normal_iteratorINS6_10device_ptrIKyEEEESL_NS6_8equal_toIyEEEENSG_9not_fun_tINSD_8identityEEEEENSD_19counting_iterator_tIlEES8_S8_S8_S8_S8_S8_S8_S8_EEEEPS9_S9_NSD_9__find_if7functorIS9_EEEE10hipError_tPvRmT1_T2_T3_mT4_P12ihipStream_tbEUlT_E1_NS1_11comp_targetILNS1_3genE5ELNS1_11target_archE942ELNS1_3gpuE9ELNS1_3repE0EEENS1_30default_config_static_selectorELNS0_4arch9wavefront6targetE0EEEvS14_
                                        ; -- End function
	.set _ZN7rocprim17ROCPRIM_400000_NS6detail17trampoline_kernelINS0_14default_configENS1_22reduce_config_selectorIN6thrust23THRUST_200600_302600_NS5tupleIblNS6_9null_typeES8_S8_S8_S8_S8_S8_S8_EEEEZNS1_11reduce_implILb1ES3_NS6_12zip_iteratorINS7_INS6_11hip_rocprim26transform_input_iterator_tIbNSD_35transform_pair_of_input_iterators_tIbNS6_6detail15normal_iteratorINS6_10device_ptrIKyEEEESL_NS6_8equal_toIyEEEENSG_9not_fun_tINSD_8identityEEEEENSD_19counting_iterator_tIlEES8_S8_S8_S8_S8_S8_S8_S8_EEEEPS9_S9_NSD_9__find_if7functorIS9_EEEE10hipError_tPvRmT1_T2_T3_mT4_P12ihipStream_tbEUlT_E1_NS1_11comp_targetILNS1_3genE5ELNS1_11target_archE942ELNS1_3gpuE9ELNS1_3repE0EEENS1_30default_config_static_selectorELNS0_4arch9wavefront6targetE0EEEvS14_.num_vgpr, 0
	.set _ZN7rocprim17ROCPRIM_400000_NS6detail17trampoline_kernelINS0_14default_configENS1_22reduce_config_selectorIN6thrust23THRUST_200600_302600_NS5tupleIblNS6_9null_typeES8_S8_S8_S8_S8_S8_S8_EEEEZNS1_11reduce_implILb1ES3_NS6_12zip_iteratorINS7_INS6_11hip_rocprim26transform_input_iterator_tIbNSD_35transform_pair_of_input_iterators_tIbNS6_6detail15normal_iteratorINS6_10device_ptrIKyEEEESL_NS6_8equal_toIyEEEENSG_9not_fun_tINSD_8identityEEEEENSD_19counting_iterator_tIlEES8_S8_S8_S8_S8_S8_S8_S8_EEEEPS9_S9_NSD_9__find_if7functorIS9_EEEE10hipError_tPvRmT1_T2_T3_mT4_P12ihipStream_tbEUlT_E1_NS1_11comp_targetILNS1_3genE5ELNS1_11target_archE942ELNS1_3gpuE9ELNS1_3repE0EEENS1_30default_config_static_selectorELNS0_4arch9wavefront6targetE0EEEvS14_.num_agpr, 0
	.set _ZN7rocprim17ROCPRIM_400000_NS6detail17trampoline_kernelINS0_14default_configENS1_22reduce_config_selectorIN6thrust23THRUST_200600_302600_NS5tupleIblNS6_9null_typeES8_S8_S8_S8_S8_S8_S8_EEEEZNS1_11reduce_implILb1ES3_NS6_12zip_iteratorINS7_INS6_11hip_rocprim26transform_input_iterator_tIbNSD_35transform_pair_of_input_iterators_tIbNS6_6detail15normal_iteratorINS6_10device_ptrIKyEEEESL_NS6_8equal_toIyEEEENSG_9not_fun_tINSD_8identityEEEEENSD_19counting_iterator_tIlEES8_S8_S8_S8_S8_S8_S8_S8_EEEEPS9_S9_NSD_9__find_if7functorIS9_EEEE10hipError_tPvRmT1_T2_T3_mT4_P12ihipStream_tbEUlT_E1_NS1_11comp_targetILNS1_3genE5ELNS1_11target_archE942ELNS1_3gpuE9ELNS1_3repE0EEENS1_30default_config_static_selectorELNS0_4arch9wavefront6targetE0EEEvS14_.numbered_sgpr, 0
	.set _ZN7rocprim17ROCPRIM_400000_NS6detail17trampoline_kernelINS0_14default_configENS1_22reduce_config_selectorIN6thrust23THRUST_200600_302600_NS5tupleIblNS6_9null_typeES8_S8_S8_S8_S8_S8_S8_EEEEZNS1_11reduce_implILb1ES3_NS6_12zip_iteratorINS7_INS6_11hip_rocprim26transform_input_iterator_tIbNSD_35transform_pair_of_input_iterators_tIbNS6_6detail15normal_iteratorINS6_10device_ptrIKyEEEESL_NS6_8equal_toIyEEEENSG_9not_fun_tINSD_8identityEEEEENSD_19counting_iterator_tIlEES8_S8_S8_S8_S8_S8_S8_S8_EEEEPS9_S9_NSD_9__find_if7functorIS9_EEEE10hipError_tPvRmT1_T2_T3_mT4_P12ihipStream_tbEUlT_E1_NS1_11comp_targetILNS1_3genE5ELNS1_11target_archE942ELNS1_3gpuE9ELNS1_3repE0EEENS1_30default_config_static_selectorELNS0_4arch9wavefront6targetE0EEEvS14_.num_named_barrier, 0
	.set _ZN7rocprim17ROCPRIM_400000_NS6detail17trampoline_kernelINS0_14default_configENS1_22reduce_config_selectorIN6thrust23THRUST_200600_302600_NS5tupleIblNS6_9null_typeES8_S8_S8_S8_S8_S8_S8_EEEEZNS1_11reduce_implILb1ES3_NS6_12zip_iteratorINS7_INS6_11hip_rocprim26transform_input_iterator_tIbNSD_35transform_pair_of_input_iterators_tIbNS6_6detail15normal_iteratorINS6_10device_ptrIKyEEEESL_NS6_8equal_toIyEEEENSG_9not_fun_tINSD_8identityEEEEENSD_19counting_iterator_tIlEES8_S8_S8_S8_S8_S8_S8_S8_EEEEPS9_S9_NSD_9__find_if7functorIS9_EEEE10hipError_tPvRmT1_T2_T3_mT4_P12ihipStream_tbEUlT_E1_NS1_11comp_targetILNS1_3genE5ELNS1_11target_archE942ELNS1_3gpuE9ELNS1_3repE0EEENS1_30default_config_static_selectorELNS0_4arch9wavefront6targetE0EEEvS14_.private_seg_size, 0
	.set _ZN7rocprim17ROCPRIM_400000_NS6detail17trampoline_kernelINS0_14default_configENS1_22reduce_config_selectorIN6thrust23THRUST_200600_302600_NS5tupleIblNS6_9null_typeES8_S8_S8_S8_S8_S8_S8_EEEEZNS1_11reduce_implILb1ES3_NS6_12zip_iteratorINS7_INS6_11hip_rocprim26transform_input_iterator_tIbNSD_35transform_pair_of_input_iterators_tIbNS6_6detail15normal_iteratorINS6_10device_ptrIKyEEEESL_NS6_8equal_toIyEEEENSG_9not_fun_tINSD_8identityEEEEENSD_19counting_iterator_tIlEES8_S8_S8_S8_S8_S8_S8_S8_EEEEPS9_S9_NSD_9__find_if7functorIS9_EEEE10hipError_tPvRmT1_T2_T3_mT4_P12ihipStream_tbEUlT_E1_NS1_11comp_targetILNS1_3genE5ELNS1_11target_archE942ELNS1_3gpuE9ELNS1_3repE0EEENS1_30default_config_static_selectorELNS0_4arch9wavefront6targetE0EEEvS14_.uses_vcc, 0
	.set _ZN7rocprim17ROCPRIM_400000_NS6detail17trampoline_kernelINS0_14default_configENS1_22reduce_config_selectorIN6thrust23THRUST_200600_302600_NS5tupleIblNS6_9null_typeES8_S8_S8_S8_S8_S8_S8_EEEEZNS1_11reduce_implILb1ES3_NS6_12zip_iteratorINS7_INS6_11hip_rocprim26transform_input_iterator_tIbNSD_35transform_pair_of_input_iterators_tIbNS6_6detail15normal_iteratorINS6_10device_ptrIKyEEEESL_NS6_8equal_toIyEEEENSG_9not_fun_tINSD_8identityEEEEENSD_19counting_iterator_tIlEES8_S8_S8_S8_S8_S8_S8_S8_EEEEPS9_S9_NSD_9__find_if7functorIS9_EEEE10hipError_tPvRmT1_T2_T3_mT4_P12ihipStream_tbEUlT_E1_NS1_11comp_targetILNS1_3genE5ELNS1_11target_archE942ELNS1_3gpuE9ELNS1_3repE0EEENS1_30default_config_static_selectorELNS0_4arch9wavefront6targetE0EEEvS14_.uses_flat_scratch, 0
	.set _ZN7rocprim17ROCPRIM_400000_NS6detail17trampoline_kernelINS0_14default_configENS1_22reduce_config_selectorIN6thrust23THRUST_200600_302600_NS5tupleIblNS6_9null_typeES8_S8_S8_S8_S8_S8_S8_EEEEZNS1_11reduce_implILb1ES3_NS6_12zip_iteratorINS7_INS6_11hip_rocprim26transform_input_iterator_tIbNSD_35transform_pair_of_input_iterators_tIbNS6_6detail15normal_iteratorINS6_10device_ptrIKyEEEESL_NS6_8equal_toIyEEEENSG_9not_fun_tINSD_8identityEEEEENSD_19counting_iterator_tIlEES8_S8_S8_S8_S8_S8_S8_S8_EEEEPS9_S9_NSD_9__find_if7functorIS9_EEEE10hipError_tPvRmT1_T2_T3_mT4_P12ihipStream_tbEUlT_E1_NS1_11comp_targetILNS1_3genE5ELNS1_11target_archE942ELNS1_3gpuE9ELNS1_3repE0EEENS1_30default_config_static_selectorELNS0_4arch9wavefront6targetE0EEEvS14_.has_dyn_sized_stack, 0
	.set _ZN7rocprim17ROCPRIM_400000_NS6detail17trampoline_kernelINS0_14default_configENS1_22reduce_config_selectorIN6thrust23THRUST_200600_302600_NS5tupleIblNS6_9null_typeES8_S8_S8_S8_S8_S8_S8_EEEEZNS1_11reduce_implILb1ES3_NS6_12zip_iteratorINS7_INS6_11hip_rocprim26transform_input_iterator_tIbNSD_35transform_pair_of_input_iterators_tIbNS6_6detail15normal_iteratorINS6_10device_ptrIKyEEEESL_NS6_8equal_toIyEEEENSG_9not_fun_tINSD_8identityEEEEENSD_19counting_iterator_tIlEES8_S8_S8_S8_S8_S8_S8_S8_EEEEPS9_S9_NSD_9__find_if7functorIS9_EEEE10hipError_tPvRmT1_T2_T3_mT4_P12ihipStream_tbEUlT_E1_NS1_11comp_targetILNS1_3genE5ELNS1_11target_archE942ELNS1_3gpuE9ELNS1_3repE0EEENS1_30default_config_static_selectorELNS0_4arch9wavefront6targetE0EEEvS14_.has_recursion, 0
	.set _ZN7rocprim17ROCPRIM_400000_NS6detail17trampoline_kernelINS0_14default_configENS1_22reduce_config_selectorIN6thrust23THRUST_200600_302600_NS5tupleIblNS6_9null_typeES8_S8_S8_S8_S8_S8_S8_EEEEZNS1_11reduce_implILb1ES3_NS6_12zip_iteratorINS7_INS6_11hip_rocprim26transform_input_iterator_tIbNSD_35transform_pair_of_input_iterators_tIbNS6_6detail15normal_iteratorINS6_10device_ptrIKyEEEESL_NS6_8equal_toIyEEEENSG_9not_fun_tINSD_8identityEEEEENSD_19counting_iterator_tIlEES8_S8_S8_S8_S8_S8_S8_S8_EEEEPS9_S9_NSD_9__find_if7functorIS9_EEEE10hipError_tPvRmT1_T2_T3_mT4_P12ihipStream_tbEUlT_E1_NS1_11comp_targetILNS1_3genE5ELNS1_11target_archE942ELNS1_3gpuE9ELNS1_3repE0EEENS1_30default_config_static_selectorELNS0_4arch9wavefront6targetE0EEEvS14_.has_indirect_call, 0
	.section	.AMDGPU.csdata,"",@progbits
; Kernel info:
; codeLenInByte = 0
; TotalNumSgprs: 0
; NumVgprs: 0
; ScratchSize: 0
; MemoryBound: 0
; FloatMode: 240
; IeeeMode: 1
; LDSByteSize: 0 bytes/workgroup (compile time only)
; SGPRBlocks: 0
; VGPRBlocks: 0
; NumSGPRsForWavesPerEU: 1
; NumVGPRsForWavesPerEU: 1
; NamedBarCnt: 0
; Occupancy: 16
; WaveLimiterHint : 0
; COMPUTE_PGM_RSRC2:SCRATCH_EN: 0
; COMPUTE_PGM_RSRC2:USER_SGPR: 2
; COMPUTE_PGM_RSRC2:TRAP_HANDLER: 0
; COMPUTE_PGM_RSRC2:TGID_X_EN: 1
; COMPUTE_PGM_RSRC2:TGID_Y_EN: 0
; COMPUTE_PGM_RSRC2:TGID_Z_EN: 0
; COMPUTE_PGM_RSRC2:TIDIG_COMP_CNT: 0
	.section	.text._ZN7rocprim17ROCPRIM_400000_NS6detail17trampoline_kernelINS0_14default_configENS1_22reduce_config_selectorIN6thrust23THRUST_200600_302600_NS5tupleIblNS6_9null_typeES8_S8_S8_S8_S8_S8_S8_EEEEZNS1_11reduce_implILb1ES3_NS6_12zip_iteratorINS7_INS6_11hip_rocprim26transform_input_iterator_tIbNSD_35transform_pair_of_input_iterators_tIbNS6_6detail15normal_iteratorINS6_10device_ptrIKyEEEESL_NS6_8equal_toIyEEEENSG_9not_fun_tINSD_8identityEEEEENSD_19counting_iterator_tIlEES8_S8_S8_S8_S8_S8_S8_S8_EEEEPS9_S9_NSD_9__find_if7functorIS9_EEEE10hipError_tPvRmT1_T2_T3_mT4_P12ihipStream_tbEUlT_E1_NS1_11comp_targetILNS1_3genE4ELNS1_11target_archE910ELNS1_3gpuE8ELNS1_3repE0EEENS1_30default_config_static_selectorELNS0_4arch9wavefront6targetE0EEEvS14_,"axG",@progbits,_ZN7rocprim17ROCPRIM_400000_NS6detail17trampoline_kernelINS0_14default_configENS1_22reduce_config_selectorIN6thrust23THRUST_200600_302600_NS5tupleIblNS6_9null_typeES8_S8_S8_S8_S8_S8_S8_EEEEZNS1_11reduce_implILb1ES3_NS6_12zip_iteratorINS7_INS6_11hip_rocprim26transform_input_iterator_tIbNSD_35transform_pair_of_input_iterators_tIbNS6_6detail15normal_iteratorINS6_10device_ptrIKyEEEESL_NS6_8equal_toIyEEEENSG_9not_fun_tINSD_8identityEEEEENSD_19counting_iterator_tIlEES8_S8_S8_S8_S8_S8_S8_S8_EEEEPS9_S9_NSD_9__find_if7functorIS9_EEEE10hipError_tPvRmT1_T2_T3_mT4_P12ihipStream_tbEUlT_E1_NS1_11comp_targetILNS1_3genE4ELNS1_11target_archE910ELNS1_3gpuE8ELNS1_3repE0EEENS1_30default_config_static_selectorELNS0_4arch9wavefront6targetE0EEEvS14_,comdat
	.protected	_ZN7rocprim17ROCPRIM_400000_NS6detail17trampoline_kernelINS0_14default_configENS1_22reduce_config_selectorIN6thrust23THRUST_200600_302600_NS5tupleIblNS6_9null_typeES8_S8_S8_S8_S8_S8_S8_EEEEZNS1_11reduce_implILb1ES3_NS6_12zip_iteratorINS7_INS6_11hip_rocprim26transform_input_iterator_tIbNSD_35transform_pair_of_input_iterators_tIbNS6_6detail15normal_iteratorINS6_10device_ptrIKyEEEESL_NS6_8equal_toIyEEEENSG_9not_fun_tINSD_8identityEEEEENSD_19counting_iterator_tIlEES8_S8_S8_S8_S8_S8_S8_S8_EEEEPS9_S9_NSD_9__find_if7functorIS9_EEEE10hipError_tPvRmT1_T2_T3_mT4_P12ihipStream_tbEUlT_E1_NS1_11comp_targetILNS1_3genE4ELNS1_11target_archE910ELNS1_3gpuE8ELNS1_3repE0EEENS1_30default_config_static_selectorELNS0_4arch9wavefront6targetE0EEEvS14_ ; -- Begin function _ZN7rocprim17ROCPRIM_400000_NS6detail17trampoline_kernelINS0_14default_configENS1_22reduce_config_selectorIN6thrust23THRUST_200600_302600_NS5tupleIblNS6_9null_typeES8_S8_S8_S8_S8_S8_S8_EEEEZNS1_11reduce_implILb1ES3_NS6_12zip_iteratorINS7_INS6_11hip_rocprim26transform_input_iterator_tIbNSD_35transform_pair_of_input_iterators_tIbNS6_6detail15normal_iteratorINS6_10device_ptrIKyEEEESL_NS6_8equal_toIyEEEENSG_9not_fun_tINSD_8identityEEEEENSD_19counting_iterator_tIlEES8_S8_S8_S8_S8_S8_S8_S8_EEEEPS9_S9_NSD_9__find_if7functorIS9_EEEE10hipError_tPvRmT1_T2_T3_mT4_P12ihipStream_tbEUlT_E1_NS1_11comp_targetILNS1_3genE4ELNS1_11target_archE910ELNS1_3gpuE8ELNS1_3repE0EEENS1_30default_config_static_selectorELNS0_4arch9wavefront6targetE0EEEvS14_
	.globl	_ZN7rocprim17ROCPRIM_400000_NS6detail17trampoline_kernelINS0_14default_configENS1_22reduce_config_selectorIN6thrust23THRUST_200600_302600_NS5tupleIblNS6_9null_typeES8_S8_S8_S8_S8_S8_S8_EEEEZNS1_11reduce_implILb1ES3_NS6_12zip_iteratorINS7_INS6_11hip_rocprim26transform_input_iterator_tIbNSD_35transform_pair_of_input_iterators_tIbNS6_6detail15normal_iteratorINS6_10device_ptrIKyEEEESL_NS6_8equal_toIyEEEENSG_9not_fun_tINSD_8identityEEEEENSD_19counting_iterator_tIlEES8_S8_S8_S8_S8_S8_S8_S8_EEEEPS9_S9_NSD_9__find_if7functorIS9_EEEE10hipError_tPvRmT1_T2_T3_mT4_P12ihipStream_tbEUlT_E1_NS1_11comp_targetILNS1_3genE4ELNS1_11target_archE910ELNS1_3gpuE8ELNS1_3repE0EEENS1_30default_config_static_selectorELNS0_4arch9wavefront6targetE0EEEvS14_
	.p2align	8
	.type	_ZN7rocprim17ROCPRIM_400000_NS6detail17trampoline_kernelINS0_14default_configENS1_22reduce_config_selectorIN6thrust23THRUST_200600_302600_NS5tupleIblNS6_9null_typeES8_S8_S8_S8_S8_S8_S8_EEEEZNS1_11reduce_implILb1ES3_NS6_12zip_iteratorINS7_INS6_11hip_rocprim26transform_input_iterator_tIbNSD_35transform_pair_of_input_iterators_tIbNS6_6detail15normal_iteratorINS6_10device_ptrIKyEEEESL_NS6_8equal_toIyEEEENSG_9not_fun_tINSD_8identityEEEEENSD_19counting_iterator_tIlEES8_S8_S8_S8_S8_S8_S8_S8_EEEEPS9_S9_NSD_9__find_if7functorIS9_EEEE10hipError_tPvRmT1_T2_T3_mT4_P12ihipStream_tbEUlT_E1_NS1_11comp_targetILNS1_3genE4ELNS1_11target_archE910ELNS1_3gpuE8ELNS1_3repE0EEENS1_30default_config_static_selectorELNS0_4arch9wavefront6targetE0EEEvS14_,@function
_ZN7rocprim17ROCPRIM_400000_NS6detail17trampoline_kernelINS0_14default_configENS1_22reduce_config_selectorIN6thrust23THRUST_200600_302600_NS5tupleIblNS6_9null_typeES8_S8_S8_S8_S8_S8_S8_EEEEZNS1_11reduce_implILb1ES3_NS6_12zip_iteratorINS7_INS6_11hip_rocprim26transform_input_iterator_tIbNSD_35transform_pair_of_input_iterators_tIbNS6_6detail15normal_iteratorINS6_10device_ptrIKyEEEESL_NS6_8equal_toIyEEEENSG_9not_fun_tINSD_8identityEEEEENSD_19counting_iterator_tIlEES8_S8_S8_S8_S8_S8_S8_S8_EEEEPS9_S9_NSD_9__find_if7functorIS9_EEEE10hipError_tPvRmT1_T2_T3_mT4_P12ihipStream_tbEUlT_E1_NS1_11comp_targetILNS1_3genE4ELNS1_11target_archE910ELNS1_3gpuE8ELNS1_3repE0EEENS1_30default_config_static_selectorELNS0_4arch9wavefront6targetE0EEEvS14_: ; @_ZN7rocprim17ROCPRIM_400000_NS6detail17trampoline_kernelINS0_14default_configENS1_22reduce_config_selectorIN6thrust23THRUST_200600_302600_NS5tupleIblNS6_9null_typeES8_S8_S8_S8_S8_S8_S8_EEEEZNS1_11reduce_implILb1ES3_NS6_12zip_iteratorINS7_INS6_11hip_rocprim26transform_input_iterator_tIbNSD_35transform_pair_of_input_iterators_tIbNS6_6detail15normal_iteratorINS6_10device_ptrIKyEEEESL_NS6_8equal_toIyEEEENSG_9not_fun_tINSD_8identityEEEEENSD_19counting_iterator_tIlEES8_S8_S8_S8_S8_S8_S8_S8_EEEEPS9_S9_NSD_9__find_if7functorIS9_EEEE10hipError_tPvRmT1_T2_T3_mT4_P12ihipStream_tbEUlT_E1_NS1_11comp_targetILNS1_3genE4ELNS1_11target_archE910ELNS1_3gpuE8ELNS1_3repE0EEENS1_30default_config_static_selectorELNS0_4arch9wavefront6targetE0EEEvS14_
; %bb.0:
	.section	.rodata,"a",@progbits
	.p2align	6, 0x0
	.amdhsa_kernel _ZN7rocprim17ROCPRIM_400000_NS6detail17trampoline_kernelINS0_14default_configENS1_22reduce_config_selectorIN6thrust23THRUST_200600_302600_NS5tupleIblNS6_9null_typeES8_S8_S8_S8_S8_S8_S8_EEEEZNS1_11reduce_implILb1ES3_NS6_12zip_iteratorINS7_INS6_11hip_rocprim26transform_input_iterator_tIbNSD_35transform_pair_of_input_iterators_tIbNS6_6detail15normal_iteratorINS6_10device_ptrIKyEEEESL_NS6_8equal_toIyEEEENSG_9not_fun_tINSD_8identityEEEEENSD_19counting_iterator_tIlEES8_S8_S8_S8_S8_S8_S8_S8_EEEEPS9_S9_NSD_9__find_if7functorIS9_EEEE10hipError_tPvRmT1_T2_T3_mT4_P12ihipStream_tbEUlT_E1_NS1_11comp_targetILNS1_3genE4ELNS1_11target_archE910ELNS1_3gpuE8ELNS1_3repE0EEENS1_30default_config_static_selectorELNS0_4arch9wavefront6targetE0EEEvS14_
		.amdhsa_group_segment_fixed_size 0
		.amdhsa_private_segment_fixed_size 0
		.amdhsa_kernarg_size 88
		.amdhsa_user_sgpr_count 2
		.amdhsa_user_sgpr_dispatch_ptr 0
		.amdhsa_user_sgpr_queue_ptr 0
		.amdhsa_user_sgpr_kernarg_segment_ptr 1
		.amdhsa_user_sgpr_dispatch_id 0
		.amdhsa_user_sgpr_kernarg_preload_length 0
		.amdhsa_user_sgpr_kernarg_preload_offset 0
		.amdhsa_user_sgpr_private_segment_size 0
		.amdhsa_wavefront_size32 1
		.amdhsa_uses_dynamic_stack 0
		.amdhsa_enable_private_segment 0
		.amdhsa_system_sgpr_workgroup_id_x 1
		.amdhsa_system_sgpr_workgroup_id_y 0
		.amdhsa_system_sgpr_workgroup_id_z 0
		.amdhsa_system_sgpr_workgroup_info 0
		.amdhsa_system_vgpr_workitem_id 0
		.amdhsa_next_free_vgpr 1
		.amdhsa_next_free_sgpr 1
		.amdhsa_named_barrier_count 0
		.amdhsa_reserve_vcc 0
		.amdhsa_float_round_mode_32 0
		.amdhsa_float_round_mode_16_64 0
		.amdhsa_float_denorm_mode_32 3
		.amdhsa_float_denorm_mode_16_64 3
		.amdhsa_fp16_overflow 0
		.amdhsa_memory_ordered 1
		.amdhsa_forward_progress 1
		.amdhsa_inst_pref_size 0
		.amdhsa_round_robin_scheduling 0
		.amdhsa_exception_fp_ieee_invalid_op 0
		.amdhsa_exception_fp_denorm_src 0
		.amdhsa_exception_fp_ieee_div_zero 0
		.amdhsa_exception_fp_ieee_overflow 0
		.amdhsa_exception_fp_ieee_underflow 0
		.amdhsa_exception_fp_ieee_inexact 0
		.amdhsa_exception_int_div_zero 0
	.end_amdhsa_kernel
	.section	.text._ZN7rocprim17ROCPRIM_400000_NS6detail17trampoline_kernelINS0_14default_configENS1_22reduce_config_selectorIN6thrust23THRUST_200600_302600_NS5tupleIblNS6_9null_typeES8_S8_S8_S8_S8_S8_S8_EEEEZNS1_11reduce_implILb1ES3_NS6_12zip_iteratorINS7_INS6_11hip_rocprim26transform_input_iterator_tIbNSD_35transform_pair_of_input_iterators_tIbNS6_6detail15normal_iteratorINS6_10device_ptrIKyEEEESL_NS6_8equal_toIyEEEENSG_9not_fun_tINSD_8identityEEEEENSD_19counting_iterator_tIlEES8_S8_S8_S8_S8_S8_S8_S8_EEEEPS9_S9_NSD_9__find_if7functorIS9_EEEE10hipError_tPvRmT1_T2_T3_mT4_P12ihipStream_tbEUlT_E1_NS1_11comp_targetILNS1_3genE4ELNS1_11target_archE910ELNS1_3gpuE8ELNS1_3repE0EEENS1_30default_config_static_selectorELNS0_4arch9wavefront6targetE0EEEvS14_,"axG",@progbits,_ZN7rocprim17ROCPRIM_400000_NS6detail17trampoline_kernelINS0_14default_configENS1_22reduce_config_selectorIN6thrust23THRUST_200600_302600_NS5tupleIblNS6_9null_typeES8_S8_S8_S8_S8_S8_S8_EEEEZNS1_11reduce_implILb1ES3_NS6_12zip_iteratorINS7_INS6_11hip_rocprim26transform_input_iterator_tIbNSD_35transform_pair_of_input_iterators_tIbNS6_6detail15normal_iteratorINS6_10device_ptrIKyEEEESL_NS6_8equal_toIyEEEENSG_9not_fun_tINSD_8identityEEEEENSD_19counting_iterator_tIlEES8_S8_S8_S8_S8_S8_S8_S8_EEEEPS9_S9_NSD_9__find_if7functorIS9_EEEE10hipError_tPvRmT1_T2_T3_mT4_P12ihipStream_tbEUlT_E1_NS1_11comp_targetILNS1_3genE4ELNS1_11target_archE910ELNS1_3gpuE8ELNS1_3repE0EEENS1_30default_config_static_selectorELNS0_4arch9wavefront6targetE0EEEvS14_,comdat
.Lfunc_end125:
	.size	_ZN7rocprim17ROCPRIM_400000_NS6detail17trampoline_kernelINS0_14default_configENS1_22reduce_config_selectorIN6thrust23THRUST_200600_302600_NS5tupleIblNS6_9null_typeES8_S8_S8_S8_S8_S8_S8_EEEEZNS1_11reduce_implILb1ES3_NS6_12zip_iteratorINS7_INS6_11hip_rocprim26transform_input_iterator_tIbNSD_35transform_pair_of_input_iterators_tIbNS6_6detail15normal_iteratorINS6_10device_ptrIKyEEEESL_NS6_8equal_toIyEEEENSG_9not_fun_tINSD_8identityEEEEENSD_19counting_iterator_tIlEES8_S8_S8_S8_S8_S8_S8_S8_EEEEPS9_S9_NSD_9__find_if7functorIS9_EEEE10hipError_tPvRmT1_T2_T3_mT4_P12ihipStream_tbEUlT_E1_NS1_11comp_targetILNS1_3genE4ELNS1_11target_archE910ELNS1_3gpuE8ELNS1_3repE0EEENS1_30default_config_static_selectorELNS0_4arch9wavefront6targetE0EEEvS14_, .Lfunc_end125-_ZN7rocprim17ROCPRIM_400000_NS6detail17trampoline_kernelINS0_14default_configENS1_22reduce_config_selectorIN6thrust23THRUST_200600_302600_NS5tupleIblNS6_9null_typeES8_S8_S8_S8_S8_S8_S8_EEEEZNS1_11reduce_implILb1ES3_NS6_12zip_iteratorINS7_INS6_11hip_rocprim26transform_input_iterator_tIbNSD_35transform_pair_of_input_iterators_tIbNS6_6detail15normal_iteratorINS6_10device_ptrIKyEEEESL_NS6_8equal_toIyEEEENSG_9not_fun_tINSD_8identityEEEEENSD_19counting_iterator_tIlEES8_S8_S8_S8_S8_S8_S8_S8_EEEEPS9_S9_NSD_9__find_if7functorIS9_EEEE10hipError_tPvRmT1_T2_T3_mT4_P12ihipStream_tbEUlT_E1_NS1_11comp_targetILNS1_3genE4ELNS1_11target_archE910ELNS1_3gpuE8ELNS1_3repE0EEENS1_30default_config_static_selectorELNS0_4arch9wavefront6targetE0EEEvS14_
                                        ; -- End function
	.set _ZN7rocprim17ROCPRIM_400000_NS6detail17trampoline_kernelINS0_14default_configENS1_22reduce_config_selectorIN6thrust23THRUST_200600_302600_NS5tupleIblNS6_9null_typeES8_S8_S8_S8_S8_S8_S8_EEEEZNS1_11reduce_implILb1ES3_NS6_12zip_iteratorINS7_INS6_11hip_rocprim26transform_input_iterator_tIbNSD_35transform_pair_of_input_iterators_tIbNS6_6detail15normal_iteratorINS6_10device_ptrIKyEEEESL_NS6_8equal_toIyEEEENSG_9not_fun_tINSD_8identityEEEEENSD_19counting_iterator_tIlEES8_S8_S8_S8_S8_S8_S8_S8_EEEEPS9_S9_NSD_9__find_if7functorIS9_EEEE10hipError_tPvRmT1_T2_T3_mT4_P12ihipStream_tbEUlT_E1_NS1_11comp_targetILNS1_3genE4ELNS1_11target_archE910ELNS1_3gpuE8ELNS1_3repE0EEENS1_30default_config_static_selectorELNS0_4arch9wavefront6targetE0EEEvS14_.num_vgpr, 0
	.set _ZN7rocprim17ROCPRIM_400000_NS6detail17trampoline_kernelINS0_14default_configENS1_22reduce_config_selectorIN6thrust23THRUST_200600_302600_NS5tupleIblNS6_9null_typeES8_S8_S8_S8_S8_S8_S8_EEEEZNS1_11reduce_implILb1ES3_NS6_12zip_iteratorINS7_INS6_11hip_rocprim26transform_input_iterator_tIbNSD_35transform_pair_of_input_iterators_tIbNS6_6detail15normal_iteratorINS6_10device_ptrIKyEEEESL_NS6_8equal_toIyEEEENSG_9not_fun_tINSD_8identityEEEEENSD_19counting_iterator_tIlEES8_S8_S8_S8_S8_S8_S8_S8_EEEEPS9_S9_NSD_9__find_if7functorIS9_EEEE10hipError_tPvRmT1_T2_T3_mT4_P12ihipStream_tbEUlT_E1_NS1_11comp_targetILNS1_3genE4ELNS1_11target_archE910ELNS1_3gpuE8ELNS1_3repE0EEENS1_30default_config_static_selectorELNS0_4arch9wavefront6targetE0EEEvS14_.num_agpr, 0
	.set _ZN7rocprim17ROCPRIM_400000_NS6detail17trampoline_kernelINS0_14default_configENS1_22reduce_config_selectorIN6thrust23THRUST_200600_302600_NS5tupleIblNS6_9null_typeES8_S8_S8_S8_S8_S8_S8_EEEEZNS1_11reduce_implILb1ES3_NS6_12zip_iteratorINS7_INS6_11hip_rocprim26transform_input_iterator_tIbNSD_35transform_pair_of_input_iterators_tIbNS6_6detail15normal_iteratorINS6_10device_ptrIKyEEEESL_NS6_8equal_toIyEEEENSG_9not_fun_tINSD_8identityEEEEENSD_19counting_iterator_tIlEES8_S8_S8_S8_S8_S8_S8_S8_EEEEPS9_S9_NSD_9__find_if7functorIS9_EEEE10hipError_tPvRmT1_T2_T3_mT4_P12ihipStream_tbEUlT_E1_NS1_11comp_targetILNS1_3genE4ELNS1_11target_archE910ELNS1_3gpuE8ELNS1_3repE0EEENS1_30default_config_static_selectorELNS0_4arch9wavefront6targetE0EEEvS14_.numbered_sgpr, 0
	.set _ZN7rocprim17ROCPRIM_400000_NS6detail17trampoline_kernelINS0_14default_configENS1_22reduce_config_selectorIN6thrust23THRUST_200600_302600_NS5tupleIblNS6_9null_typeES8_S8_S8_S8_S8_S8_S8_EEEEZNS1_11reduce_implILb1ES3_NS6_12zip_iteratorINS7_INS6_11hip_rocprim26transform_input_iterator_tIbNSD_35transform_pair_of_input_iterators_tIbNS6_6detail15normal_iteratorINS6_10device_ptrIKyEEEESL_NS6_8equal_toIyEEEENSG_9not_fun_tINSD_8identityEEEEENSD_19counting_iterator_tIlEES8_S8_S8_S8_S8_S8_S8_S8_EEEEPS9_S9_NSD_9__find_if7functorIS9_EEEE10hipError_tPvRmT1_T2_T3_mT4_P12ihipStream_tbEUlT_E1_NS1_11comp_targetILNS1_3genE4ELNS1_11target_archE910ELNS1_3gpuE8ELNS1_3repE0EEENS1_30default_config_static_selectorELNS0_4arch9wavefront6targetE0EEEvS14_.num_named_barrier, 0
	.set _ZN7rocprim17ROCPRIM_400000_NS6detail17trampoline_kernelINS0_14default_configENS1_22reduce_config_selectorIN6thrust23THRUST_200600_302600_NS5tupleIblNS6_9null_typeES8_S8_S8_S8_S8_S8_S8_EEEEZNS1_11reduce_implILb1ES3_NS6_12zip_iteratorINS7_INS6_11hip_rocprim26transform_input_iterator_tIbNSD_35transform_pair_of_input_iterators_tIbNS6_6detail15normal_iteratorINS6_10device_ptrIKyEEEESL_NS6_8equal_toIyEEEENSG_9not_fun_tINSD_8identityEEEEENSD_19counting_iterator_tIlEES8_S8_S8_S8_S8_S8_S8_S8_EEEEPS9_S9_NSD_9__find_if7functorIS9_EEEE10hipError_tPvRmT1_T2_T3_mT4_P12ihipStream_tbEUlT_E1_NS1_11comp_targetILNS1_3genE4ELNS1_11target_archE910ELNS1_3gpuE8ELNS1_3repE0EEENS1_30default_config_static_selectorELNS0_4arch9wavefront6targetE0EEEvS14_.private_seg_size, 0
	.set _ZN7rocprim17ROCPRIM_400000_NS6detail17trampoline_kernelINS0_14default_configENS1_22reduce_config_selectorIN6thrust23THRUST_200600_302600_NS5tupleIblNS6_9null_typeES8_S8_S8_S8_S8_S8_S8_EEEEZNS1_11reduce_implILb1ES3_NS6_12zip_iteratorINS7_INS6_11hip_rocprim26transform_input_iterator_tIbNSD_35transform_pair_of_input_iterators_tIbNS6_6detail15normal_iteratorINS6_10device_ptrIKyEEEESL_NS6_8equal_toIyEEEENSG_9not_fun_tINSD_8identityEEEEENSD_19counting_iterator_tIlEES8_S8_S8_S8_S8_S8_S8_S8_EEEEPS9_S9_NSD_9__find_if7functorIS9_EEEE10hipError_tPvRmT1_T2_T3_mT4_P12ihipStream_tbEUlT_E1_NS1_11comp_targetILNS1_3genE4ELNS1_11target_archE910ELNS1_3gpuE8ELNS1_3repE0EEENS1_30default_config_static_selectorELNS0_4arch9wavefront6targetE0EEEvS14_.uses_vcc, 0
	.set _ZN7rocprim17ROCPRIM_400000_NS6detail17trampoline_kernelINS0_14default_configENS1_22reduce_config_selectorIN6thrust23THRUST_200600_302600_NS5tupleIblNS6_9null_typeES8_S8_S8_S8_S8_S8_S8_EEEEZNS1_11reduce_implILb1ES3_NS6_12zip_iteratorINS7_INS6_11hip_rocprim26transform_input_iterator_tIbNSD_35transform_pair_of_input_iterators_tIbNS6_6detail15normal_iteratorINS6_10device_ptrIKyEEEESL_NS6_8equal_toIyEEEENSG_9not_fun_tINSD_8identityEEEEENSD_19counting_iterator_tIlEES8_S8_S8_S8_S8_S8_S8_S8_EEEEPS9_S9_NSD_9__find_if7functorIS9_EEEE10hipError_tPvRmT1_T2_T3_mT4_P12ihipStream_tbEUlT_E1_NS1_11comp_targetILNS1_3genE4ELNS1_11target_archE910ELNS1_3gpuE8ELNS1_3repE0EEENS1_30default_config_static_selectorELNS0_4arch9wavefront6targetE0EEEvS14_.uses_flat_scratch, 0
	.set _ZN7rocprim17ROCPRIM_400000_NS6detail17trampoline_kernelINS0_14default_configENS1_22reduce_config_selectorIN6thrust23THRUST_200600_302600_NS5tupleIblNS6_9null_typeES8_S8_S8_S8_S8_S8_S8_EEEEZNS1_11reduce_implILb1ES3_NS6_12zip_iteratorINS7_INS6_11hip_rocprim26transform_input_iterator_tIbNSD_35transform_pair_of_input_iterators_tIbNS6_6detail15normal_iteratorINS6_10device_ptrIKyEEEESL_NS6_8equal_toIyEEEENSG_9not_fun_tINSD_8identityEEEEENSD_19counting_iterator_tIlEES8_S8_S8_S8_S8_S8_S8_S8_EEEEPS9_S9_NSD_9__find_if7functorIS9_EEEE10hipError_tPvRmT1_T2_T3_mT4_P12ihipStream_tbEUlT_E1_NS1_11comp_targetILNS1_3genE4ELNS1_11target_archE910ELNS1_3gpuE8ELNS1_3repE0EEENS1_30default_config_static_selectorELNS0_4arch9wavefront6targetE0EEEvS14_.has_dyn_sized_stack, 0
	.set _ZN7rocprim17ROCPRIM_400000_NS6detail17trampoline_kernelINS0_14default_configENS1_22reduce_config_selectorIN6thrust23THRUST_200600_302600_NS5tupleIblNS6_9null_typeES8_S8_S8_S8_S8_S8_S8_EEEEZNS1_11reduce_implILb1ES3_NS6_12zip_iteratorINS7_INS6_11hip_rocprim26transform_input_iterator_tIbNSD_35transform_pair_of_input_iterators_tIbNS6_6detail15normal_iteratorINS6_10device_ptrIKyEEEESL_NS6_8equal_toIyEEEENSG_9not_fun_tINSD_8identityEEEEENSD_19counting_iterator_tIlEES8_S8_S8_S8_S8_S8_S8_S8_EEEEPS9_S9_NSD_9__find_if7functorIS9_EEEE10hipError_tPvRmT1_T2_T3_mT4_P12ihipStream_tbEUlT_E1_NS1_11comp_targetILNS1_3genE4ELNS1_11target_archE910ELNS1_3gpuE8ELNS1_3repE0EEENS1_30default_config_static_selectorELNS0_4arch9wavefront6targetE0EEEvS14_.has_recursion, 0
	.set _ZN7rocprim17ROCPRIM_400000_NS6detail17trampoline_kernelINS0_14default_configENS1_22reduce_config_selectorIN6thrust23THRUST_200600_302600_NS5tupleIblNS6_9null_typeES8_S8_S8_S8_S8_S8_S8_EEEEZNS1_11reduce_implILb1ES3_NS6_12zip_iteratorINS7_INS6_11hip_rocprim26transform_input_iterator_tIbNSD_35transform_pair_of_input_iterators_tIbNS6_6detail15normal_iteratorINS6_10device_ptrIKyEEEESL_NS6_8equal_toIyEEEENSG_9not_fun_tINSD_8identityEEEEENSD_19counting_iterator_tIlEES8_S8_S8_S8_S8_S8_S8_S8_EEEEPS9_S9_NSD_9__find_if7functorIS9_EEEE10hipError_tPvRmT1_T2_T3_mT4_P12ihipStream_tbEUlT_E1_NS1_11comp_targetILNS1_3genE4ELNS1_11target_archE910ELNS1_3gpuE8ELNS1_3repE0EEENS1_30default_config_static_selectorELNS0_4arch9wavefront6targetE0EEEvS14_.has_indirect_call, 0
	.section	.AMDGPU.csdata,"",@progbits
; Kernel info:
; codeLenInByte = 0
; TotalNumSgprs: 0
; NumVgprs: 0
; ScratchSize: 0
; MemoryBound: 0
; FloatMode: 240
; IeeeMode: 1
; LDSByteSize: 0 bytes/workgroup (compile time only)
; SGPRBlocks: 0
; VGPRBlocks: 0
; NumSGPRsForWavesPerEU: 1
; NumVGPRsForWavesPerEU: 1
; NamedBarCnt: 0
; Occupancy: 16
; WaveLimiterHint : 0
; COMPUTE_PGM_RSRC2:SCRATCH_EN: 0
; COMPUTE_PGM_RSRC2:USER_SGPR: 2
; COMPUTE_PGM_RSRC2:TRAP_HANDLER: 0
; COMPUTE_PGM_RSRC2:TGID_X_EN: 1
; COMPUTE_PGM_RSRC2:TGID_Y_EN: 0
; COMPUTE_PGM_RSRC2:TGID_Z_EN: 0
; COMPUTE_PGM_RSRC2:TIDIG_COMP_CNT: 0
	.section	.text._ZN7rocprim17ROCPRIM_400000_NS6detail17trampoline_kernelINS0_14default_configENS1_22reduce_config_selectorIN6thrust23THRUST_200600_302600_NS5tupleIblNS6_9null_typeES8_S8_S8_S8_S8_S8_S8_EEEEZNS1_11reduce_implILb1ES3_NS6_12zip_iteratorINS7_INS6_11hip_rocprim26transform_input_iterator_tIbNSD_35transform_pair_of_input_iterators_tIbNS6_6detail15normal_iteratorINS6_10device_ptrIKyEEEESL_NS6_8equal_toIyEEEENSG_9not_fun_tINSD_8identityEEEEENSD_19counting_iterator_tIlEES8_S8_S8_S8_S8_S8_S8_S8_EEEEPS9_S9_NSD_9__find_if7functorIS9_EEEE10hipError_tPvRmT1_T2_T3_mT4_P12ihipStream_tbEUlT_E1_NS1_11comp_targetILNS1_3genE3ELNS1_11target_archE908ELNS1_3gpuE7ELNS1_3repE0EEENS1_30default_config_static_selectorELNS0_4arch9wavefront6targetE0EEEvS14_,"axG",@progbits,_ZN7rocprim17ROCPRIM_400000_NS6detail17trampoline_kernelINS0_14default_configENS1_22reduce_config_selectorIN6thrust23THRUST_200600_302600_NS5tupleIblNS6_9null_typeES8_S8_S8_S8_S8_S8_S8_EEEEZNS1_11reduce_implILb1ES3_NS6_12zip_iteratorINS7_INS6_11hip_rocprim26transform_input_iterator_tIbNSD_35transform_pair_of_input_iterators_tIbNS6_6detail15normal_iteratorINS6_10device_ptrIKyEEEESL_NS6_8equal_toIyEEEENSG_9not_fun_tINSD_8identityEEEEENSD_19counting_iterator_tIlEES8_S8_S8_S8_S8_S8_S8_S8_EEEEPS9_S9_NSD_9__find_if7functorIS9_EEEE10hipError_tPvRmT1_T2_T3_mT4_P12ihipStream_tbEUlT_E1_NS1_11comp_targetILNS1_3genE3ELNS1_11target_archE908ELNS1_3gpuE7ELNS1_3repE0EEENS1_30default_config_static_selectorELNS0_4arch9wavefront6targetE0EEEvS14_,comdat
	.protected	_ZN7rocprim17ROCPRIM_400000_NS6detail17trampoline_kernelINS0_14default_configENS1_22reduce_config_selectorIN6thrust23THRUST_200600_302600_NS5tupleIblNS6_9null_typeES8_S8_S8_S8_S8_S8_S8_EEEEZNS1_11reduce_implILb1ES3_NS6_12zip_iteratorINS7_INS6_11hip_rocprim26transform_input_iterator_tIbNSD_35transform_pair_of_input_iterators_tIbNS6_6detail15normal_iteratorINS6_10device_ptrIKyEEEESL_NS6_8equal_toIyEEEENSG_9not_fun_tINSD_8identityEEEEENSD_19counting_iterator_tIlEES8_S8_S8_S8_S8_S8_S8_S8_EEEEPS9_S9_NSD_9__find_if7functorIS9_EEEE10hipError_tPvRmT1_T2_T3_mT4_P12ihipStream_tbEUlT_E1_NS1_11comp_targetILNS1_3genE3ELNS1_11target_archE908ELNS1_3gpuE7ELNS1_3repE0EEENS1_30default_config_static_selectorELNS0_4arch9wavefront6targetE0EEEvS14_ ; -- Begin function _ZN7rocprim17ROCPRIM_400000_NS6detail17trampoline_kernelINS0_14default_configENS1_22reduce_config_selectorIN6thrust23THRUST_200600_302600_NS5tupleIblNS6_9null_typeES8_S8_S8_S8_S8_S8_S8_EEEEZNS1_11reduce_implILb1ES3_NS6_12zip_iteratorINS7_INS6_11hip_rocprim26transform_input_iterator_tIbNSD_35transform_pair_of_input_iterators_tIbNS6_6detail15normal_iteratorINS6_10device_ptrIKyEEEESL_NS6_8equal_toIyEEEENSG_9not_fun_tINSD_8identityEEEEENSD_19counting_iterator_tIlEES8_S8_S8_S8_S8_S8_S8_S8_EEEEPS9_S9_NSD_9__find_if7functorIS9_EEEE10hipError_tPvRmT1_T2_T3_mT4_P12ihipStream_tbEUlT_E1_NS1_11comp_targetILNS1_3genE3ELNS1_11target_archE908ELNS1_3gpuE7ELNS1_3repE0EEENS1_30default_config_static_selectorELNS0_4arch9wavefront6targetE0EEEvS14_
	.globl	_ZN7rocprim17ROCPRIM_400000_NS6detail17trampoline_kernelINS0_14default_configENS1_22reduce_config_selectorIN6thrust23THRUST_200600_302600_NS5tupleIblNS6_9null_typeES8_S8_S8_S8_S8_S8_S8_EEEEZNS1_11reduce_implILb1ES3_NS6_12zip_iteratorINS7_INS6_11hip_rocprim26transform_input_iterator_tIbNSD_35transform_pair_of_input_iterators_tIbNS6_6detail15normal_iteratorINS6_10device_ptrIKyEEEESL_NS6_8equal_toIyEEEENSG_9not_fun_tINSD_8identityEEEEENSD_19counting_iterator_tIlEES8_S8_S8_S8_S8_S8_S8_S8_EEEEPS9_S9_NSD_9__find_if7functorIS9_EEEE10hipError_tPvRmT1_T2_T3_mT4_P12ihipStream_tbEUlT_E1_NS1_11comp_targetILNS1_3genE3ELNS1_11target_archE908ELNS1_3gpuE7ELNS1_3repE0EEENS1_30default_config_static_selectorELNS0_4arch9wavefront6targetE0EEEvS14_
	.p2align	8
	.type	_ZN7rocprim17ROCPRIM_400000_NS6detail17trampoline_kernelINS0_14default_configENS1_22reduce_config_selectorIN6thrust23THRUST_200600_302600_NS5tupleIblNS6_9null_typeES8_S8_S8_S8_S8_S8_S8_EEEEZNS1_11reduce_implILb1ES3_NS6_12zip_iteratorINS7_INS6_11hip_rocprim26transform_input_iterator_tIbNSD_35transform_pair_of_input_iterators_tIbNS6_6detail15normal_iteratorINS6_10device_ptrIKyEEEESL_NS6_8equal_toIyEEEENSG_9not_fun_tINSD_8identityEEEEENSD_19counting_iterator_tIlEES8_S8_S8_S8_S8_S8_S8_S8_EEEEPS9_S9_NSD_9__find_if7functorIS9_EEEE10hipError_tPvRmT1_T2_T3_mT4_P12ihipStream_tbEUlT_E1_NS1_11comp_targetILNS1_3genE3ELNS1_11target_archE908ELNS1_3gpuE7ELNS1_3repE0EEENS1_30default_config_static_selectorELNS0_4arch9wavefront6targetE0EEEvS14_,@function
_ZN7rocprim17ROCPRIM_400000_NS6detail17trampoline_kernelINS0_14default_configENS1_22reduce_config_selectorIN6thrust23THRUST_200600_302600_NS5tupleIblNS6_9null_typeES8_S8_S8_S8_S8_S8_S8_EEEEZNS1_11reduce_implILb1ES3_NS6_12zip_iteratorINS7_INS6_11hip_rocprim26transform_input_iterator_tIbNSD_35transform_pair_of_input_iterators_tIbNS6_6detail15normal_iteratorINS6_10device_ptrIKyEEEESL_NS6_8equal_toIyEEEENSG_9not_fun_tINSD_8identityEEEEENSD_19counting_iterator_tIlEES8_S8_S8_S8_S8_S8_S8_S8_EEEEPS9_S9_NSD_9__find_if7functorIS9_EEEE10hipError_tPvRmT1_T2_T3_mT4_P12ihipStream_tbEUlT_E1_NS1_11comp_targetILNS1_3genE3ELNS1_11target_archE908ELNS1_3gpuE7ELNS1_3repE0EEENS1_30default_config_static_selectorELNS0_4arch9wavefront6targetE0EEEvS14_: ; @_ZN7rocprim17ROCPRIM_400000_NS6detail17trampoline_kernelINS0_14default_configENS1_22reduce_config_selectorIN6thrust23THRUST_200600_302600_NS5tupleIblNS6_9null_typeES8_S8_S8_S8_S8_S8_S8_EEEEZNS1_11reduce_implILb1ES3_NS6_12zip_iteratorINS7_INS6_11hip_rocprim26transform_input_iterator_tIbNSD_35transform_pair_of_input_iterators_tIbNS6_6detail15normal_iteratorINS6_10device_ptrIKyEEEESL_NS6_8equal_toIyEEEENSG_9not_fun_tINSD_8identityEEEEENSD_19counting_iterator_tIlEES8_S8_S8_S8_S8_S8_S8_S8_EEEEPS9_S9_NSD_9__find_if7functorIS9_EEEE10hipError_tPvRmT1_T2_T3_mT4_P12ihipStream_tbEUlT_E1_NS1_11comp_targetILNS1_3genE3ELNS1_11target_archE908ELNS1_3gpuE7ELNS1_3repE0EEENS1_30default_config_static_selectorELNS0_4arch9wavefront6targetE0EEEvS14_
; %bb.0:
	.section	.rodata,"a",@progbits
	.p2align	6, 0x0
	.amdhsa_kernel _ZN7rocprim17ROCPRIM_400000_NS6detail17trampoline_kernelINS0_14default_configENS1_22reduce_config_selectorIN6thrust23THRUST_200600_302600_NS5tupleIblNS6_9null_typeES8_S8_S8_S8_S8_S8_S8_EEEEZNS1_11reduce_implILb1ES3_NS6_12zip_iteratorINS7_INS6_11hip_rocprim26transform_input_iterator_tIbNSD_35transform_pair_of_input_iterators_tIbNS6_6detail15normal_iteratorINS6_10device_ptrIKyEEEESL_NS6_8equal_toIyEEEENSG_9not_fun_tINSD_8identityEEEEENSD_19counting_iterator_tIlEES8_S8_S8_S8_S8_S8_S8_S8_EEEEPS9_S9_NSD_9__find_if7functorIS9_EEEE10hipError_tPvRmT1_T2_T3_mT4_P12ihipStream_tbEUlT_E1_NS1_11comp_targetILNS1_3genE3ELNS1_11target_archE908ELNS1_3gpuE7ELNS1_3repE0EEENS1_30default_config_static_selectorELNS0_4arch9wavefront6targetE0EEEvS14_
		.amdhsa_group_segment_fixed_size 0
		.amdhsa_private_segment_fixed_size 0
		.amdhsa_kernarg_size 88
		.amdhsa_user_sgpr_count 2
		.amdhsa_user_sgpr_dispatch_ptr 0
		.amdhsa_user_sgpr_queue_ptr 0
		.amdhsa_user_sgpr_kernarg_segment_ptr 1
		.amdhsa_user_sgpr_dispatch_id 0
		.amdhsa_user_sgpr_kernarg_preload_length 0
		.amdhsa_user_sgpr_kernarg_preload_offset 0
		.amdhsa_user_sgpr_private_segment_size 0
		.amdhsa_wavefront_size32 1
		.amdhsa_uses_dynamic_stack 0
		.amdhsa_enable_private_segment 0
		.amdhsa_system_sgpr_workgroup_id_x 1
		.amdhsa_system_sgpr_workgroup_id_y 0
		.amdhsa_system_sgpr_workgroup_id_z 0
		.amdhsa_system_sgpr_workgroup_info 0
		.amdhsa_system_vgpr_workitem_id 0
		.amdhsa_next_free_vgpr 1
		.amdhsa_next_free_sgpr 1
		.amdhsa_named_barrier_count 0
		.amdhsa_reserve_vcc 0
		.amdhsa_float_round_mode_32 0
		.amdhsa_float_round_mode_16_64 0
		.amdhsa_float_denorm_mode_32 3
		.amdhsa_float_denorm_mode_16_64 3
		.amdhsa_fp16_overflow 0
		.amdhsa_memory_ordered 1
		.amdhsa_forward_progress 1
		.amdhsa_inst_pref_size 0
		.amdhsa_round_robin_scheduling 0
		.amdhsa_exception_fp_ieee_invalid_op 0
		.amdhsa_exception_fp_denorm_src 0
		.amdhsa_exception_fp_ieee_div_zero 0
		.amdhsa_exception_fp_ieee_overflow 0
		.amdhsa_exception_fp_ieee_underflow 0
		.amdhsa_exception_fp_ieee_inexact 0
		.amdhsa_exception_int_div_zero 0
	.end_amdhsa_kernel
	.section	.text._ZN7rocprim17ROCPRIM_400000_NS6detail17trampoline_kernelINS0_14default_configENS1_22reduce_config_selectorIN6thrust23THRUST_200600_302600_NS5tupleIblNS6_9null_typeES8_S8_S8_S8_S8_S8_S8_EEEEZNS1_11reduce_implILb1ES3_NS6_12zip_iteratorINS7_INS6_11hip_rocprim26transform_input_iterator_tIbNSD_35transform_pair_of_input_iterators_tIbNS6_6detail15normal_iteratorINS6_10device_ptrIKyEEEESL_NS6_8equal_toIyEEEENSG_9not_fun_tINSD_8identityEEEEENSD_19counting_iterator_tIlEES8_S8_S8_S8_S8_S8_S8_S8_EEEEPS9_S9_NSD_9__find_if7functorIS9_EEEE10hipError_tPvRmT1_T2_T3_mT4_P12ihipStream_tbEUlT_E1_NS1_11comp_targetILNS1_3genE3ELNS1_11target_archE908ELNS1_3gpuE7ELNS1_3repE0EEENS1_30default_config_static_selectorELNS0_4arch9wavefront6targetE0EEEvS14_,"axG",@progbits,_ZN7rocprim17ROCPRIM_400000_NS6detail17trampoline_kernelINS0_14default_configENS1_22reduce_config_selectorIN6thrust23THRUST_200600_302600_NS5tupleIblNS6_9null_typeES8_S8_S8_S8_S8_S8_S8_EEEEZNS1_11reduce_implILb1ES3_NS6_12zip_iteratorINS7_INS6_11hip_rocprim26transform_input_iterator_tIbNSD_35transform_pair_of_input_iterators_tIbNS6_6detail15normal_iteratorINS6_10device_ptrIKyEEEESL_NS6_8equal_toIyEEEENSG_9not_fun_tINSD_8identityEEEEENSD_19counting_iterator_tIlEES8_S8_S8_S8_S8_S8_S8_S8_EEEEPS9_S9_NSD_9__find_if7functorIS9_EEEE10hipError_tPvRmT1_T2_T3_mT4_P12ihipStream_tbEUlT_E1_NS1_11comp_targetILNS1_3genE3ELNS1_11target_archE908ELNS1_3gpuE7ELNS1_3repE0EEENS1_30default_config_static_selectorELNS0_4arch9wavefront6targetE0EEEvS14_,comdat
.Lfunc_end126:
	.size	_ZN7rocprim17ROCPRIM_400000_NS6detail17trampoline_kernelINS0_14default_configENS1_22reduce_config_selectorIN6thrust23THRUST_200600_302600_NS5tupleIblNS6_9null_typeES8_S8_S8_S8_S8_S8_S8_EEEEZNS1_11reduce_implILb1ES3_NS6_12zip_iteratorINS7_INS6_11hip_rocprim26transform_input_iterator_tIbNSD_35transform_pair_of_input_iterators_tIbNS6_6detail15normal_iteratorINS6_10device_ptrIKyEEEESL_NS6_8equal_toIyEEEENSG_9not_fun_tINSD_8identityEEEEENSD_19counting_iterator_tIlEES8_S8_S8_S8_S8_S8_S8_S8_EEEEPS9_S9_NSD_9__find_if7functorIS9_EEEE10hipError_tPvRmT1_T2_T3_mT4_P12ihipStream_tbEUlT_E1_NS1_11comp_targetILNS1_3genE3ELNS1_11target_archE908ELNS1_3gpuE7ELNS1_3repE0EEENS1_30default_config_static_selectorELNS0_4arch9wavefront6targetE0EEEvS14_, .Lfunc_end126-_ZN7rocprim17ROCPRIM_400000_NS6detail17trampoline_kernelINS0_14default_configENS1_22reduce_config_selectorIN6thrust23THRUST_200600_302600_NS5tupleIblNS6_9null_typeES8_S8_S8_S8_S8_S8_S8_EEEEZNS1_11reduce_implILb1ES3_NS6_12zip_iteratorINS7_INS6_11hip_rocprim26transform_input_iterator_tIbNSD_35transform_pair_of_input_iterators_tIbNS6_6detail15normal_iteratorINS6_10device_ptrIKyEEEESL_NS6_8equal_toIyEEEENSG_9not_fun_tINSD_8identityEEEEENSD_19counting_iterator_tIlEES8_S8_S8_S8_S8_S8_S8_S8_EEEEPS9_S9_NSD_9__find_if7functorIS9_EEEE10hipError_tPvRmT1_T2_T3_mT4_P12ihipStream_tbEUlT_E1_NS1_11comp_targetILNS1_3genE3ELNS1_11target_archE908ELNS1_3gpuE7ELNS1_3repE0EEENS1_30default_config_static_selectorELNS0_4arch9wavefront6targetE0EEEvS14_
                                        ; -- End function
	.set _ZN7rocprim17ROCPRIM_400000_NS6detail17trampoline_kernelINS0_14default_configENS1_22reduce_config_selectorIN6thrust23THRUST_200600_302600_NS5tupleIblNS6_9null_typeES8_S8_S8_S8_S8_S8_S8_EEEEZNS1_11reduce_implILb1ES3_NS6_12zip_iteratorINS7_INS6_11hip_rocprim26transform_input_iterator_tIbNSD_35transform_pair_of_input_iterators_tIbNS6_6detail15normal_iteratorINS6_10device_ptrIKyEEEESL_NS6_8equal_toIyEEEENSG_9not_fun_tINSD_8identityEEEEENSD_19counting_iterator_tIlEES8_S8_S8_S8_S8_S8_S8_S8_EEEEPS9_S9_NSD_9__find_if7functorIS9_EEEE10hipError_tPvRmT1_T2_T3_mT4_P12ihipStream_tbEUlT_E1_NS1_11comp_targetILNS1_3genE3ELNS1_11target_archE908ELNS1_3gpuE7ELNS1_3repE0EEENS1_30default_config_static_selectorELNS0_4arch9wavefront6targetE0EEEvS14_.num_vgpr, 0
	.set _ZN7rocprim17ROCPRIM_400000_NS6detail17trampoline_kernelINS0_14default_configENS1_22reduce_config_selectorIN6thrust23THRUST_200600_302600_NS5tupleIblNS6_9null_typeES8_S8_S8_S8_S8_S8_S8_EEEEZNS1_11reduce_implILb1ES3_NS6_12zip_iteratorINS7_INS6_11hip_rocprim26transform_input_iterator_tIbNSD_35transform_pair_of_input_iterators_tIbNS6_6detail15normal_iteratorINS6_10device_ptrIKyEEEESL_NS6_8equal_toIyEEEENSG_9not_fun_tINSD_8identityEEEEENSD_19counting_iterator_tIlEES8_S8_S8_S8_S8_S8_S8_S8_EEEEPS9_S9_NSD_9__find_if7functorIS9_EEEE10hipError_tPvRmT1_T2_T3_mT4_P12ihipStream_tbEUlT_E1_NS1_11comp_targetILNS1_3genE3ELNS1_11target_archE908ELNS1_3gpuE7ELNS1_3repE0EEENS1_30default_config_static_selectorELNS0_4arch9wavefront6targetE0EEEvS14_.num_agpr, 0
	.set _ZN7rocprim17ROCPRIM_400000_NS6detail17trampoline_kernelINS0_14default_configENS1_22reduce_config_selectorIN6thrust23THRUST_200600_302600_NS5tupleIblNS6_9null_typeES8_S8_S8_S8_S8_S8_S8_EEEEZNS1_11reduce_implILb1ES3_NS6_12zip_iteratorINS7_INS6_11hip_rocprim26transform_input_iterator_tIbNSD_35transform_pair_of_input_iterators_tIbNS6_6detail15normal_iteratorINS6_10device_ptrIKyEEEESL_NS6_8equal_toIyEEEENSG_9not_fun_tINSD_8identityEEEEENSD_19counting_iterator_tIlEES8_S8_S8_S8_S8_S8_S8_S8_EEEEPS9_S9_NSD_9__find_if7functorIS9_EEEE10hipError_tPvRmT1_T2_T3_mT4_P12ihipStream_tbEUlT_E1_NS1_11comp_targetILNS1_3genE3ELNS1_11target_archE908ELNS1_3gpuE7ELNS1_3repE0EEENS1_30default_config_static_selectorELNS0_4arch9wavefront6targetE0EEEvS14_.numbered_sgpr, 0
	.set _ZN7rocprim17ROCPRIM_400000_NS6detail17trampoline_kernelINS0_14default_configENS1_22reduce_config_selectorIN6thrust23THRUST_200600_302600_NS5tupleIblNS6_9null_typeES8_S8_S8_S8_S8_S8_S8_EEEEZNS1_11reduce_implILb1ES3_NS6_12zip_iteratorINS7_INS6_11hip_rocprim26transform_input_iterator_tIbNSD_35transform_pair_of_input_iterators_tIbNS6_6detail15normal_iteratorINS6_10device_ptrIKyEEEESL_NS6_8equal_toIyEEEENSG_9not_fun_tINSD_8identityEEEEENSD_19counting_iterator_tIlEES8_S8_S8_S8_S8_S8_S8_S8_EEEEPS9_S9_NSD_9__find_if7functorIS9_EEEE10hipError_tPvRmT1_T2_T3_mT4_P12ihipStream_tbEUlT_E1_NS1_11comp_targetILNS1_3genE3ELNS1_11target_archE908ELNS1_3gpuE7ELNS1_3repE0EEENS1_30default_config_static_selectorELNS0_4arch9wavefront6targetE0EEEvS14_.num_named_barrier, 0
	.set _ZN7rocprim17ROCPRIM_400000_NS6detail17trampoline_kernelINS0_14default_configENS1_22reduce_config_selectorIN6thrust23THRUST_200600_302600_NS5tupleIblNS6_9null_typeES8_S8_S8_S8_S8_S8_S8_EEEEZNS1_11reduce_implILb1ES3_NS6_12zip_iteratorINS7_INS6_11hip_rocprim26transform_input_iterator_tIbNSD_35transform_pair_of_input_iterators_tIbNS6_6detail15normal_iteratorINS6_10device_ptrIKyEEEESL_NS6_8equal_toIyEEEENSG_9not_fun_tINSD_8identityEEEEENSD_19counting_iterator_tIlEES8_S8_S8_S8_S8_S8_S8_S8_EEEEPS9_S9_NSD_9__find_if7functorIS9_EEEE10hipError_tPvRmT1_T2_T3_mT4_P12ihipStream_tbEUlT_E1_NS1_11comp_targetILNS1_3genE3ELNS1_11target_archE908ELNS1_3gpuE7ELNS1_3repE0EEENS1_30default_config_static_selectorELNS0_4arch9wavefront6targetE0EEEvS14_.private_seg_size, 0
	.set _ZN7rocprim17ROCPRIM_400000_NS6detail17trampoline_kernelINS0_14default_configENS1_22reduce_config_selectorIN6thrust23THRUST_200600_302600_NS5tupleIblNS6_9null_typeES8_S8_S8_S8_S8_S8_S8_EEEEZNS1_11reduce_implILb1ES3_NS6_12zip_iteratorINS7_INS6_11hip_rocprim26transform_input_iterator_tIbNSD_35transform_pair_of_input_iterators_tIbNS6_6detail15normal_iteratorINS6_10device_ptrIKyEEEESL_NS6_8equal_toIyEEEENSG_9not_fun_tINSD_8identityEEEEENSD_19counting_iterator_tIlEES8_S8_S8_S8_S8_S8_S8_S8_EEEEPS9_S9_NSD_9__find_if7functorIS9_EEEE10hipError_tPvRmT1_T2_T3_mT4_P12ihipStream_tbEUlT_E1_NS1_11comp_targetILNS1_3genE3ELNS1_11target_archE908ELNS1_3gpuE7ELNS1_3repE0EEENS1_30default_config_static_selectorELNS0_4arch9wavefront6targetE0EEEvS14_.uses_vcc, 0
	.set _ZN7rocprim17ROCPRIM_400000_NS6detail17trampoline_kernelINS0_14default_configENS1_22reduce_config_selectorIN6thrust23THRUST_200600_302600_NS5tupleIblNS6_9null_typeES8_S8_S8_S8_S8_S8_S8_EEEEZNS1_11reduce_implILb1ES3_NS6_12zip_iteratorINS7_INS6_11hip_rocprim26transform_input_iterator_tIbNSD_35transform_pair_of_input_iterators_tIbNS6_6detail15normal_iteratorINS6_10device_ptrIKyEEEESL_NS6_8equal_toIyEEEENSG_9not_fun_tINSD_8identityEEEEENSD_19counting_iterator_tIlEES8_S8_S8_S8_S8_S8_S8_S8_EEEEPS9_S9_NSD_9__find_if7functorIS9_EEEE10hipError_tPvRmT1_T2_T3_mT4_P12ihipStream_tbEUlT_E1_NS1_11comp_targetILNS1_3genE3ELNS1_11target_archE908ELNS1_3gpuE7ELNS1_3repE0EEENS1_30default_config_static_selectorELNS0_4arch9wavefront6targetE0EEEvS14_.uses_flat_scratch, 0
	.set _ZN7rocprim17ROCPRIM_400000_NS6detail17trampoline_kernelINS0_14default_configENS1_22reduce_config_selectorIN6thrust23THRUST_200600_302600_NS5tupleIblNS6_9null_typeES8_S8_S8_S8_S8_S8_S8_EEEEZNS1_11reduce_implILb1ES3_NS6_12zip_iteratorINS7_INS6_11hip_rocprim26transform_input_iterator_tIbNSD_35transform_pair_of_input_iterators_tIbNS6_6detail15normal_iteratorINS6_10device_ptrIKyEEEESL_NS6_8equal_toIyEEEENSG_9not_fun_tINSD_8identityEEEEENSD_19counting_iterator_tIlEES8_S8_S8_S8_S8_S8_S8_S8_EEEEPS9_S9_NSD_9__find_if7functorIS9_EEEE10hipError_tPvRmT1_T2_T3_mT4_P12ihipStream_tbEUlT_E1_NS1_11comp_targetILNS1_3genE3ELNS1_11target_archE908ELNS1_3gpuE7ELNS1_3repE0EEENS1_30default_config_static_selectorELNS0_4arch9wavefront6targetE0EEEvS14_.has_dyn_sized_stack, 0
	.set _ZN7rocprim17ROCPRIM_400000_NS6detail17trampoline_kernelINS0_14default_configENS1_22reduce_config_selectorIN6thrust23THRUST_200600_302600_NS5tupleIblNS6_9null_typeES8_S8_S8_S8_S8_S8_S8_EEEEZNS1_11reduce_implILb1ES3_NS6_12zip_iteratorINS7_INS6_11hip_rocprim26transform_input_iterator_tIbNSD_35transform_pair_of_input_iterators_tIbNS6_6detail15normal_iteratorINS6_10device_ptrIKyEEEESL_NS6_8equal_toIyEEEENSG_9not_fun_tINSD_8identityEEEEENSD_19counting_iterator_tIlEES8_S8_S8_S8_S8_S8_S8_S8_EEEEPS9_S9_NSD_9__find_if7functorIS9_EEEE10hipError_tPvRmT1_T2_T3_mT4_P12ihipStream_tbEUlT_E1_NS1_11comp_targetILNS1_3genE3ELNS1_11target_archE908ELNS1_3gpuE7ELNS1_3repE0EEENS1_30default_config_static_selectorELNS0_4arch9wavefront6targetE0EEEvS14_.has_recursion, 0
	.set _ZN7rocprim17ROCPRIM_400000_NS6detail17trampoline_kernelINS0_14default_configENS1_22reduce_config_selectorIN6thrust23THRUST_200600_302600_NS5tupleIblNS6_9null_typeES8_S8_S8_S8_S8_S8_S8_EEEEZNS1_11reduce_implILb1ES3_NS6_12zip_iteratorINS7_INS6_11hip_rocprim26transform_input_iterator_tIbNSD_35transform_pair_of_input_iterators_tIbNS6_6detail15normal_iteratorINS6_10device_ptrIKyEEEESL_NS6_8equal_toIyEEEENSG_9not_fun_tINSD_8identityEEEEENSD_19counting_iterator_tIlEES8_S8_S8_S8_S8_S8_S8_S8_EEEEPS9_S9_NSD_9__find_if7functorIS9_EEEE10hipError_tPvRmT1_T2_T3_mT4_P12ihipStream_tbEUlT_E1_NS1_11comp_targetILNS1_3genE3ELNS1_11target_archE908ELNS1_3gpuE7ELNS1_3repE0EEENS1_30default_config_static_selectorELNS0_4arch9wavefront6targetE0EEEvS14_.has_indirect_call, 0
	.section	.AMDGPU.csdata,"",@progbits
; Kernel info:
; codeLenInByte = 0
; TotalNumSgprs: 0
; NumVgprs: 0
; ScratchSize: 0
; MemoryBound: 0
; FloatMode: 240
; IeeeMode: 1
; LDSByteSize: 0 bytes/workgroup (compile time only)
; SGPRBlocks: 0
; VGPRBlocks: 0
; NumSGPRsForWavesPerEU: 1
; NumVGPRsForWavesPerEU: 1
; NamedBarCnt: 0
; Occupancy: 16
; WaveLimiterHint : 0
; COMPUTE_PGM_RSRC2:SCRATCH_EN: 0
; COMPUTE_PGM_RSRC2:USER_SGPR: 2
; COMPUTE_PGM_RSRC2:TRAP_HANDLER: 0
; COMPUTE_PGM_RSRC2:TGID_X_EN: 1
; COMPUTE_PGM_RSRC2:TGID_Y_EN: 0
; COMPUTE_PGM_RSRC2:TGID_Z_EN: 0
; COMPUTE_PGM_RSRC2:TIDIG_COMP_CNT: 0
	.section	.text._ZN7rocprim17ROCPRIM_400000_NS6detail17trampoline_kernelINS0_14default_configENS1_22reduce_config_selectorIN6thrust23THRUST_200600_302600_NS5tupleIblNS6_9null_typeES8_S8_S8_S8_S8_S8_S8_EEEEZNS1_11reduce_implILb1ES3_NS6_12zip_iteratorINS7_INS6_11hip_rocprim26transform_input_iterator_tIbNSD_35transform_pair_of_input_iterators_tIbNS6_6detail15normal_iteratorINS6_10device_ptrIKyEEEESL_NS6_8equal_toIyEEEENSG_9not_fun_tINSD_8identityEEEEENSD_19counting_iterator_tIlEES8_S8_S8_S8_S8_S8_S8_S8_EEEEPS9_S9_NSD_9__find_if7functorIS9_EEEE10hipError_tPvRmT1_T2_T3_mT4_P12ihipStream_tbEUlT_E1_NS1_11comp_targetILNS1_3genE2ELNS1_11target_archE906ELNS1_3gpuE6ELNS1_3repE0EEENS1_30default_config_static_selectorELNS0_4arch9wavefront6targetE0EEEvS14_,"axG",@progbits,_ZN7rocprim17ROCPRIM_400000_NS6detail17trampoline_kernelINS0_14default_configENS1_22reduce_config_selectorIN6thrust23THRUST_200600_302600_NS5tupleIblNS6_9null_typeES8_S8_S8_S8_S8_S8_S8_EEEEZNS1_11reduce_implILb1ES3_NS6_12zip_iteratorINS7_INS6_11hip_rocprim26transform_input_iterator_tIbNSD_35transform_pair_of_input_iterators_tIbNS6_6detail15normal_iteratorINS6_10device_ptrIKyEEEESL_NS6_8equal_toIyEEEENSG_9not_fun_tINSD_8identityEEEEENSD_19counting_iterator_tIlEES8_S8_S8_S8_S8_S8_S8_S8_EEEEPS9_S9_NSD_9__find_if7functorIS9_EEEE10hipError_tPvRmT1_T2_T3_mT4_P12ihipStream_tbEUlT_E1_NS1_11comp_targetILNS1_3genE2ELNS1_11target_archE906ELNS1_3gpuE6ELNS1_3repE0EEENS1_30default_config_static_selectorELNS0_4arch9wavefront6targetE0EEEvS14_,comdat
	.protected	_ZN7rocprim17ROCPRIM_400000_NS6detail17trampoline_kernelINS0_14default_configENS1_22reduce_config_selectorIN6thrust23THRUST_200600_302600_NS5tupleIblNS6_9null_typeES8_S8_S8_S8_S8_S8_S8_EEEEZNS1_11reduce_implILb1ES3_NS6_12zip_iteratorINS7_INS6_11hip_rocprim26transform_input_iterator_tIbNSD_35transform_pair_of_input_iterators_tIbNS6_6detail15normal_iteratorINS6_10device_ptrIKyEEEESL_NS6_8equal_toIyEEEENSG_9not_fun_tINSD_8identityEEEEENSD_19counting_iterator_tIlEES8_S8_S8_S8_S8_S8_S8_S8_EEEEPS9_S9_NSD_9__find_if7functorIS9_EEEE10hipError_tPvRmT1_T2_T3_mT4_P12ihipStream_tbEUlT_E1_NS1_11comp_targetILNS1_3genE2ELNS1_11target_archE906ELNS1_3gpuE6ELNS1_3repE0EEENS1_30default_config_static_selectorELNS0_4arch9wavefront6targetE0EEEvS14_ ; -- Begin function _ZN7rocprim17ROCPRIM_400000_NS6detail17trampoline_kernelINS0_14default_configENS1_22reduce_config_selectorIN6thrust23THRUST_200600_302600_NS5tupleIblNS6_9null_typeES8_S8_S8_S8_S8_S8_S8_EEEEZNS1_11reduce_implILb1ES3_NS6_12zip_iteratorINS7_INS6_11hip_rocprim26transform_input_iterator_tIbNSD_35transform_pair_of_input_iterators_tIbNS6_6detail15normal_iteratorINS6_10device_ptrIKyEEEESL_NS6_8equal_toIyEEEENSG_9not_fun_tINSD_8identityEEEEENSD_19counting_iterator_tIlEES8_S8_S8_S8_S8_S8_S8_S8_EEEEPS9_S9_NSD_9__find_if7functorIS9_EEEE10hipError_tPvRmT1_T2_T3_mT4_P12ihipStream_tbEUlT_E1_NS1_11comp_targetILNS1_3genE2ELNS1_11target_archE906ELNS1_3gpuE6ELNS1_3repE0EEENS1_30default_config_static_selectorELNS0_4arch9wavefront6targetE0EEEvS14_
	.globl	_ZN7rocprim17ROCPRIM_400000_NS6detail17trampoline_kernelINS0_14default_configENS1_22reduce_config_selectorIN6thrust23THRUST_200600_302600_NS5tupleIblNS6_9null_typeES8_S8_S8_S8_S8_S8_S8_EEEEZNS1_11reduce_implILb1ES3_NS6_12zip_iteratorINS7_INS6_11hip_rocprim26transform_input_iterator_tIbNSD_35transform_pair_of_input_iterators_tIbNS6_6detail15normal_iteratorINS6_10device_ptrIKyEEEESL_NS6_8equal_toIyEEEENSG_9not_fun_tINSD_8identityEEEEENSD_19counting_iterator_tIlEES8_S8_S8_S8_S8_S8_S8_S8_EEEEPS9_S9_NSD_9__find_if7functorIS9_EEEE10hipError_tPvRmT1_T2_T3_mT4_P12ihipStream_tbEUlT_E1_NS1_11comp_targetILNS1_3genE2ELNS1_11target_archE906ELNS1_3gpuE6ELNS1_3repE0EEENS1_30default_config_static_selectorELNS0_4arch9wavefront6targetE0EEEvS14_
	.p2align	8
	.type	_ZN7rocprim17ROCPRIM_400000_NS6detail17trampoline_kernelINS0_14default_configENS1_22reduce_config_selectorIN6thrust23THRUST_200600_302600_NS5tupleIblNS6_9null_typeES8_S8_S8_S8_S8_S8_S8_EEEEZNS1_11reduce_implILb1ES3_NS6_12zip_iteratorINS7_INS6_11hip_rocprim26transform_input_iterator_tIbNSD_35transform_pair_of_input_iterators_tIbNS6_6detail15normal_iteratorINS6_10device_ptrIKyEEEESL_NS6_8equal_toIyEEEENSG_9not_fun_tINSD_8identityEEEEENSD_19counting_iterator_tIlEES8_S8_S8_S8_S8_S8_S8_S8_EEEEPS9_S9_NSD_9__find_if7functorIS9_EEEE10hipError_tPvRmT1_T2_T3_mT4_P12ihipStream_tbEUlT_E1_NS1_11comp_targetILNS1_3genE2ELNS1_11target_archE906ELNS1_3gpuE6ELNS1_3repE0EEENS1_30default_config_static_selectorELNS0_4arch9wavefront6targetE0EEEvS14_,@function
_ZN7rocprim17ROCPRIM_400000_NS6detail17trampoline_kernelINS0_14default_configENS1_22reduce_config_selectorIN6thrust23THRUST_200600_302600_NS5tupleIblNS6_9null_typeES8_S8_S8_S8_S8_S8_S8_EEEEZNS1_11reduce_implILb1ES3_NS6_12zip_iteratorINS7_INS6_11hip_rocprim26transform_input_iterator_tIbNSD_35transform_pair_of_input_iterators_tIbNS6_6detail15normal_iteratorINS6_10device_ptrIKyEEEESL_NS6_8equal_toIyEEEENSG_9not_fun_tINSD_8identityEEEEENSD_19counting_iterator_tIlEES8_S8_S8_S8_S8_S8_S8_S8_EEEEPS9_S9_NSD_9__find_if7functorIS9_EEEE10hipError_tPvRmT1_T2_T3_mT4_P12ihipStream_tbEUlT_E1_NS1_11comp_targetILNS1_3genE2ELNS1_11target_archE906ELNS1_3gpuE6ELNS1_3repE0EEENS1_30default_config_static_selectorELNS0_4arch9wavefront6targetE0EEEvS14_: ; @_ZN7rocprim17ROCPRIM_400000_NS6detail17trampoline_kernelINS0_14default_configENS1_22reduce_config_selectorIN6thrust23THRUST_200600_302600_NS5tupleIblNS6_9null_typeES8_S8_S8_S8_S8_S8_S8_EEEEZNS1_11reduce_implILb1ES3_NS6_12zip_iteratorINS7_INS6_11hip_rocprim26transform_input_iterator_tIbNSD_35transform_pair_of_input_iterators_tIbNS6_6detail15normal_iteratorINS6_10device_ptrIKyEEEESL_NS6_8equal_toIyEEEENSG_9not_fun_tINSD_8identityEEEEENSD_19counting_iterator_tIlEES8_S8_S8_S8_S8_S8_S8_S8_EEEEPS9_S9_NSD_9__find_if7functorIS9_EEEE10hipError_tPvRmT1_T2_T3_mT4_P12ihipStream_tbEUlT_E1_NS1_11comp_targetILNS1_3genE2ELNS1_11target_archE906ELNS1_3gpuE6ELNS1_3repE0EEENS1_30default_config_static_selectorELNS0_4arch9wavefront6targetE0EEEvS14_
; %bb.0:
	.section	.rodata,"a",@progbits
	.p2align	6, 0x0
	.amdhsa_kernel _ZN7rocprim17ROCPRIM_400000_NS6detail17trampoline_kernelINS0_14default_configENS1_22reduce_config_selectorIN6thrust23THRUST_200600_302600_NS5tupleIblNS6_9null_typeES8_S8_S8_S8_S8_S8_S8_EEEEZNS1_11reduce_implILb1ES3_NS6_12zip_iteratorINS7_INS6_11hip_rocprim26transform_input_iterator_tIbNSD_35transform_pair_of_input_iterators_tIbNS6_6detail15normal_iteratorINS6_10device_ptrIKyEEEESL_NS6_8equal_toIyEEEENSG_9not_fun_tINSD_8identityEEEEENSD_19counting_iterator_tIlEES8_S8_S8_S8_S8_S8_S8_S8_EEEEPS9_S9_NSD_9__find_if7functorIS9_EEEE10hipError_tPvRmT1_T2_T3_mT4_P12ihipStream_tbEUlT_E1_NS1_11comp_targetILNS1_3genE2ELNS1_11target_archE906ELNS1_3gpuE6ELNS1_3repE0EEENS1_30default_config_static_selectorELNS0_4arch9wavefront6targetE0EEEvS14_
		.amdhsa_group_segment_fixed_size 0
		.amdhsa_private_segment_fixed_size 0
		.amdhsa_kernarg_size 88
		.amdhsa_user_sgpr_count 2
		.amdhsa_user_sgpr_dispatch_ptr 0
		.amdhsa_user_sgpr_queue_ptr 0
		.amdhsa_user_sgpr_kernarg_segment_ptr 1
		.amdhsa_user_sgpr_dispatch_id 0
		.amdhsa_user_sgpr_kernarg_preload_length 0
		.amdhsa_user_sgpr_kernarg_preload_offset 0
		.amdhsa_user_sgpr_private_segment_size 0
		.amdhsa_wavefront_size32 1
		.amdhsa_uses_dynamic_stack 0
		.amdhsa_enable_private_segment 0
		.amdhsa_system_sgpr_workgroup_id_x 1
		.amdhsa_system_sgpr_workgroup_id_y 0
		.amdhsa_system_sgpr_workgroup_id_z 0
		.amdhsa_system_sgpr_workgroup_info 0
		.amdhsa_system_vgpr_workitem_id 0
		.amdhsa_next_free_vgpr 1
		.amdhsa_next_free_sgpr 1
		.amdhsa_named_barrier_count 0
		.amdhsa_reserve_vcc 0
		.amdhsa_float_round_mode_32 0
		.amdhsa_float_round_mode_16_64 0
		.amdhsa_float_denorm_mode_32 3
		.amdhsa_float_denorm_mode_16_64 3
		.amdhsa_fp16_overflow 0
		.amdhsa_memory_ordered 1
		.amdhsa_forward_progress 1
		.amdhsa_inst_pref_size 0
		.amdhsa_round_robin_scheduling 0
		.amdhsa_exception_fp_ieee_invalid_op 0
		.amdhsa_exception_fp_denorm_src 0
		.amdhsa_exception_fp_ieee_div_zero 0
		.amdhsa_exception_fp_ieee_overflow 0
		.amdhsa_exception_fp_ieee_underflow 0
		.amdhsa_exception_fp_ieee_inexact 0
		.amdhsa_exception_int_div_zero 0
	.end_amdhsa_kernel
	.section	.text._ZN7rocprim17ROCPRIM_400000_NS6detail17trampoline_kernelINS0_14default_configENS1_22reduce_config_selectorIN6thrust23THRUST_200600_302600_NS5tupleIblNS6_9null_typeES8_S8_S8_S8_S8_S8_S8_EEEEZNS1_11reduce_implILb1ES3_NS6_12zip_iteratorINS7_INS6_11hip_rocprim26transform_input_iterator_tIbNSD_35transform_pair_of_input_iterators_tIbNS6_6detail15normal_iteratorINS6_10device_ptrIKyEEEESL_NS6_8equal_toIyEEEENSG_9not_fun_tINSD_8identityEEEEENSD_19counting_iterator_tIlEES8_S8_S8_S8_S8_S8_S8_S8_EEEEPS9_S9_NSD_9__find_if7functorIS9_EEEE10hipError_tPvRmT1_T2_T3_mT4_P12ihipStream_tbEUlT_E1_NS1_11comp_targetILNS1_3genE2ELNS1_11target_archE906ELNS1_3gpuE6ELNS1_3repE0EEENS1_30default_config_static_selectorELNS0_4arch9wavefront6targetE0EEEvS14_,"axG",@progbits,_ZN7rocprim17ROCPRIM_400000_NS6detail17trampoline_kernelINS0_14default_configENS1_22reduce_config_selectorIN6thrust23THRUST_200600_302600_NS5tupleIblNS6_9null_typeES8_S8_S8_S8_S8_S8_S8_EEEEZNS1_11reduce_implILb1ES3_NS6_12zip_iteratorINS7_INS6_11hip_rocprim26transform_input_iterator_tIbNSD_35transform_pair_of_input_iterators_tIbNS6_6detail15normal_iteratorINS6_10device_ptrIKyEEEESL_NS6_8equal_toIyEEEENSG_9not_fun_tINSD_8identityEEEEENSD_19counting_iterator_tIlEES8_S8_S8_S8_S8_S8_S8_S8_EEEEPS9_S9_NSD_9__find_if7functorIS9_EEEE10hipError_tPvRmT1_T2_T3_mT4_P12ihipStream_tbEUlT_E1_NS1_11comp_targetILNS1_3genE2ELNS1_11target_archE906ELNS1_3gpuE6ELNS1_3repE0EEENS1_30default_config_static_selectorELNS0_4arch9wavefront6targetE0EEEvS14_,comdat
.Lfunc_end127:
	.size	_ZN7rocprim17ROCPRIM_400000_NS6detail17trampoline_kernelINS0_14default_configENS1_22reduce_config_selectorIN6thrust23THRUST_200600_302600_NS5tupleIblNS6_9null_typeES8_S8_S8_S8_S8_S8_S8_EEEEZNS1_11reduce_implILb1ES3_NS6_12zip_iteratorINS7_INS6_11hip_rocprim26transform_input_iterator_tIbNSD_35transform_pair_of_input_iterators_tIbNS6_6detail15normal_iteratorINS6_10device_ptrIKyEEEESL_NS6_8equal_toIyEEEENSG_9not_fun_tINSD_8identityEEEEENSD_19counting_iterator_tIlEES8_S8_S8_S8_S8_S8_S8_S8_EEEEPS9_S9_NSD_9__find_if7functorIS9_EEEE10hipError_tPvRmT1_T2_T3_mT4_P12ihipStream_tbEUlT_E1_NS1_11comp_targetILNS1_3genE2ELNS1_11target_archE906ELNS1_3gpuE6ELNS1_3repE0EEENS1_30default_config_static_selectorELNS0_4arch9wavefront6targetE0EEEvS14_, .Lfunc_end127-_ZN7rocprim17ROCPRIM_400000_NS6detail17trampoline_kernelINS0_14default_configENS1_22reduce_config_selectorIN6thrust23THRUST_200600_302600_NS5tupleIblNS6_9null_typeES8_S8_S8_S8_S8_S8_S8_EEEEZNS1_11reduce_implILb1ES3_NS6_12zip_iteratorINS7_INS6_11hip_rocprim26transform_input_iterator_tIbNSD_35transform_pair_of_input_iterators_tIbNS6_6detail15normal_iteratorINS6_10device_ptrIKyEEEESL_NS6_8equal_toIyEEEENSG_9not_fun_tINSD_8identityEEEEENSD_19counting_iterator_tIlEES8_S8_S8_S8_S8_S8_S8_S8_EEEEPS9_S9_NSD_9__find_if7functorIS9_EEEE10hipError_tPvRmT1_T2_T3_mT4_P12ihipStream_tbEUlT_E1_NS1_11comp_targetILNS1_3genE2ELNS1_11target_archE906ELNS1_3gpuE6ELNS1_3repE0EEENS1_30default_config_static_selectorELNS0_4arch9wavefront6targetE0EEEvS14_
                                        ; -- End function
	.set _ZN7rocprim17ROCPRIM_400000_NS6detail17trampoline_kernelINS0_14default_configENS1_22reduce_config_selectorIN6thrust23THRUST_200600_302600_NS5tupleIblNS6_9null_typeES8_S8_S8_S8_S8_S8_S8_EEEEZNS1_11reduce_implILb1ES3_NS6_12zip_iteratorINS7_INS6_11hip_rocprim26transform_input_iterator_tIbNSD_35transform_pair_of_input_iterators_tIbNS6_6detail15normal_iteratorINS6_10device_ptrIKyEEEESL_NS6_8equal_toIyEEEENSG_9not_fun_tINSD_8identityEEEEENSD_19counting_iterator_tIlEES8_S8_S8_S8_S8_S8_S8_S8_EEEEPS9_S9_NSD_9__find_if7functorIS9_EEEE10hipError_tPvRmT1_T2_T3_mT4_P12ihipStream_tbEUlT_E1_NS1_11comp_targetILNS1_3genE2ELNS1_11target_archE906ELNS1_3gpuE6ELNS1_3repE0EEENS1_30default_config_static_selectorELNS0_4arch9wavefront6targetE0EEEvS14_.num_vgpr, 0
	.set _ZN7rocprim17ROCPRIM_400000_NS6detail17trampoline_kernelINS0_14default_configENS1_22reduce_config_selectorIN6thrust23THRUST_200600_302600_NS5tupleIblNS6_9null_typeES8_S8_S8_S8_S8_S8_S8_EEEEZNS1_11reduce_implILb1ES3_NS6_12zip_iteratorINS7_INS6_11hip_rocprim26transform_input_iterator_tIbNSD_35transform_pair_of_input_iterators_tIbNS6_6detail15normal_iteratorINS6_10device_ptrIKyEEEESL_NS6_8equal_toIyEEEENSG_9not_fun_tINSD_8identityEEEEENSD_19counting_iterator_tIlEES8_S8_S8_S8_S8_S8_S8_S8_EEEEPS9_S9_NSD_9__find_if7functorIS9_EEEE10hipError_tPvRmT1_T2_T3_mT4_P12ihipStream_tbEUlT_E1_NS1_11comp_targetILNS1_3genE2ELNS1_11target_archE906ELNS1_3gpuE6ELNS1_3repE0EEENS1_30default_config_static_selectorELNS0_4arch9wavefront6targetE0EEEvS14_.num_agpr, 0
	.set _ZN7rocprim17ROCPRIM_400000_NS6detail17trampoline_kernelINS0_14default_configENS1_22reduce_config_selectorIN6thrust23THRUST_200600_302600_NS5tupleIblNS6_9null_typeES8_S8_S8_S8_S8_S8_S8_EEEEZNS1_11reduce_implILb1ES3_NS6_12zip_iteratorINS7_INS6_11hip_rocprim26transform_input_iterator_tIbNSD_35transform_pair_of_input_iterators_tIbNS6_6detail15normal_iteratorINS6_10device_ptrIKyEEEESL_NS6_8equal_toIyEEEENSG_9not_fun_tINSD_8identityEEEEENSD_19counting_iterator_tIlEES8_S8_S8_S8_S8_S8_S8_S8_EEEEPS9_S9_NSD_9__find_if7functorIS9_EEEE10hipError_tPvRmT1_T2_T3_mT4_P12ihipStream_tbEUlT_E1_NS1_11comp_targetILNS1_3genE2ELNS1_11target_archE906ELNS1_3gpuE6ELNS1_3repE0EEENS1_30default_config_static_selectorELNS0_4arch9wavefront6targetE0EEEvS14_.numbered_sgpr, 0
	.set _ZN7rocprim17ROCPRIM_400000_NS6detail17trampoline_kernelINS0_14default_configENS1_22reduce_config_selectorIN6thrust23THRUST_200600_302600_NS5tupleIblNS6_9null_typeES8_S8_S8_S8_S8_S8_S8_EEEEZNS1_11reduce_implILb1ES3_NS6_12zip_iteratorINS7_INS6_11hip_rocprim26transform_input_iterator_tIbNSD_35transform_pair_of_input_iterators_tIbNS6_6detail15normal_iteratorINS6_10device_ptrIKyEEEESL_NS6_8equal_toIyEEEENSG_9not_fun_tINSD_8identityEEEEENSD_19counting_iterator_tIlEES8_S8_S8_S8_S8_S8_S8_S8_EEEEPS9_S9_NSD_9__find_if7functorIS9_EEEE10hipError_tPvRmT1_T2_T3_mT4_P12ihipStream_tbEUlT_E1_NS1_11comp_targetILNS1_3genE2ELNS1_11target_archE906ELNS1_3gpuE6ELNS1_3repE0EEENS1_30default_config_static_selectorELNS0_4arch9wavefront6targetE0EEEvS14_.num_named_barrier, 0
	.set _ZN7rocprim17ROCPRIM_400000_NS6detail17trampoline_kernelINS0_14default_configENS1_22reduce_config_selectorIN6thrust23THRUST_200600_302600_NS5tupleIblNS6_9null_typeES8_S8_S8_S8_S8_S8_S8_EEEEZNS1_11reduce_implILb1ES3_NS6_12zip_iteratorINS7_INS6_11hip_rocprim26transform_input_iterator_tIbNSD_35transform_pair_of_input_iterators_tIbNS6_6detail15normal_iteratorINS6_10device_ptrIKyEEEESL_NS6_8equal_toIyEEEENSG_9not_fun_tINSD_8identityEEEEENSD_19counting_iterator_tIlEES8_S8_S8_S8_S8_S8_S8_S8_EEEEPS9_S9_NSD_9__find_if7functorIS9_EEEE10hipError_tPvRmT1_T2_T3_mT4_P12ihipStream_tbEUlT_E1_NS1_11comp_targetILNS1_3genE2ELNS1_11target_archE906ELNS1_3gpuE6ELNS1_3repE0EEENS1_30default_config_static_selectorELNS0_4arch9wavefront6targetE0EEEvS14_.private_seg_size, 0
	.set _ZN7rocprim17ROCPRIM_400000_NS6detail17trampoline_kernelINS0_14default_configENS1_22reduce_config_selectorIN6thrust23THRUST_200600_302600_NS5tupleIblNS6_9null_typeES8_S8_S8_S8_S8_S8_S8_EEEEZNS1_11reduce_implILb1ES3_NS6_12zip_iteratorINS7_INS6_11hip_rocprim26transform_input_iterator_tIbNSD_35transform_pair_of_input_iterators_tIbNS6_6detail15normal_iteratorINS6_10device_ptrIKyEEEESL_NS6_8equal_toIyEEEENSG_9not_fun_tINSD_8identityEEEEENSD_19counting_iterator_tIlEES8_S8_S8_S8_S8_S8_S8_S8_EEEEPS9_S9_NSD_9__find_if7functorIS9_EEEE10hipError_tPvRmT1_T2_T3_mT4_P12ihipStream_tbEUlT_E1_NS1_11comp_targetILNS1_3genE2ELNS1_11target_archE906ELNS1_3gpuE6ELNS1_3repE0EEENS1_30default_config_static_selectorELNS0_4arch9wavefront6targetE0EEEvS14_.uses_vcc, 0
	.set _ZN7rocprim17ROCPRIM_400000_NS6detail17trampoline_kernelINS0_14default_configENS1_22reduce_config_selectorIN6thrust23THRUST_200600_302600_NS5tupleIblNS6_9null_typeES8_S8_S8_S8_S8_S8_S8_EEEEZNS1_11reduce_implILb1ES3_NS6_12zip_iteratorINS7_INS6_11hip_rocprim26transform_input_iterator_tIbNSD_35transform_pair_of_input_iterators_tIbNS6_6detail15normal_iteratorINS6_10device_ptrIKyEEEESL_NS6_8equal_toIyEEEENSG_9not_fun_tINSD_8identityEEEEENSD_19counting_iterator_tIlEES8_S8_S8_S8_S8_S8_S8_S8_EEEEPS9_S9_NSD_9__find_if7functorIS9_EEEE10hipError_tPvRmT1_T2_T3_mT4_P12ihipStream_tbEUlT_E1_NS1_11comp_targetILNS1_3genE2ELNS1_11target_archE906ELNS1_3gpuE6ELNS1_3repE0EEENS1_30default_config_static_selectorELNS0_4arch9wavefront6targetE0EEEvS14_.uses_flat_scratch, 0
	.set _ZN7rocprim17ROCPRIM_400000_NS6detail17trampoline_kernelINS0_14default_configENS1_22reduce_config_selectorIN6thrust23THRUST_200600_302600_NS5tupleIblNS6_9null_typeES8_S8_S8_S8_S8_S8_S8_EEEEZNS1_11reduce_implILb1ES3_NS6_12zip_iteratorINS7_INS6_11hip_rocprim26transform_input_iterator_tIbNSD_35transform_pair_of_input_iterators_tIbNS6_6detail15normal_iteratorINS6_10device_ptrIKyEEEESL_NS6_8equal_toIyEEEENSG_9not_fun_tINSD_8identityEEEEENSD_19counting_iterator_tIlEES8_S8_S8_S8_S8_S8_S8_S8_EEEEPS9_S9_NSD_9__find_if7functorIS9_EEEE10hipError_tPvRmT1_T2_T3_mT4_P12ihipStream_tbEUlT_E1_NS1_11comp_targetILNS1_3genE2ELNS1_11target_archE906ELNS1_3gpuE6ELNS1_3repE0EEENS1_30default_config_static_selectorELNS0_4arch9wavefront6targetE0EEEvS14_.has_dyn_sized_stack, 0
	.set _ZN7rocprim17ROCPRIM_400000_NS6detail17trampoline_kernelINS0_14default_configENS1_22reduce_config_selectorIN6thrust23THRUST_200600_302600_NS5tupleIblNS6_9null_typeES8_S8_S8_S8_S8_S8_S8_EEEEZNS1_11reduce_implILb1ES3_NS6_12zip_iteratorINS7_INS6_11hip_rocprim26transform_input_iterator_tIbNSD_35transform_pair_of_input_iterators_tIbNS6_6detail15normal_iteratorINS6_10device_ptrIKyEEEESL_NS6_8equal_toIyEEEENSG_9not_fun_tINSD_8identityEEEEENSD_19counting_iterator_tIlEES8_S8_S8_S8_S8_S8_S8_S8_EEEEPS9_S9_NSD_9__find_if7functorIS9_EEEE10hipError_tPvRmT1_T2_T3_mT4_P12ihipStream_tbEUlT_E1_NS1_11comp_targetILNS1_3genE2ELNS1_11target_archE906ELNS1_3gpuE6ELNS1_3repE0EEENS1_30default_config_static_selectorELNS0_4arch9wavefront6targetE0EEEvS14_.has_recursion, 0
	.set _ZN7rocprim17ROCPRIM_400000_NS6detail17trampoline_kernelINS0_14default_configENS1_22reduce_config_selectorIN6thrust23THRUST_200600_302600_NS5tupleIblNS6_9null_typeES8_S8_S8_S8_S8_S8_S8_EEEEZNS1_11reduce_implILb1ES3_NS6_12zip_iteratorINS7_INS6_11hip_rocprim26transform_input_iterator_tIbNSD_35transform_pair_of_input_iterators_tIbNS6_6detail15normal_iteratorINS6_10device_ptrIKyEEEESL_NS6_8equal_toIyEEEENSG_9not_fun_tINSD_8identityEEEEENSD_19counting_iterator_tIlEES8_S8_S8_S8_S8_S8_S8_S8_EEEEPS9_S9_NSD_9__find_if7functorIS9_EEEE10hipError_tPvRmT1_T2_T3_mT4_P12ihipStream_tbEUlT_E1_NS1_11comp_targetILNS1_3genE2ELNS1_11target_archE906ELNS1_3gpuE6ELNS1_3repE0EEENS1_30default_config_static_selectorELNS0_4arch9wavefront6targetE0EEEvS14_.has_indirect_call, 0
	.section	.AMDGPU.csdata,"",@progbits
; Kernel info:
; codeLenInByte = 0
; TotalNumSgprs: 0
; NumVgprs: 0
; ScratchSize: 0
; MemoryBound: 0
; FloatMode: 240
; IeeeMode: 1
; LDSByteSize: 0 bytes/workgroup (compile time only)
; SGPRBlocks: 0
; VGPRBlocks: 0
; NumSGPRsForWavesPerEU: 1
; NumVGPRsForWavesPerEU: 1
; NamedBarCnt: 0
; Occupancy: 16
; WaveLimiterHint : 0
; COMPUTE_PGM_RSRC2:SCRATCH_EN: 0
; COMPUTE_PGM_RSRC2:USER_SGPR: 2
; COMPUTE_PGM_RSRC2:TRAP_HANDLER: 0
; COMPUTE_PGM_RSRC2:TGID_X_EN: 1
; COMPUTE_PGM_RSRC2:TGID_Y_EN: 0
; COMPUTE_PGM_RSRC2:TGID_Z_EN: 0
; COMPUTE_PGM_RSRC2:TIDIG_COMP_CNT: 0
	.section	.text._ZN7rocprim17ROCPRIM_400000_NS6detail17trampoline_kernelINS0_14default_configENS1_22reduce_config_selectorIN6thrust23THRUST_200600_302600_NS5tupleIblNS6_9null_typeES8_S8_S8_S8_S8_S8_S8_EEEEZNS1_11reduce_implILb1ES3_NS6_12zip_iteratorINS7_INS6_11hip_rocprim26transform_input_iterator_tIbNSD_35transform_pair_of_input_iterators_tIbNS6_6detail15normal_iteratorINS6_10device_ptrIKyEEEESL_NS6_8equal_toIyEEEENSG_9not_fun_tINSD_8identityEEEEENSD_19counting_iterator_tIlEES8_S8_S8_S8_S8_S8_S8_S8_EEEEPS9_S9_NSD_9__find_if7functorIS9_EEEE10hipError_tPvRmT1_T2_T3_mT4_P12ihipStream_tbEUlT_E1_NS1_11comp_targetILNS1_3genE10ELNS1_11target_archE1201ELNS1_3gpuE5ELNS1_3repE0EEENS1_30default_config_static_selectorELNS0_4arch9wavefront6targetE0EEEvS14_,"axG",@progbits,_ZN7rocprim17ROCPRIM_400000_NS6detail17trampoline_kernelINS0_14default_configENS1_22reduce_config_selectorIN6thrust23THRUST_200600_302600_NS5tupleIblNS6_9null_typeES8_S8_S8_S8_S8_S8_S8_EEEEZNS1_11reduce_implILb1ES3_NS6_12zip_iteratorINS7_INS6_11hip_rocprim26transform_input_iterator_tIbNSD_35transform_pair_of_input_iterators_tIbNS6_6detail15normal_iteratorINS6_10device_ptrIKyEEEESL_NS6_8equal_toIyEEEENSG_9not_fun_tINSD_8identityEEEEENSD_19counting_iterator_tIlEES8_S8_S8_S8_S8_S8_S8_S8_EEEEPS9_S9_NSD_9__find_if7functorIS9_EEEE10hipError_tPvRmT1_T2_T3_mT4_P12ihipStream_tbEUlT_E1_NS1_11comp_targetILNS1_3genE10ELNS1_11target_archE1201ELNS1_3gpuE5ELNS1_3repE0EEENS1_30default_config_static_selectorELNS0_4arch9wavefront6targetE0EEEvS14_,comdat
	.protected	_ZN7rocprim17ROCPRIM_400000_NS6detail17trampoline_kernelINS0_14default_configENS1_22reduce_config_selectorIN6thrust23THRUST_200600_302600_NS5tupleIblNS6_9null_typeES8_S8_S8_S8_S8_S8_S8_EEEEZNS1_11reduce_implILb1ES3_NS6_12zip_iteratorINS7_INS6_11hip_rocprim26transform_input_iterator_tIbNSD_35transform_pair_of_input_iterators_tIbNS6_6detail15normal_iteratorINS6_10device_ptrIKyEEEESL_NS6_8equal_toIyEEEENSG_9not_fun_tINSD_8identityEEEEENSD_19counting_iterator_tIlEES8_S8_S8_S8_S8_S8_S8_S8_EEEEPS9_S9_NSD_9__find_if7functorIS9_EEEE10hipError_tPvRmT1_T2_T3_mT4_P12ihipStream_tbEUlT_E1_NS1_11comp_targetILNS1_3genE10ELNS1_11target_archE1201ELNS1_3gpuE5ELNS1_3repE0EEENS1_30default_config_static_selectorELNS0_4arch9wavefront6targetE0EEEvS14_ ; -- Begin function _ZN7rocprim17ROCPRIM_400000_NS6detail17trampoline_kernelINS0_14default_configENS1_22reduce_config_selectorIN6thrust23THRUST_200600_302600_NS5tupleIblNS6_9null_typeES8_S8_S8_S8_S8_S8_S8_EEEEZNS1_11reduce_implILb1ES3_NS6_12zip_iteratorINS7_INS6_11hip_rocprim26transform_input_iterator_tIbNSD_35transform_pair_of_input_iterators_tIbNS6_6detail15normal_iteratorINS6_10device_ptrIKyEEEESL_NS6_8equal_toIyEEEENSG_9not_fun_tINSD_8identityEEEEENSD_19counting_iterator_tIlEES8_S8_S8_S8_S8_S8_S8_S8_EEEEPS9_S9_NSD_9__find_if7functorIS9_EEEE10hipError_tPvRmT1_T2_T3_mT4_P12ihipStream_tbEUlT_E1_NS1_11comp_targetILNS1_3genE10ELNS1_11target_archE1201ELNS1_3gpuE5ELNS1_3repE0EEENS1_30default_config_static_selectorELNS0_4arch9wavefront6targetE0EEEvS14_
	.globl	_ZN7rocprim17ROCPRIM_400000_NS6detail17trampoline_kernelINS0_14default_configENS1_22reduce_config_selectorIN6thrust23THRUST_200600_302600_NS5tupleIblNS6_9null_typeES8_S8_S8_S8_S8_S8_S8_EEEEZNS1_11reduce_implILb1ES3_NS6_12zip_iteratorINS7_INS6_11hip_rocprim26transform_input_iterator_tIbNSD_35transform_pair_of_input_iterators_tIbNS6_6detail15normal_iteratorINS6_10device_ptrIKyEEEESL_NS6_8equal_toIyEEEENSG_9not_fun_tINSD_8identityEEEEENSD_19counting_iterator_tIlEES8_S8_S8_S8_S8_S8_S8_S8_EEEEPS9_S9_NSD_9__find_if7functorIS9_EEEE10hipError_tPvRmT1_T2_T3_mT4_P12ihipStream_tbEUlT_E1_NS1_11comp_targetILNS1_3genE10ELNS1_11target_archE1201ELNS1_3gpuE5ELNS1_3repE0EEENS1_30default_config_static_selectorELNS0_4arch9wavefront6targetE0EEEvS14_
	.p2align	8
	.type	_ZN7rocprim17ROCPRIM_400000_NS6detail17trampoline_kernelINS0_14default_configENS1_22reduce_config_selectorIN6thrust23THRUST_200600_302600_NS5tupleIblNS6_9null_typeES8_S8_S8_S8_S8_S8_S8_EEEEZNS1_11reduce_implILb1ES3_NS6_12zip_iteratorINS7_INS6_11hip_rocprim26transform_input_iterator_tIbNSD_35transform_pair_of_input_iterators_tIbNS6_6detail15normal_iteratorINS6_10device_ptrIKyEEEESL_NS6_8equal_toIyEEEENSG_9not_fun_tINSD_8identityEEEEENSD_19counting_iterator_tIlEES8_S8_S8_S8_S8_S8_S8_S8_EEEEPS9_S9_NSD_9__find_if7functorIS9_EEEE10hipError_tPvRmT1_T2_T3_mT4_P12ihipStream_tbEUlT_E1_NS1_11comp_targetILNS1_3genE10ELNS1_11target_archE1201ELNS1_3gpuE5ELNS1_3repE0EEENS1_30default_config_static_selectorELNS0_4arch9wavefront6targetE0EEEvS14_,@function
_ZN7rocprim17ROCPRIM_400000_NS6detail17trampoline_kernelINS0_14default_configENS1_22reduce_config_selectorIN6thrust23THRUST_200600_302600_NS5tupleIblNS6_9null_typeES8_S8_S8_S8_S8_S8_S8_EEEEZNS1_11reduce_implILb1ES3_NS6_12zip_iteratorINS7_INS6_11hip_rocprim26transform_input_iterator_tIbNSD_35transform_pair_of_input_iterators_tIbNS6_6detail15normal_iteratorINS6_10device_ptrIKyEEEESL_NS6_8equal_toIyEEEENSG_9not_fun_tINSD_8identityEEEEENSD_19counting_iterator_tIlEES8_S8_S8_S8_S8_S8_S8_S8_EEEEPS9_S9_NSD_9__find_if7functorIS9_EEEE10hipError_tPvRmT1_T2_T3_mT4_P12ihipStream_tbEUlT_E1_NS1_11comp_targetILNS1_3genE10ELNS1_11target_archE1201ELNS1_3gpuE5ELNS1_3repE0EEENS1_30default_config_static_selectorELNS0_4arch9wavefront6targetE0EEEvS14_: ; @_ZN7rocprim17ROCPRIM_400000_NS6detail17trampoline_kernelINS0_14default_configENS1_22reduce_config_selectorIN6thrust23THRUST_200600_302600_NS5tupleIblNS6_9null_typeES8_S8_S8_S8_S8_S8_S8_EEEEZNS1_11reduce_implILb1ES3_NS6_12zip_iteratorINS7_INS6_11hip_rocprim26transform_input_iterator_tIbNSD_35transform_pair_of_input_iterators_tIbNS6_6detail15normal_iteratorINS6_10device_ptrIKyEEEESL_NS6_8equal_toIyEEEENSG_9not_fun_tINSD_8identityEEEEENSD_19counting_iterator_tIlEES8_S8_S8_S8_S8_S8_S8_S8_EEEEPS9_S9_NSD_9__find_if7functorIS9_EEEE10hipError_tPvRmT1_T2_T3_mT4_P12ihipStream_tbEUlT_E1_NS1_11comp_targetILNS1_3genE10ELNS1_11target_archE1201ELNS1_3gpuE5ELNS1_3repE0EEENS1_30default_config_static_selectorELNS0_4arch9wavefront6targetE0EEEvS14_
; %bb.0:
	.section	.rodata,"a",@progbits
	.p2align	6, 0x0
	.amdhsa_kernel _ZN7rocprim17ROCPRIM_400000_NS6detail17trampoline_kernelINS0_14default_configENS1_22reduce_config_selectorIN6thrust23THRUST_200600_302600_NS5tupleIblNS6_9null_typeES8_S8_S8_S8_S8_S8_S8_EEEEZNS1_11reduce_implILb1ES3_NS6_12zip_iteratorINS7_INS6_11hip_rocprim26transform_input_iterator_tIbNSD_35transform_pair_of_input_iterators_tIbNS6_6detail15normal_iteratorINS6_10device_ptrIKyEEEESL_NS6_8equal_toIyEEEENSG_9not_fun_tINSD_8identityEEEEENSD_19counting_iterator_tIlEES8_S8_S8_S8_S8_S8_S8_S8_EEEEPS9_S9_NSD_9__find_if7functorIS9_EEEE10hipError_tPvRmT1_T2_T3_mT4_P12ihipStream_tbEUlT_E1_NS1_11comp_targetILNS1_3genE10ELNS1_11target_archE1201ELNS1_3gpuE5ELNS1_3repE0EEENS1_30default_config_static_selectorELNS0_4arch9wavefront6targetE0EEEvS14_
		.amdhsa_group_segment_fixed_size 0
		.amdhsa_private_segment_fixed_size 0
		.amdhsa_kernarg_size 88
		.amdhsa_user_sgpr_count 2
		.amdhsa_user_sgpr_dispatch_ptr 0
		.amdhsa_user_sgpr_queue_ptr 0
		.amdhsa_user_sgpr_kernarg_segment_ptr 1
		.amdhsa_user_sgpr_dispatch_id 0
		.amdhsa_user_sgpr_kernarg_preload_length 0
		.amdhsa_user_sgpr_kernarg_preload_offset 0
		.amdhsa_user_sgpr_private_segment_size 0
		.amdhsa_wavefront_size32 1
		.amdhsa_uses_dynamic_stack 0
		.amdhsa_enable_private_segment 0
		.amdhsa_system_sgpr_workgroup_id_x 1
		.amdhsa_system_sgpr_workgroup_id_y 0
		.amdhsa_system_sgpr_workgroup_id_z 0
		.amdhsa_system_sgpr_workgroup_info 0
		.amdhsa_system_vgpr_workitem_id 0
		.amdhsa_next_free_vgpr 1
		.amdhsa_next_free_sgpr 1
		.amdhsa_named_barrier_count 0
		.amdhsa_reserve_vcc 0
		.amdhsa_float_round_mode_32 0
		.amdhsa_float_round_mode_16_64 0
		.amdhsa_float_denorm_mode_32 3
		.amdhsa_float_denorm_mode_16_64 3
		.amdhsa_fp16_overflow 0
		.amdhsa_memory_ordered 1
		.amdhsa_forward_progress 1
		.amdhsa_inst_pref_size 0
		.amdhsa_round_robin_scheduling 0
		.amdhsa_exception_fp_ieee_invalid_op 0
		.amdhsa_exception_fp_denorm_src 0
		.amdhsa_exception_fp_ieee_div_zero 0
		.amdhsa_exception_fp_ieee_overflow 0
		.amdhsa_exception_fp_ieee_underflow 0
		.amdhsa_exception_fp_ieee_inexact 0
		.amdhsa_exception_int_div_zero 0
	.end_amdhsa_kernel
	.section	.text._ZN7rocprim17ROCPRIM_400000_NS6detail17trampoline_kernelINS0_14default_configENS1_22reduce_config_selectorIN6thrust23THRUST_200600_302600_NS5tupleIblNS6_9null_typeES8_S8_S8_S8_S8_S8_S8_EEEEZNS1_11reduce_implILb1ES3_NS6_12zip_iteratorINS7_INS6_11hip_rocprim26transform_input_iterator_tIbNSD_35transform_pair_of_input_iterators_tIbNS6_6detail15normal_iteratorINS6_10device_ptrIKyEEEESL_NS6_8equal_toIyEEEENSG_9not_fun_tINSD_8identityEEEEENSD_19counting_iterator_tIlEES8_S8_S8_S8_S8_S8_S8_S8_EEEEPS9_S9_NSD_9__find_if7functorIS9_EEEE10hipError_tPvRmT1_T2_T3_mT4_P12ihipStream_tbEUlT_E1_NS1_11comp_targetILNS1_3genE10ELNS1_11target_archE1201ELNS1_3gpuE5ELNS1_3repE0EEENS1_30default_config_static_selectorELNS0_4arch9wavefront6targetE0EEEvS14_,"axG",@progbits,_ZN7rocprim17ROCPRIM_400000_NS6detail17trampoline_kernelINS0_14default_configENS1_22reduce_config_selectorIN6thrust23THRUST_200600_302600_NS5tupleIblNS6_9null_typeES8_S8_S8_S8_S8_S8_S8_EEEEZNS1_11reduce_implILb1ES3_NS6_12zip_iteratorINS7_INS6_11hip_rocprim26transform_input_iterator_tIbNSD_35transform_pair_of_input_iterators_tIbNS6_6detail15normal_iteratorINS6_10device_ptrIKyEEEESL_NS6_8equal_toIyEEEENSG_9not_fun_tINSD_8identityEEEEENSD_19counting_iterator_tIlEES8_S8_S8_S8_S8_S8_S8_S8_EEEEPS9_S9_NSD_9__find_if7functorIS9_EEEE10hipError_tPvRmT1_T2_T3_mT4_P12ihipStream_tbEUlT_E1_NS1_11comp_targetILNS1_3genE10ELNS1_11target_archE1201ELNS1_3gpuE5ELNS1_3repE0EEENS1_30default_config_static_selectorELNS0_4arch9wavefront6targetE0EEEvS14_,comdat
.Lfunc_end128:
	.size	_ZN7rocprim17ROCPRIM_400000_NS6detail17trampoline_kernelINS0_14default_configENS1_22reduce_config_selectorIN6thrust23THRUST_200600_302600_NS5tupleIblNS6_9null_typeES8_S8_S8_S8_S8_S8_S8_EEEEZNS1_11reduce_implILb1ES3_NS6_12zip_iteratorINS7_INS6_11hip_rocprim26transform_input_iterator_tIbNSD_35transform_pair_of_input_iterators_tIbNS6_6detail15normal_iteratorINS6_10device_ptrIKyEEEESL_NS6_8equal_toIyEEEENSG_9not_fun_tINSD_8identityEEEEENSD_19counting_iterator_tIlEES8_S8_S8_S8_S8_S8_S8_S8_EEEEPS9_S9_NSD_9__find_if7functorIS9_EEEE10hipError_tPvRmT1_T2_T3_mT4_P12ihipStream_tbEUlT_E1_NS1_11comp_targetILNS1_3genE10ELNS1_11target_archE1201ELNS1_3gpuE5ELNS1_3repE0EEENS1_30default_config_static_selectorELNS0_4arch9wavefront6targetE0EEEvS14_, .Lfunc_end128-_ZN7rocprim17ROCPRIM_400000_NS6detail17trampoline_kernelINS0_14default_configENS1_22reduce_config_selectorIN6thrust23THRUST_200600_302600_NS5tupleIblNS6_9null_typeES8_S8_S8_S8_S8_S8_S8_EEEEZNS1_11reduce_implILb1ES3_NS6_12zip_iteratorINS7_INS6_11hip_rocprim26transform_input_iterator_tIbNSD_35transform_pair_of_input_iterators_tIbNS6_6detail15normal_iteratorINS6_10device_ptrIKyEEEESL_NS6_8equal_toIyEEEENSG_9not_fun_tINSD_8identityEEEEENSD_19counting_iterator_tIlEES8_S8_S8_S8_S8_S8_S8_S8_EEEEPS9_S9_NSD_9__find_if7functorIS9_EEEE10hipError_tPvRmT1_T2_T3_mT4_P12ihipStream_tbEUlT_E1_NS1_11comp_targetILNS1_3genE10ELNS1_11target_archE1201ELNS1_3gpuE5ELNS1_3repE0EEENS1_30default_config_static_selectorELNS0_4arch9wavefront6targetE0EEEvS14_
                                        ; -- End function
	.set _ZN7rocprim17ROCPRIM_400000_NS6detail17trampoline_kernelINS0_14default_configENS1_22reduce_config_selectorIN6thrust23THRUST_200600_302600_NS5tupleIblNS6_9null_typeES8_S8_S8_S8_S8_S8_S8_EEEEZNS1_11reduce_implILb1ES3_NS6_12zip_iteratorINS7_INS6_11hip_rocprim26transform_input_iterator_tIbNSD_35transform_pair_of_input_iterators_tIbNS6_6detail15normal_iteratorINS6_10device_ptrIKyEEEESL_NS6_8equal_toIyEEEENSG_9not_fun_tINSD_8identityEEEEENSD_19counting_iterator_tIlEES8_S8_S8_S8_S8_S8_S8_S8_EEEEPS9_S9_NSD_9__find_if7functorIS9_EEEE10hipError_tPvRmT1_T2_T3_mT4_P12ihipStream_tbEUlT_E1_NS1_11comp_targetILNS1_3genE10ELNS1_11target_archE1201ELNS1_3gpuE5ELNS1_3repE0EEENS1_30default_config_static_selectorELNS0_4arch9wavefront6targetE0EEEvS14_.num_vgpr, 0
	.set _ZN7rocprim17ROCPRIM_400000_NS6detail17trampoline_kernelINS0_14default_configENS1_22reduce_config_selectorIN6thrust23THRUST_200600_302600_NS5tupleIblNS6_9null_typeES8_S8_S8_S8_S8_S8_S8_EEEEZNS1_11reduce_implILb1ES3_NS6_12zip_iteratorINS7_INS6_11hip_rocprim26transform_input_iterator_tIbNSD_35transform_pair_of_input_iterators_tIbNS6_6detail15normal_iteratorINS6_10device_ptrIKyEEEESL_NS6_8equal_toIyEEEENSG_9not_fun_tINSD_8identityEEEEENSD_19counting_iterator_tIlEES8_S8_S8_S8_S8_S8_S8_S8_EEEEPS9_S9_NSD_9__find_if7functorIS9_EEEE10hipError_tPvRmT1_T2_T3_mT4_P12ihipStream_tbEUlT_E1_NS1_11comp_targetILNS1_3genE10ELNS1_11target_archE1201ELNS1_3gpuE5ELNS1_3repE0EEENS1_30default_config_static_selectorELNS0_4arch9wavefront6targetE0EEEvS14_.num_agpr, 0
	.set _ZN7rocprim17ROCPRIM_400000_NS6detail17trampoline_kernelINS0_14default_configENS1_22reduce_config_selectorIN6thrust23THRUST_200600_302600_NS5tupleIblNS6_9null_typeES8_S8_S8_S8_S8_S8_S8_EEEEZNS1_11reduce_implILb1ES3_NS6_12zip_iteratorINS7_INS6_11hip_rocprim26transform_input_iterator_tIbNSD_35transform_pair_of_input_iterators_tIbNS6_6detail15normal_iteratorINS6_10device_ptrIKyEEEESL_NS6_8equal_toIyEEEENSG_9not_fun_tINSD_8identityEEEEENSD_19counting_iterator_tIlEES8_S8_S8_S8_S8_S8_S8_S8_EEEEPS9_S9_NSD_9__find_if7functorIS9_EEEE10hipError_tPvRmT1_T2_T3_mT4_P12ihipStream_tbEUlT_E1_NS1_11comp_targetILNS1_3genE10ELNS1_11target_archE1201ELNS1_3gpuE5ELNS1_3repE0EEENS1_30default_config_static_selectorELNS0_4arch9wavefront6targetE0EEEvS14_.numbered_sgpr, 0
	.set _ZN7rocprim17ROCPRIM_400000_NS6detail17trampoline_kernelINS0_14default_configENS1_22reduce_config_selectorIN6thrust23THRUST_200600_302600_NS5tupleIblNS6_9null_typeES8_S8_S8_S8_S8_S8_S8_EEEEZNS1_11reduce_implILb1ES3_NS6_12zip_iteratorINS7_INS6_11hip_rocprim26transform_input_iterator_tIbNSD_35transform_pair_of_input_iterators_tIbNS6_6detail15normal_iteratorINS6_10device_ptrIKyEEEESL_NS6_8equal_toIyEEEENSG_9not_fun_tINSD_8identityEEEEENSD_19counting_iterator_tIlEES8_S8_S8_S8_S8_S8_S8_S8_EEEEPS9_S9_NSD_9__find_if7functorIS9_EEEE10hipError_tPvRmT1_T2_T3_mT4_P12ihipStream_tbEUlT_E1_NS1_11comp_targetILNS1_3genE10ELNS1_11target_archE1201ELNS1_3gpuE5ELNS1_3repE0EEENS1_30default_config_static_selectorELNS0_4arch9wavefront6targetE0EEEvS14_.num_named_barrier, 0
	.set _ZN7rocprim17ROCPRIM_400000_NS6detail17trampoline_kernelINS0_14default_configENS1_22reduce_config_selectorIN6thrust23THRUST_200600_302600_NS5tupleIblNS6_9null_typeES8_S8_S8_S8_S8_S8_S8_EEEEZNS1_11reduce_implILb1ES3_NS6_12zip_iteratorINS7_INS6_11hip_rocprim26transform_input_iterator_tIbNSD_35transform_pair_of_input_iterators_tIbNS6_6detail15normal_iteratorINS6_10device_ptrIKyEEEESL_NS6_8equal_toIyEEEENSG_9not_fun_tINSD_8identityEEEEENSD_19counting_iterator_tIlEES8_S8_S8_S8_S8_S8_S8_S8_EEEEPS9_S9_NSD_9__find_if7functorIS9_EEEE10hipError_tPvRmT1_T2_T3_mT4_P12ihipStream_tbEUlT_E1_NS1_11comp_targetILNS1_3genE10ELNS1_11target_archE1201ELNS1_3gpuE5ELNS1_3repE0EEENS1_30default_config_static_selectorELNS0_4arch9wavefront6targetE0EEEvS14_.private_seg_size, 0
	.set _ZN7rocprim17ROCPRIM_400000_NS6detail17trampoline_kernelINS0_14default_configENS1_22reduce_config_selectorIN6thrust23THRUST_200600_302600_NS5tupleIblNS6_9null_typeES8_S8_S8_S8_S8_S8_S8_EEEEZNS1_11reduce_implILb1ES3_NS6_12zip_iteratorINS7_INS6_11hip_rocprim26transform_input_iterator_tIbNSD_35transform_pair_of_input_iterators_tIbNS6_6detail15normal_iteratorINS6_10device_ptrIKyEEEESL_NS6_8equal_toIyEEEENSG_9not_fun_tINSD_8identityEEEEENSD_19counting_iterator_tIlEES8_S8_S8_S8_S8_S8_S8_S8_EEEEPS9_S9_NSD_9__find_if7functorIS9_EEEE10hipError_tPvRmT1_T2_T3_mT4_P12ihipStream_tbEUlT_E1_NS1_11comp_targetILNS1_3genE10ELNS1_11target_archE1201ELNS1_3gpuE5ELNS1_3repE0EEENS1_30default_config_static_selectorELNS0_4arch9wavefront6targetE0EEEvS14_.uses_vcc, 0
	.set _ZN7rocprim17ROCPRIM_400000_NS6detail17trampoline_kernelINS0_14default_configENS1_22reduce_config_selectorIN6thrust23THRUST_200600_302600_NS5tupleIblNS6_9null_typeES8_S8_S8_S8_S8_S8_S8_EEEEZNS1_11reduce_implILb1ES3_NS6_12zip_iteratorINS7_INS6_11hip_rocprim26transform_input_iterator_tIbNSD_35transform_pair_of_input_iterators_tIbNS6_6detail15normal_iteratorINS6_10device_ptrIKyEEEESL_NS6_8equal_toIyEEEENSG_9not_fun_tINSD_8identityEEEEENSD_19counting_iterator_tIlEES8_S8_S8_S8_S8_S8_S8_S8_EEEEPS9_S9_NSD_9__find_if7functorIS9_EEEE10hipError_tPvRmT1_T2_T3_mT4_P12ihipStream_tbEUlT_E1_NS1_11comp_targetILNS1_3genE10ELNS1_11target_archE1201ELNS1_3gpuE5ELNS1_3repE0EEENS1_30default_config_static_selectorELNS0_4arch9wavefront6targetE0EEEvS14_.uses_flat_scratch, 0
	.set _ZN7rocprim17ROCPRIM_400000_NS6detail17trampoline_kernelINS0_14default_configENS1_22reduce_config_selectorIN6thrust23THRUST_200600_302600_NS5tupleIblNS6_9null_typeES8_S8_S8_S8_S8_S8_S8_EEEEZNS1_11reduce_implILb1ES3_NS6_12zip_iteratorINS7_INS6_11hip_rocprim26transform_input_iterator_tIbNSD_35transform_pair_of_input_iterators_tIbNS6_6detail15normal_iteratorINS6_10device_ptrIKyEEEESL_NS6_8equal_toIyEEEENSG_9not_fun_tINSD_8identityEEEEENSD_19counting_iterator_tIlEES8_S8_S8_S8_S8_S8_S8_S8_EEEEPS9_S9_NSD_9__find_if7functorIS9_EEEE10hipError_tPvRmT1_T2_T3_mT4_P12ihipStream_tbEUlT_E1_NS1_11comp_targetILNS1_3genE10ELNS1_11target_archE1201ELNS1_3gpuE5ELNS1_3repE0EEENS1_30default_config_static_selectorELNS0_4arch9wavefront6targetE0EEEvS14_.has_dyn_sized_stack, 0
	.set _ZN7rocprim17ROCPRIM_400000_NS6detail17trampoline_kernelINS0_14default_configENS1_22reduce_config_selectorIN6thrust23THRUST_200600_302600_NS5tupleIblNS6_9null_typeES8_S8_S8_S8_S8_S8_S8_EEEEZNS1_11reduce_implILb1ES3_NS6_12zip_iteratorINS7_INS6_11hip_rocprim26transform_input_iterator_tIbNSD_35transform_pair_of_input_iterators_tIbNS6_6detail15normal_iteratorINS6_10device_ptrIKyEEEESL_NS6_8equal_toIyEEEENSG_9not_fun_tINSD_8identityEEEEENSD_19counting_iterator_tIlEES8_S8_S8_S8_S8_S8_S8_S8_EEEEPS9_S9_NSD_9__find_if7functorIS9_EEEE10hipError_tPvRmT1_T2_T3_mT4_P12ihipStream_tbEUlT_E1_NS1_11comp_targetILNS1_3genE10ELNS1_11target_archE1201ELNS1_3gpuE5ELNS1_3repE0EEENS1_30default_config_static_selectorELNS0_4arch9wavefront6targetE0EEEvS14_.has_recursion, 0
	.set _ZN7rocprim17ROCPRIM_400000_NS6detail17trampoline_kernelINS0_14default_configENS1_22reduce_config_selectorIN6thrust23THRUST_200600_302600_NS5tupleIblNS6_9null_typeES8_S8_S8_S8_S8_S8_S8_EEEEZNS1_11reduce_implILb1ES3_NS6_12zip_iteratorINS7_INS6_11hip_rocprim26transform_input_iterator_tIbNSD_35transform_pair_of_input_iterators_tIbNS6_6detail15normal_iteratorINS6_10device_ptrIKyEEEESL_NS6_8equal_toIyEEEENSG_9not_fun_tINSD_8identityEEEEENSD_19counting_iterator_tIlEES8_S8_S8_S8_S8_S8_S8_S8_EEEEPS9_S9_NSD_9__find_if7functorIS9_EEEE10hipError_tPvRmT1_T2_T3_mT4_P12ihipStream_tbEUlT_E1_NS1_11comp_targetILNS1_3genE10ELNS1_11target_archE1201ELNS1_3gpuE5ELNS1_3repE0EEENS1_30default_config_static_selectorELNS0_4arch9wavefront6targetE0EEEvS14_.has_indirect_call, 0
	.section	.AMDGPU.csdata,"",@progbits
; Kernel info:
; codeLenInByte = 0
; TotalNumSgprs: 0
; NumVgprs: 0
; ScratchSize: 0
; MemoryBound: 0
; FloatMode: 240
; IeeeMode: 1
; LDSByteSize: 0 bytes/workgroup (compile time only)
; SGPRBlocks: 0
; VGPRBlocks: 0
; NumSGPRsForWavesPerEU: 1
; NumVGPRsForWavesPerEU: 1
; NamedBarCnt: 0
; Occupancy: 16
; WaveLimiterHint : 0
; COMPUTE_PGM_RSRC2:SCRATCH_EN: 0
; COMPUTE_PGM_RSRC2:USER_SGPR: 2
; COMPUTE_PGM_RSRC2:TRAP_HANDLER: 0
; COMPUTE_PGM_RSRC2:TGID_X_EN: 1
; COMPUTE_PGM_RSRC2:TGID_Y_EN: 0
; COMPUTE_PGM_RSRC2:TGID_Z_EN: 0
; COMPUTE_PGM_RSRC2:TIDIG_COMP_CNT: 0
	.section	.text._ZN7rocprim17ROCPRIM_400000_NS6detail17trampoline_kernelINS0_14default_configENS1_22reduce_config_selectorIN6thrust23THRUST_200600_302600_NS5tupleIblNS6_9null_typeES8_S8_S8_S8_S8_S8_S8_EEEEZNS1_11reduce_implILb1ES3_NS6_12zip_iteratorINS7_INS6_11hip_rocprim26transform_input_iterator_tIbNSD_35transform_pair_of_input_iterators_tIbNS6_6detail15normal_iteratorINS6_10device_ptrIKyEEEESL_NS6_8equal_toIyEEEENSG_9not_fun_tINSD_8identityEEEEENSD_19counting_iterator_tIlEES8_S8_S8_S8_S8_S8_S8_S8_EEEEPS9_S9_NSD_9__find_if7functorIS9_EEEE10hipError_tPvRmT1_T2_T3_mT4_P12ihipStream_tbEUlT_E1_NS1_11comp_targetILNS1_3genE10ELNS1_11target_archE1200ELNS1_3gpuE4ELNS1_3repE0EEENS1_30default_config_static_selectorELNS0_4arch9wavefront6targetE0EEEvS14_,"axG",@progbits,_ZN7rocprim17ROCPRIM_400000_NS6detail17trampoline_kernelINS0_14default_configENS1_22reduce_config_selectorIN6thrust23THRUST_200600_302600_NS5tupleIblNS6_9null_typeES8_S8_S8_S8_S8_S8_S8_EEEEZNS1_11reduce_implILb1ES3_NS6_12zip_iteratorINS7_INS6_11hip_rocprim26transform_input_iterator_tIbNSD_35transform_pair_of_input_iterators_tIbNS6_6detail15normal_iteratorINS6_10device_ptrIKyEEEESL_NS6_8equal_toIyEEEENSG_9not_fun_tINSD_8identityEEEEENSD_19counting_iterator_tIlEES8_S8_S8_S8_S8_S8_S8_S8_EEEEPS9_S9_NSD_9__find_if7functorIS9_EEEE10hipError_tPvRmT1_T2_T3_mT4_P12ihipStream_tbEUlT_E1_NS1_11comp_targetILNS1_3genE10ELNS1_11target_archE1200ELNS1_3gpuE4ELNS1_3repE0EEENS1_30default_config_static_selectorELNS0_4arch9wavefront6targetE0EEEvS14_,comdat
	.protected	_ZN7rocprim17ROCPRIM_400000_NS6detail17trampoline_kernelINS0_14default_configENS1_22reduce_config_selectorIN6thrust23THRUST_200600_302600_NS5tupleIblNS6_9null_typeES8_S8_S8_S8_S8_S8_S8_EEEEZNS1_11reduce_implILb1ES3_NS6_12zip_iteratorINS7_INS6_11hip_rocprim26transform_input_iterator_tIbNSD_35transform_pair_of_input_iterators_tIbNS6_6detail15normal_iteratorINS6_10device_ptrIKyEEEESL_NS6_8equal_toIyEEEENSG_9not_fun_tINSD_8identityEEEEENSD_19counting_iterator_tIlEES8_S8_S8_S8_S8_S8_S8_S8_EEEEPS9_S9_NSD_9__find_if7functorIS9_EEEE10hipError_tPvRmT1_T2_T3_mT4_P12ihipStream_tbEUlT_E1_NS1_11comp_targetILNS1_3genE10ELNS1_11target_archE1200ELNS1_3gpuE4ELNS1_3repE0EEENS1_30default_config_static_selectorELNS0_4arch9wavefront6targetE0EEEvS14_ ; -- Begin function _ZN7rocprim17ROCPRIM_400000_NS6detail17trampoline_kernelINS0_14default_configENS1_22reduce_config_selectorIN6thrust23THRUST_200600_302600_NS5tupleIblNS6_9null_typeES8_S8_S8_S8_S8_S8_S8_EEEEZNS1_11reduce_implILb1ES3_NS6_12zip_iteratorINS7_INS6_11hip_rocprim26transform_input_iterator_tIbNSD_35transform_pair_of_input_iterators_tIbNS6_6detail15normal_iteratorINS6_10device_ptrIKyEEEESL_NS6_8equal_toIyEEEENSG_9not_fun_tINSD_8identityEEEEENSD_19counting_iterator_tIlEES8_S8_S8_S8_S8_S8_S8_S8_EEEEPS9_S9_NSD_9__find_if7functorIS9_EEEE10hipError_tPvRmT1_T2_T3_mT4_P12ihipStream_tbEUlT_E1_NS1_11comp_targetILNS1_3genE10ELNS1_11target_archE1200ELNS1_3gpuE4ELNS1_3repE0EEENS1_30default_config_static_selectorELNS0_4arch9wavefront6targetE0EEEvS14_
	.globl	_ZN7rocprim17ROCPRIM_400000_NS6detail17trampoline_kernelINS0_14default_configENS1_22reduce_config_selectorIN6thrust23THRUST_200600_302600_NS5tupleIblNS6_9null_typeES8_S8_S8_S8_S8_S8_S8_EEEEZNS1_11reduce_implILb1ES3_NS6_12zip_iteratorINS7_INS6_11hip_rocprim26transform_input_iterator_tIbNSD_35transform_pair_of_input_iterators_tIbNS6_6detail15normal_iteratorINS6_10device_ptrIKyEEEESL_NS6_8equal_toIyEEEENSG_9not_fun_tINSD_8identityEEEEENSD_19counting_iterator_tIlEES8_S8_S8_S8_S8_S8_S8_S8_EEEEPS9_S9_NSD_9__find_if7functorIS9_EEEE10hipError_tPvRmT1_T2_T3_mT4_P12ihipStream_tbEUlT_E1_NS1_11comp_targetILNS1_3genE10ELNS1_11target_archE1200ELNS1_3gpuE4ELNS1_3repE0EEENS1_30default_config_static_selectorELNS0_4arch9wavefront6targetE0EEEvS14_
	.p2align	8
	.type	_ZN7rocprim17ROCPRIM_400000_NS6detail17trampoline_kernelINS0_14default_configENS1_22reduce_config_selectorIN6thrust23THRUST_200600_302600_NS5tupleIblNS6_9null_typeES8_S8_S8_S8_S8_S8_S8_EEEEZNS1_11reduce_implILb1ES3_NS6_12zip_iteratorINS7_INS6_11hip_rocprim26transform_input_iterator_tIbNSD_35transform_pair_of_input_iterators_tIbNS6_6detail15normal_iteratorINS6_10device_ptrIKyEEEESL_NS6_8equal_toIyEEEENSG_9not_fun_tINSD_8identityEEEEENSD_19counting_iterator_tIlEES8_S8_S8_S8_S8_S8_S8_S8_EEEEPS9_S9_NSD_9__find_if7functorIS9_EEEE10hipError_tPvRmT1_T2_T3_mT4_P12ihipStream_tbEUlT_E1_NS1_11comp_targetILNS1_3genE10ELNS1_11target_archE1200ELNS1_3gpuE4ELNS1_3repE0EEENS1_30default_config_static_selectorELNS0_4arch9wavefront6targetE0EEEvS14_,@function
_ZN7rocprim17ROCPRIM_400000_NS6detail17trampoline_kernelINS0_14default_configENS1_22reduce_config_selectorIN6thrust23THRUST_200600_302600_NS5tupleIblNS6_9null_typeES8_S8_S8_S8_S8_S8_S8_EEEEZNS1_11reduce_implILb1ES3_NS6_12zip_iteratorINS7_INS6_11hip_rocprim26transform_input_iterator_tIbNSD_35transform_pair_of_input_iterators_tIbNS6_6detail15normal_iteratorINS6_10device_ptrIKyEEEESL_NS6_8equal_toIyEEEENSG_9not_fun_tINSD_8identityEEEEENSD_19counting_iterator_tIlEES8_S8_S8_S8_S8_S8_S8_S8_EEEEPS9_S9_NSD_9__find_if7functorIS9_EEEE10hipError_tPvRmT1_T2_T3_mT4_P12ihipStream_tbEUlT_E1_NS1_11comp_targetILNS1_3genE10ELNS1_11target_archE1200ELNS1_3gpuE4ELNS1_3repE0EEENS1_30default_config_static_selectorELNS0_4arch9wavefront6targetE0EEEvS14_: ; @_ZN7rocprim17ROCPRIM_400000_NS6detail17trampoline_kernelINS0_14default_configENS1_22reduce_config_selectorIN6thrust23THRUST_200600_302600_NS5tupleIblNS6_9null_typeES8_S8_S8_S8_S8_S8_S8_EEEEZNS1_11reduce_implILb1ES3_NS6_12zip_iteratorINS7_INS6_11hip_rocprim26transform_input_iterator_tIbNSD_35transform_pair_of_input_iterators_tIbNS6_6detail15normal_iteratorINS6_10device_ptrIKyEEEESL_NS6_8equal_toIyEEEENSG_9not_fun_tINSD_8identityEEEEENSD_19counting_iterator_tIlEES8_S8_S8_S8_S8_S8_S8_S8_EEEEPS9_S9_NSD_9__find_if7functorIS9_EEEE10hipError_tPvRmT1_T2_T3_mT4_P12ihipStream_tbEUlT_E1_NS1_11comp_targetILNS1_3genE10ELNS1_11target_archE1200ELNS1_3gpuE4ELNS1_3repE0EEENS1_30default_config_static_selectorELNS0_4arch9wavefront6targetE0EEEvS14_
; %bb.0:
	.section	.rodata,"a",@progbits
	.p2align	6, 0x0
	.amdhsa_kernel _ZN7rocprim17ROCPRIM_400000_NS6detail17trampoline_kernelINS0_14default_configENS1_22reduce_config_selectorIN6thrust23THRUST_200600_302600_NS5tupleIblNS6_9null_typeES8_S8_S8_S8_S8_S8_S8_EEEEZNS1_11reduce_implILb1ES3_NS6_12zip_iteratorINS7_INS6_11hip_rocprim26transform_input_iterator_tIbNSD_35transform_pair_of_input_iterators_tIbNS6_6detail15normal_iteratorINS6_10device_ptrIKyEEEESL_NS6_8equal_toIyEEEENSG_9not_fun_tINSD_8identityEEEEENSD_19counting_iterator_tIlEES8_S8_S8_S8_S8_S8_S8_S8_EEEEPS9_S9_NSD_9__find_if7functorIS9_EEEE10hipError_tPvRmT1_T2_T3_mT4_P12ihipStream_tbEUlT_E1_NS1_11comp_targetILNS1_3genE10ELNS1_11target_archE1200ELNS1_3gpuE4ELNS1_3repE0EEENS1_30default_config_static_selectorELNS0_4arch9wavefront6targetE0EEEvS14_
		.amdhsa_group_segment_fixed_size 0
		.amdhsa_private_segment_fixed_size 0
		.amdhsa_kernarg_size 88
		.amdhsa_user_sgpr_count 2
		.amdhsa_user_sgpr_dispatch_ptr 0
		.amdhsa_user_sgpr_queue_ptr 0
		.amdhsa_user_sgpr_kernarg_segment_ptr 1
		.amdhsa_user_sgpr_dispatch_id 0
		.amdhsa_user_sgpr_kernarg_preload_length 0
		.amdhsa_user_sgpr_kernarg_preload_offset 0
		.amdhsa_user_sgpr_private_segment_size 0
		.amdhsa_wavefront_size32 1
		.amdhsa_uses_dynamic_stack 0
		.amdhsa_enable_private_segment 0
		.amdhsa_system_sgpr_workgroup_id_x 1
		.amdhsa_system_sgpr_workgroup_id_y 0
		.amdhsa_system_sgpr_workgroup_id_z 0
		.amdhsa_system_sgpr_workgroup_info 0
		.amdhsa_system_vgpr_workitem_id 0
		.amdhsa_next_free_vgpr 1
		.amdhsa_next_free_sgpr 1
		.amdhsa_named_barrier_count 0
		.amdhsa_reserve_vcc 0
		.amdhsa_float_round_mode_32 0
		.amdhsa_float_round_mode_16_64 0
		.amdhsa_float_denorm_mode_32 3
		.amdhsa_float_denorm_mode_16_64 3
		.amdhsa_fp16_overflow 0
		.amdhsa_memory_ordered 1
		.amdhsa_forward_progress 1
		.amdhsa_inst_pref_size 0
		.amdhsa_round_robin_scheduling 0
		.amdhsa_exception_fp_ieee_invalid_op 0
		.amdhsa_exception_fp_denorm_src 0
		.amdhsa_exception_fp_ieee_div_zero 0
		.amdhsa_exception_fp_ieee_overflow 0
		.amdhsa_exception_fp_ieee_underflow 0
		.amdhsa_exception_fp_ieee_inexact 0
		.amdhsa_exception_int_div_zero 0
	.end_amdhsa_kernel
	.section	.text._ZN7rocprim17ROCPRIM_400000_NS6detail17trampoline_kernelINS0_14default_configENS1_22reduce_config_selectorIN6thrust23THRUST_200600_302600_NS5tupleIblNS6_9null_typeES8_S8_S8_S8_S8_S8_S8_EEEEZNS1_11reduce_implILb1ES3_NS6_12zip_iteratorINS7_INS6_11hip_rocprim26transform_input_iterator_tIbNSD_35transform_pair_of_input_iterators_tIbNS6_6detail15normal_iteratorINS6_10device_ptrIKyEEEESL_NS6_8equal_toIyEEEENSG_9not_fun_tINSD_8identityEEEEENSD_19counting_iterator_tIlEES8_S8_S8_S8_S8_S8_S8_S8_EEEEPS9_S9_NSD_9__find_if7functorIS9_EEEE10hipError_tPvRmT1_T2_T3_mT4_P12ihipStream_tbEUlT_E1_NS1_11comp_targetILNS1_3genE10ELNS1_11target_archE1200ELNS1_3gpuE4ELNS1_3repE0EEENS1_30default_config_static_selectorELNS0_4arch9wavefront6targetE0EEEvS14_,"axG",@progbits,_ZN7rocprim17ROCPRIM_400000_NS6detail17trampoline_kernelINS0_14default_configENS1_22reduce_config_selectorIN6thrust23THRUST_200600_302600_NS5tupleIblNS6_9null_typeES8_S8_S8_S8_S8_S8_S8_EEEEZNS1_11reduce_implILb1ES3_NS6_12zip_iteratorINS7_INS6_11hip_rocprim26transform_input_iterator_tIbNSD_35transform_pair_of_input_iterators_tIbNS6_6detail15normal_iteratorINS6_10device_ptrIKyEEEESL_NS6_8equal_toIyEEEENSG_9not_fun_tINSD_8identityEEEEENSD_19counting_iterator_tIlEES8_S8_S8_S8_S8_S8_S8_S8_EEEEPS9_S9_NSD_9__find_if7functorIS9_EEEE10hipError_tPvRmT1_T2_T3_mT4_P12ihipStream_tbEUlT_E1_NS1_11comp_targetILNS1_3genE10ELNS1_11target_archE1200ELNS1_3gpuE4ELNS1_3repE0EEENS1_30default_config_static_selectorELNS0_4arch9wavefront6targetE0EEEvS14_,comdat
.Lfunc_end129:
	.size	_ZN7rocprim17ROCPRIM_400000_NS6detail17trampoline_kernelINS0_14default_configENS1_22reduce_config_selectorIN6thrust23THRUST_200600_302600_NS5tupleIblNS6_9null_typeES8_S8_S8_S8_S8_S8_S8_EEEEZNS1_11reduce_implILb1ES3_NS6_12zip_iteratorINS7_INS6_11hip_rocprim26transform_input_iterator_tIbNSD_35transform_pair_of_input_iterators_tIbNS6_6detail15normal_iteratorINS6_10device_ptrIKyEEEESL_NS6_8equal_toIyEEEENSG_9not_fun_tINSD_8identityEEEEENSD_19counting_iterator_tIlEES8_S8_S8_S8_S8_S8_S8_S8_EEEEPS9_S9_NSD_9__find_if7functorIS9_EEEE10hipError_tPvRmT1_T2_T3_mT4_P12ihipStream_tbEUlT_E1_NS1_11comp_targetILNS1_3genE10ELNS1_11target_archE1200ELNS1_3gpuE4ELNS1_3repE0EEENS1_30default_config_static_selectorELNS0_4arch9wavefront6targetE0EEEvS14_, .Lfunc_end129-_ZN7rocprim17ROCPRIM_400000_NS6detail17trampoline_kernelINS0_14default_configENS1_22reduce_config_selectorIN6thrust23THRUST_200600_302600_NS5tupleIblNS6_9null_typeES8_S8_S8_S8_S8_S8_S8_EEEEZNS1_11reduce_implILb1ES3_NS6_12zip_iteratorINS7_INS6_11hip_rocprim26transform_input_iterator_tIbNSD_35transform_pair_of_input_iterators_tIbNS6_6detail15normal_iteratorINS6_10device_ptrIKyEEEESL_NS6_8equal_toIyEEEENSG_9not_fun_tINSD_8identityEEEEENSD_19counting_iterator_tIlEES8_S8_S8_S8_S8_S8_S8_S8_EEEEPS9_S9_NSD_9__find_if7functorIS9_EEEE10hipError_tPvRmT1_T2_T3_mT4_P12ihipStream_tbEUlT_E1_NS1_11comp_targetILNS1_3genE10ELNS1_11target_archE1200ELNS1_3gpuE4ELNS1_3repE0EEENS1_30default_config_static_selectorELNS0_4arch9wavefront6targetE0EEEvS14_
                                        ; -- End function
	.set _ZN7rocprim17ROCPRIM_400000_NS6detail17trampoline_kernelINS0_14default_configENS1_22reduce_config_selectorIN6thrust23THRUST_200600_302600_NS5tupleIblNS6_9null_typeES8_S8_S8_S8_S8_S8_S8_EEEEZNS1_11reduce_implILb1ES3_NS6_12zip_iteratorINS7_INS6_11hip_rocprim26transform_input_iterator_tIbNSD_35transform_pair_of_input_iterators_tIbNS6_6detail15normal_iteratorINS6_10device_ptrIKyEEEESL_NS6_8equal_toIyEEEENSG_9not_fun_tINSD_8identityEEEEENSD_19counting_iterator_tIlEES8_S8_S8_S8_S8_S8_S8_S8_EEEEPS9_S9_NSD_9__find_if7functorIS9_EEEE10hipError_tPvRmT1_T2_T3_mT4_P12ihipStream_tbEUlT_E1_NS1_11comp_targetILNS1_3genE10ELNS1_11target_archE1200ELNS1_3gpuE4ELNS1_3repE0EEENS1_30default_config_static_selectorELNS0_4arch9wavefront6targetE0EEEvS14_.num_vgpr, 0
	.set _ZN7rocprim17ROCPRIM_400000_NS6detail17trampoline_kernelINS0_14default_configENS1_22reduce_config_selectorIN6thrust23THRUST_200600_302600_NS5tupleIblNS6_9null_typeES8_S8_S8_S8_S8_S8_S8_EEEEZNS1_11reduce_implILb1ES3_NS6_12zip_iteratorINS7_INS6_11hip_rocprim26transform_input_iterator_tIbNSD_35transform_pair_of_input_iterators_tIbNS6_6detail15normal_iteratorINS6_10device_ptrIKyEEEESL_NS6_8equal_toIyEEEENSG_9not_fun_tINSD_8identityEEEEENSD_19counting_iterator_tIlEES8_S8_S8_S8_S8_S8_S8_S8_EEEEPS9_S9_NSD_9__find_if7functorIS9_EEEE10hipError_tPvRmT1_T2_T3_mT4_P12ihipStream_tbEUlT_E1_NS1_11comp_targetILNS1_3genE10ELNS1_11target_archE1200ELNS1_3gpuE4ELNS1_3repE0EEENS1_30default_config_static_selectorELNS0_4arch9wavefront6targetE0EEEvS14_.num_agpr, 0
	.set _ZN7rocprim17ROCPRIM_400000_NS6detail17trampoline_kernelINS0_14default_configENS1_22reduce_config_selectorIN6thrust23THRUST_200600_302600_NS5tupleIblNS6_9null_typeES8_S8_S8_S8_S8_S8_S8_EEEEZNS1_11reduce_implILb1ES3_NS6_12zip_iteratorINS7_INS6_11hip_rocprim26transform_input_iterator_tIbNSD_35transform_pair_of_input_iterators_tIbNS6_6detail15normal_iteratorINS6_10device_ptrIKyEEEESL_NS6_8equal_toIyEEEENSG_9not_fun_tINSD_8identityEEEEENSD_19counting_iterator_tIlEES8_S8_S8_S8_S8_S8_S8_S8_EEEEPS9_S9_NSD_9__find_if7functorIS9_EEEE10hipError_tPvRmT1_T2_T3_mT4_P12ihipStream_tbEUlT_E1_NS1_11comp_targetILNS1_3genE10ELNS1_11target_archE1200ELNS1_3gpuE4ELNS1_3repE0EEENS1_30default_config_static_selectorELNS0_4arch9wavefront6targetE0EEEvS14_.numbered_sgpr, 0
	.set _ZN7rocprim17ROCPRIM_400000_NS6detail17trampoline_kernelINS0_14default_configENS1_22reduce_config_selectorIN6thrust23THRUST_200600_302600_NS5tupleIblNS6_9null_typeES8_S8_S8_S8_S8_S8_S8_EEEEZNS1_11reduce_implILb1ES3_NS6_12zip_iteratorINS7_INS6_11hip_rocprim26transform_input_iterator_tIbNSD_35transform_pair_of_input_iterators_tIbNS6_6detail15normal_iteratorINS6_10device_ptrIKyEEEESL_NS6_8equal_toIyEEEENSG_9not_fun_tINSD_8identityEEEEENSD_19counting_iterator_tIlEES8_S8_S8_S8_S8_S8_S8_S8_EEEEPS9_S9_NSD_9__find_if7functorIS9_EEEE10hipError_tPvRmT1_T2_T3_mT4_P12ihipStream_tbEUlT_E1_NS1_11comp_targetILNS1_3genE10ELNS1_11target_archE1200ELNS1_3gpuE4ELNS1_3repE0EEENS1_30default_config_static_selectorELNS0_4arch9wavefront6targetE0EEEvS14_.num_named_barrier, 0
	.set _ZN7rocprim17ROCPRIM_400000_NS6detail17trampoline_kernelINS0_14default_configENS1_22reduce_config_selectorIN6thrust23THRUST_200600_302600_NS5tupleIblNS6_9null_typeES8_S8_S8_S8_S8_S8_S8_EEEEZNS1_11reduce_implILb1ES3_NS6_12zip_iteratorINS7_INS6_11hip_rocprim26transform_input_iterator_tIbNSD_35transform_pair_of_input_iterators_tIbNS6_6detail15normal_iteratorINS6_10device_ptrIKyEEEESL_NS6_8equal_toIyEEEENSG_9not_fun_tINSD_8identityEEEEENSD_19counting_iterator_tIlEES8_S8_S8_S8_S8_S8_S8_S8_EEEEPS9_S9_NSD_9__find_if7functorIS9_EEEE10hipError_tPvRmT1_T2_T3_mT4_P12ihipStream_tbEUlT_E1_NS1_11comp_targetILNS1_3genE10ELNS1_11target_archE1200ELNS1_3gpuE4ELNS1_3repE0EEENS1_30default_config_static_selectorELNS0_4arch9wavefront6targetE0EEEvS14_.private_seg_size, 0
	.set _ZN7rocprim17ROCPRIM_400000_NS6detail17trampoline_kernelINS0_14default_configENS1_22reduce_config_selectorIN6thrust23THRUST_200600_302600_NS5tupleIblNS6_9null_typeES8_S8_S8_S8_S8_S8_S8_EEEEZNS1_11reduce_implILb1ES3_NS6_12zip_iteratorINS7_INS6_11hip_rocprim26transform_input_iterator_tIbNSD_35transform_pair_of_input_iterators_tIbNS6_6detail15normal_iteratorINS6_10device_ptrIKyEEEESL_NS6_8equal_toIyEEEENSG_9not_fun_tINSD_8identityEEEEENSD_19counting_iterator_tIlEES8_S8_S8_S8_S8_S8_S8_S8_EEEEPS9_S9_NSD_9__find_if7functorIS9_EEEE10hipError_tPvRmT1_T2_T3_mT4_P12ihipStream_tbEUlT_E1_NS1_11comp_targetILNS1_3genE10ELNS1_11target_archE1200ELNS1_3gpuE4ELNS1_3repE0EEENS1_30default_config_static_selectorELNS0_4arch9wavefront6targetE0EEEvS14_.uses_vcc, 0
	.set _ZN7rocprim17ROCPRIM_400000_NS6detail17trampoline_kernelINS0_14default_configENS1_22reduce_config_selectorIN6thrust23THRUST_200600_302600_NS5tupleIblNS6_9null_typeES8_S8_S8_S8_S8_S8_S8_EEEEZNS1_11reduce_implILb1ES3_NS6_12zip_iteratorINS7_INS6_11hip_rocprim26transform_input_iterator_tIbNSD_35transform_pair_of_input_iterators_tIbNS6_6detail15normal_iteratorINS6_10device_ptrIKyEEEESL_NS6_8equal_toIyEEEENSG_9not_fun_tINSD_8identityEEEEENSD_19counting_iterator_tIlEES8_S8_S8_S8_S8_S8_S8_S8_EEEEPS9_S9_NSD_9__find_if7functorIS9_EEEE10hipError_tPvRmT1_T2_T3_mT4_P12ihipStream_tbEUlT_E1_NS1_11comp_targetILNS1_3genE10ELNS1_11target_archE1200ELNS1_3gpuE4ELNS1_3repE0EEENS1_30default_config_static_selectorELNS0_4arch9wavefront6targetE0EEEvS14_.uses_flat_scratch, 0
	.set _ZN7rocprim17ROCPRIM_400000_NS6detail17trampoline_kernelINS0_14default_configENS1_22reduce_config_selectorIN6thrust23THRUST_200600_302600_NS5tupleIblNS6_9null_typeES8_S8_S8_S8_S8_S8_S8_EEEEZNS1_11reduce_implILb1ES3_NS6_12zip_iteratorINS7_INS6_11hip_rocprim26transform_input_iterator_tIbNSD_35transform_pair_of_input_iterators_tIbNS6_6detail15normal_iteratorINS6_10device_ptrIKyEEEESL_NS6_8equal_toIyEEEENSG_9not_fun_tINSD_8identityEEEEENSD_19counting_iterator_tIlEES8_S8_S8_S8_S8_S8_S8_S8_EEEEPS9_S9_NSD_9__find_if7functorIS9_EEEE10hipError_tPvRmT1_T2_T3_mT4_P12ihipStream_tbEUlT_E1_NS1_11comp_targetILNS1_3genE10ELNS1_11target_archE1200ELNS1_3gpuE4ELNS1_3repE0EEENS1_30default_config_static_selectorELNS0_4arch9wavefront6targetE0EEEvS14_.has_dyn_sized_stack, 0
	.set _ZN7rocprim17ROCPRIM_400000_NS6detail17trampoline_kernelINS0_14default_configENS1_22reduce_config_selectorIN6thrust23THRUST_200600_302600_NS5tupleIblNS6_9null_typeES8_S8_S8_S8_S8_S8_S8_EEEEZNS1_11reduce_implILb1ES3_NS6_12zip_iteratorINS7_INS6_11hip_rocprim26transform_input_iterator_tIbNSD_35transform_pair_of_input_iterators_tIbNS6_6detail15normal_iteratorINS6_10device_ptrIKyEEEESL_NS6_8equal_toIyEEEENSG_9not_fun_tINSD_8identityEEEEENSD_19counting_iterator_tIlEES8_S8_S8_S8_S8_S8_S8_S8_EEEEPS9_S9_NSD_9__find_if7functorIS9_EEEE10hipError_tPvRmT1_T2_T3_mT4_P12ihipStream_tbEUlT_E1_NS1_11comp_targetILNS1_3genE10ELNS1_11target_archE1200ELNS1_3gpuE4ELNS1_3repE0EEENS1_30default_config_static_selectorELNS0_4arch9wavefront6targetE0EEEvS14_.has_recursion, 0
	.set _ZN7rocprim17ROCPRIM_400000_NS6detail17trampoline_kernelINS0_14default_configENS1_22reduce_config_selectorIN6thrust23THRUST_200600_302600_NS5tupleIblNS6_9null_typeES8_S8_S8_S8_S8_S8_S8_EEEEZNS1_11reduce_implILb1ES3_NS6_12zip_iteratorINS7_INS6_11hip_rocprim26transform_input_iterator_tIbNSD_35transform_pair_of_input_iterators_tIbNS6_6detail15normal_iteratorINS6_10device_ptrIKyEEEESL_NS6_8equal_toIyEEEENSG_9not_fun_tINSD_8identityEEEEENSD_19counting_iterator_tIlEES8_S8_S8_S8_S8_S8_S8_S8_EEEEPS9_S9_NSD_9__find_if7functorIS9_EEEE10hipError_tPvRmT1_T2_T3_mT4_P12ihipStream_tbEUlT_E1_NS1_11comp_targetILNS1_3genE10ELNS1_11target_archE1200ELNS1_3gpuE4ELNS1_3repE0EEENS1_30default_config_static_selectorELNS0_4arch9wavefront6targetE0EEEvS14_.has_indirect_call, 0
	.section	.AMDGPU.csdata,"",@progbits
; Kernel info:
; codeLenInByte = 0
; TotalNumSgprs: 0
; NumVgprs: 0
; ScratchSize: 0
; MemoryBound: 0
; FloatMode: 240
; IeeeMode: 1
; LDSByteSize: 0 bytes/workgroup (compile time only)
; SGPRBlocks: 0
; VGPRBlocks: 0
; NumSGPRsForWavesPerEU: 1
; NumVGPRsForWavesPerEU: 1
; NamedBarCnt: 0
; Occupancy: 16
; WaveLimiterHint : 0
; COMPUTE_PGM_RSRC2:SCRATCH_EN: 0
; COMPUTE_PGM_RSRC2:USER_SGPR: 2
; COMPUTE_PGM_RSRC2:TRAP_HANDLER: 0
; COMPUTE_PGM_RSRC2:TGID_X_EN: 1
; COMPUTE_PGM_RSRC2:TGID_Y_EN: 0
; COMPUTE_PGM_RSRC2:TGID_Z_EN: 0
; COMPUTE_PGM_RSRC2:TIDIG_COMP_CNT: 0
	.section	.text._ZN7rocprim17ROCPRIM_400000_NS6detail17trampoline_kernelINS0_14default_configENS1_22reduce_config_selectorIN6thrust23THRUST_200600_302600_NS5tupleIblNS6_9null_typeES8_S8_S8_S8_S8_S8_S8_EEEEZNS1_11reduce_implILb1ES3_NS6_12zip_iteratorINS7_INS6_11hip_rocprim26transform_input_iterator_tIbNSD_35transform_pair_of_input_iterators_tIbNS6_6detail15normal_iteratorINS6_10device_ptrIKyEEEESL_NS6_8equal_toIyEEEENSG_9not_fun_tINSD_8identityEEEEENSD_19counting_iterator_tIlEES8_S8_S8_S8_S8_S8_S8_S8_EEEEPS9_S9_NSD_9__find_if7functorIS9_EEEE10hipError_tPvRmT1_T2_T3_mT4_P12ihipStream_tbEUlT_E1_NS1_11comp_targetILNS1_3genE9ELNS1_11target_archE1100ELNS1_3gpuE3ELNS1_3repE0EEENS1_30default_config_static_selectorELNS0_4arch9wavefront6targetE0EEEvS14_,"axG",@progbits,_ZN7rocprim17ROCPRIM_400000_NS6detail17trampoline_kernelINS0_14default_configENS1_22reduce_config_selectorIN6thrust23THRUST_200600_302600_NS5tupleIblNS6_9null_typeES8_S8_S8_S8_S8_S8_S8_EEEEZNS1_11reduce_implILb1ES3_NS6_12zip_iteratorINS7_INS6_11hip_rocprim26transform_input_iterator_tIbNSD_35transform_pair_of_input_iterators_tIbNS6_6detail15normal_iteratorINS6_10device_ptrIKyEEEESL_NS6_8equal_toIyEEEENSG_9not_fun_tINSD_8identityEEEEENSD_19counting_iterator_tIlEES8_S8_S8_S8_S8_S8_S8_S8_EEEEPS9_S9_NSD_9__find_if7functorIS9_EEEE10hipError_tPvRmT1_T2_T3_mT4_P12ihipStream_tbEUlT_E1_NS1_11comp_targetILNS1_3genE9ELNS1_11target_archE1100ELNS1_3gpuE3ELNS1_3repE0EEENS1_30default_config_static_selectorELNS0_4arch9wavefront6targetE0EEEvS14_,comdat
	.protected	_ZN7rocprim17ROCPRIM_400000_NS6detail17trampoline_kernelINS0_14default_configENS1_22reduce_config_selectorIN6thrust23THRUST_200600_302600_NS5tupleIblNS6_9null_typeES8_S8_S8_S8_S8_S8_S8_EEEEZNS1_11reduce_implILb1ES3_NS6_12zip_iteratorINS7_INS6_11hip_rocprim26transform_input_iterator_tIbNSD_35transform_pair_of_input_iterators_tIbNS6_6detail15normal_iteratorINS6_10device_ptrIKyEEEESL_NS6_8equal_toIyEEEENSG_9not_fun_tINSD_8identityEEEEENSD_19counting_iterator_tIlEES8_S8_S8_S8_S8_S8_S8_S8_EEEEPS9_S9_NSD_9__find_if7functorIS9_EEEE10hipError_tPvRmT1_T2_T3_mT4_P12ihipStream_tbEUlT_E1_NS1_11comp_targetILNS1_3genE9ELNS1_11target_archE1100ELNS1_3gpuE3ELNS1_3repE0EEENS1_30default_config_static_selectorELNS0_4arch9wavefront6targetE0EEEvS14_ ; -- Begin function _ZN7rocprim17ROCPRIM_400000_NS6detail17trampoline_kernelINS0_14default_configENS1_22reduce_config_selectorIN6thrust23THRUST_200600_302600_NS5tupleIblNS6_9null_typeES8_S8_S8_S8_S8_S8_S8_EEEEZNS1_11reduce_implILb1ES3_NS6_12zip_iteratorINS7_INS6_11hip_rocprim26transform_input_iterator_tIbNSD_35transform_pair_of_input_iterators_tIbNS6_6detail15normal_iteratorINS6_10device_ptrIKyEEEESL_NS6_8equal_toIyEEEENSG_9not_fun_tINSD_8identityEEEEENSD_19counting_iterator_tIlEES8_S8_S8_S8_S8_S8_S8_S8_EEEEPS9_S9_NSD_9__find_if7functorIS9_EEEE10hipError_tPvRmT1_T2_T3_mT4_P12ihipStream_tbEUlT_E1_NS1_11comp_targetILNS1_3genE9ELNS1_11target_archE1100ELNS1_3gpuE3ELNS1_3repE0EEENS1_30default_config_static_selectorELNS0_4arch9wavefront6targetE0EEEvS14_
	.globl	_ZN7rocprim17ROCPRIM_400000_NS6detail17trampoline_kernelINS0_14default_configENS1_22reduce_config_selectorIN6thrust23THRUST_200600_302600_NS5tupleIblNS6_9null_typeES8_S8_S8_S8_S8_S8_S8_EEEEZNS1_11reduce_implILb1ES3_NS6_12zip_iteratorINS7_INS6_11hip_rocprim26transform_input_iterator_tIbNSD_35transform_pair_of_input_iterators_tIbNS6_6detail15normal_iteratorINS6_10device_ptrIKyEEEESL_NS6_8equal_toIyEEEENSG_9not_fun_tINSD_8identityEEEEENSD_19counting_iterator_tIlEES8_S8_S8_S8_S8_S8_S8_S8_EEEEPS9_S9_NSD_9__find_if7functorIS9_EEEE10hipError_tPvRmT1_T2_T3_mT4_P12ihipStream_tbEUlT_E1_NS1_11comp_targetILNS1_3genE9ELNS1_11target_archE1100ELNS1_3gpuE3ELNS1_3repE0EEENS1_30default_config_static_selectorELNS0_4arch9wavefront6targetE0EEEvS14_
	.p2align	8
	.type	_ZN7rocprim17ROCPRIM_400000_NS6detail17trampoline_kernelINS0_14default_configENS1_22reduce_config_selectorIN6thrust23THRUST_200600_302600_NS5tupleIblNS6_9null_typeES8_S8_S8_S8_S8_S8_S8_EEEEZNS1_11reduce_implILb1ES3_NS6_12zip_iteratorINS7_INS6_11hip_rocprim26transform_input_iterator_tIbNSD_35transform_pair_of_input_iterators_tIbNS6_6detail15normal_iteratorINS6_10device_ptrIKyEEEESL_NS6_8equal_toIyEEEENSG_9not_fun_tINSD_8identityEEEEENSD_19counting_iterator_tIlEES8_S8_S8_S8_S8_S8_S8_S8_EEEEPS9_S9_NSD_9__find_if7functorIS9_EEEE10hipError_tPvRmT1_T2_T3_mT4_P12ihipStream_tbEUlT_E1_NS1_11comp_targetILNS1_3genE9ELNS1_11target_archE1100ELNS1_3gpuE3ELNS1_3repE0EEENS1_30default_config_static_selectorELNS0_4arch9wavefront6targetE0EEEvS14_,@function
_ZN7rocprim17ROCPRIM_400000_NS6detail17trampoline_kernelINS0_14default_configENS1_22reduce_config_selectorIN6thrust23THRUST_200600_302600_NS5tupleIblNS6_9null_typeES8_S8_S8_S8_S8_S8_S8_EEEEZNS1_11reduce_implILb1ES3_NS6_12zip_iteratorINS7_INS6_11hip_rocprim26transform_input_iterator_tIbNSD_35transform_pair_of_input_iterators_tIbNS6_6detail15normal_iteratorINS6_10device_ptrIKyEEEESL_NS6_8equal_toIyEEEENSG_9not_fun_tINSD_8identityEEEEENSD_19counting_iterator_tIlEES8_S8_S8_S8_S8_S8_S8_S8_EEEEPS9_S9_NSD_9__find_if7functorIS9_EEEE10hipError_tPvRmT1_T2_T3_mT4_P12ihipStream_tbEUlT_E1_NS1_11comp_targetILNS1_3genE9ELNS1_11target_archE1100ELNS1_3gpuE3ELNS1_3repE0EEENS1_30default_config_static_selectorELNS0_4arch9wavefront6targetE0EEEvS14_: ; @_ZN7rocprim17ROCPRIM_400000_NS6detail17trampoline_kernelINS0_14default_configENS1_22reduce_config_selectorIN6thrust23THRUST_200600_302600_NS5tupleIblNS6_9null_typeES8_S8_S8_S8_S8_S8_S8_EEEEZNS1_11reduce_implILb1ES3_NS6_12zip_iteratorINS7_INS6_11hip_rocprim26transform_input_iterator_tIbNSD_35transform_pair_of_input_iterators_tIbNS6_6detail15normal_iteratorINS6_10device_ptrIKyEEEESL_NS6_8equal_toIyEEEENSG_9not_fun_tINSD_8identityEEEEENSD_19counting_iterator_tIlEES8_S8_S8_S8_S8_S8_S8_S8_EEEEPS9_S9_NSD_9__find_if7functorIS9_EEEE10hipError_tPvRmT1_T2_T3_mT4_P12ihipStream_tbEUlT_E1_NS1_11comp_targetILNS1_3genE9ELNS1_11target_archE1100ELNS1_3gpuE3ELNS1_3repE0EEENS1_30default_config_static_selectorELNS0_4arch9wavefront6targetE0EEEvS14_
; %bb.0:
	.section	.rodata,"a",@progbits
	.p2align	6, 0x0
	.amdhsa_kernel _ZN7rocprim17ROCPRIM_400000_NS6detail17trampoline_kernelINS0_14default_configENS1_22reduce_config_selectorIN6thrust23THRUST_200600_302600_NS5tupleIblNS6_9null_typeES8_S8_S8_S8_S8_S8_S8_EEEEZNS1_11reduce_implILb1ES3_NS6_12zip_iteratorINS7_INS6_11hip_rocprim26transform_input_iterator_tIbNSD_35transform_pair_of_input_iterators_tIbNS6_6detail15normal_iteratorINS6_10device_ptrIKyEEEESL_NS6_8equal_toIyEEEENSG_9not_fun_tINSD_8identityEEEEENSD_19counting_iterator_tIlEES8_S8_S8_S8_S8_S8_S8_S8_EEEEPS9_S9_NSD_9__find_if7functorIS9_EEEE10hipError_tPvRmT1_T2_T3_mT4_P12ihipStream_tbEUlT_E1_NS1_11comp_targetILNS1_3genE9ELNS1_11target_archE1100ELNS1_3gpuE3ELNS1_3repE0EEENS1_30default_config_static_selectorELNS0_4arch9wavefront6targetE0EEEvS14_
		.amdhsa_group_segment_fixed_size 0
		.amdhsa_private_segment_fixed_size 0
		.amdhsa_kernarg_size 88
		.amdhsa_user_sgpr_count 2
		.amdhsa_user_sgpr_dispatch_ptr 0
		.amdhsa_user_sgpr_queue_ptr 0
		.amdhsa_user_sgpr_kernarg_segment_ptr 1
		.amdhsa_user_sgpr_dispatch_id 0
		.amdhsa_user_sgpr_kernarg_preload_length 0
		.amdhsa_user_sgpr_kernarg_preload_offset 0
		.amdhsa_user_sgpr_private_segment_size 0
		.amdhsa_wavefront_size32 1
		.amdhsa_uses_dynamic_stack 0
		.amdhsa_enable_private_segment 0
		.amdhsa_system_sgpr_workgroup_id_x 1
		.amdhsa_system_sgpr_workgroup_id_y 0
		.amdhsa_system_sgpr_workgroup_id_z 0
		.amdhsa_system_sgpr_workgroup_info 0
		.amdhsa_system_vgpr_workitem_id 0
		.amdhsa_next_free_vgpr 1
		.amdhsa_next_free_sgpr 1
		.amdhsa_named_barrier_count 0
		.amdhsa_reserve_vcc 0
		.amdhsa_float_round_mode_32 0
		.amdhsa_float_round_mode_16_64 0
		.amdhsa_float_denorm_mode_32 3
		.amdhsa_float_denorm_mode_16_64 3
		.amdhsa_fp16_overflow 0
		.amdhsa_memory_ordered 1
		.amdhsa_forward_progress 1
		.amdhsa_inst_pref_size 0
		.amdhsa_round_robin_scheduling 0
		.amdhsa_exception_fp_ieee_invalid_op 0
		.amdhsa_exception_fp_denorm_src 0
		.amdhsa_exception_fp_ieee_div_zero 0
		.amdhsa_exception_fp_ieee_overflow 0
		.amdhsa_exception_fp_ieee_underflow 0
		.amdhsa_exception_fp_ieee_inexact 0
		.amdhsa_exception_int_div_zero 0
	.end_amdhsa_kernel
	.section	.text._ZN7rocprim17ROCPRIM_400000_NS6detail17trampoline_kernelINS0_14default_configENS1_22reduce_config_selectorIN6thrust23THRUST_200600_302600_NS5tupleIblNS6_9null_typeES8_S8_S8_S8_S8_S8_S8_EEEEZNS1_11reduce_implILb1ES3_NS6_12zip_iteratorINS7_INS6_11hip_rocprim26transform_input_iterator_tIbNSD_35transform_pair_of_input_iterators_tIbNS6_6detail15normal_iteratorINS6_10device_ptrIKyEEEESL_NS6_8equal_toIyEEEENSG_9not_fun_tINSD_8identityEEEEENSD_19counting_iterator_tIlEES8_S8_S8_S8_S8_S8_S8_S8_EEEEPS9_S9_NSD_9__find_if7functorIS9_EEEE10hipError_tPvRmT1_T2_T3_mT4_P12ihipStream_tbEUlT_E1_NS1_11comp_targetILNS1_3genE9ELNS1_11target_archE1100ELNS1_3gpuE3ELNS1_3repE0EEENS1_30default_config_static_selectorELNS0_4arch9wavefront6targetE0EEEvS14_,"axG",@progbits,_ZN7rocprim17ROCPRIM_400000_NS6detail17trampoline_kernelINS0_14default_configENS1_22reduce_config_selectorIN6thrust23THRUST_200600_302600_NS5tupleIblNS6_9null_typeES8_S8_S8_S8_S8_S8_S8_EEEEZNS1_11reduce_implILb1ES3_NS6_12zip_iteratorINS7_INS6_11hip_rocprim26transform_input_iterator_tIbNSD_35transform_pair_of_input_iterators_tIbNS6_6detail15normal_iteratorINS6_10device_ptrIKyEEEESL_NS6_8equal_toIyEEEENSG_9not_fun_tINSD_8identityEEEEENSD_19counting_iterator_tIlEES8_S8_S8_S8_S8_S8_S8_S8_EEEEPS9_S9_NSD_9__find_if7functorIS9_EEEE10hipError_tPvRmT1_T2_T3_mT4_P12ihipStream_tbEUlT_E1_NS1_11comp_targetILNS1_3genE9ELNS1_11target_archE1100ELNS1_3gpuE3ELNS1_3repE0EEENS1_30default_config_static_selectorELNS0_4arch9wavefront6targetE0EEEvS14_,comdat
.Lfunc_end130:
	.size	_ZN7rocprim17ROCPRIM_400000_NS6detail17trampoline_kernelINS0_14default_configENS1_22reduce_config_selectorIN6thrust23THRUST_200600_302600_NS5tupleIblNS6_9null_typeES8_S8_S8_S8_S8_S8_S8_EEEEZNS1_11reduce_implILb1ES3_NS6_12zip_iteratorINS7_INS6_11hip_rocprim26transform_input_iterator_tIbNSD_35transform_pair_of_input_iterators_tIbNS6_6detail15normal_iteratorINS6_10device_ptrIKyEEEESL_NS6_8equal_toIyEEEENSG_9not_fun_tINSD_8identityEEEEENSD_19counting_iterator_tIlEES8_S8_S8_S8_S8_S8_S8_S8_EEEEPS9_S9_NSD_9__find_if7functorIS9_EEEE10hipError_tPvRmT1_T2_T3_mT4_P12ihipStream_tbEUlT_E1_NS1_11comp_targetILNS1_3genE9ELNS1_11target_archE1100ELNS1_3gpuE3ELNS1_3repE0EEENS1_30default_config_static_selectorELNS0_4arch9wavefront6targetE0EEEvS14_, .Lfunc_end130-_ZN7rocprim17ROCPRIM_400000_NS6detail17trampoline_kernelINS0_14default_configENS1_22reduce_config_selectorIN6thrust23THRUST_200600_302600_NS5tupleIblNS6_9null_typeES8_S8_S8_S8_S8_S8_S8_EEEEZNS1_11reduce_implILb1ES3_NS6_12zip_iteratorINS7_INS6_11hip_rocprim26transform_input_iterator_tIbNSD_35transform_pair_of_input_iterators_tIbNS6_6detail15normal_iteratorINS6_10device_ptrIKyEEEESL_NS6_8equal_toIyEEEENSG_9not_fun_tINSD_8identityEEEEENSD_19counting_iterator_tIlEES8_S8_S8_S8_S8_S8_S8_S8_EEEEPS9_S9_NSD_9__find_if7functorIS9_EEEE10hipError_tPvRmT1_T2_T3_mT4_P12ihipStream_tbEUlT_E1_NS1_11comp_targetILNS1_3genE9ELNS1_11target_archE1100ELNS1_3gpuE3ELNS1_3repE0EEENS1_30default_config_static_selectorELNS0_4arch9wavefront6targetE0EEEvS14_
                                        ; -- End function
	.set _ZN7rocprim17ROCPRIM_400000_NS6detail17trampoline_kernelINS0_14default_configENS1_22reduce_config_selectorIN6thrust23THRUST_200600_302600_NS5tupleIblNS6_9null_typeES8_S8_S8_S8_S8_S8_S8_EEEEZNS1_11reduce_implILb1ES3_NS6_12zip_iteratorINS7_INS6_11hip_rocprim26transform_input_iterator_tIbNSD_35transform_pair_of_input_iterators_tIbNS6_6detail15normal_iteratorINS6_10device_ptrIKyEEEESL_NS6_8equal_toIyEEEENSG_9not_fun_tINSD_8identityEEEEENSD_19counting_iterator_tIlEES8_S8_S8_S8_S8_S8_S8_S8_EEEEPS9_S9_NSD_9__find_if7functorIS9_EEEE10hipError_tPvRmT1_T2_T3_mT4_P12ihipStream_tbEUlT_E1_NS1_11comp_targetILNS1_3genE9ELNS1_11target_archE1100ELNS1_3gpuE3ELNS1_3repE0EEENS1_30default_config_static_selectorELNS0_4arch9wavefront6targetE0EEEvS14_.num_vgpr, 0
	.set _ZN7rocprim17ROCPRIM_400000_NS6detail17trampoline_kernelINS0_14default_configENS1_22reduce_config_selectorIN6thrust23THRUST_200600_302600_NS5tupleIblNS6_9null_typeES8_S8_S8_S8_S8_S8_S8_EEEEZNS1_11reduce_implILb1ES3_NS6_12zip_iteratorINS7_INS6_11hip_rocprim26transform_input_iterator_tIbNSD_35transform_pair_of_input_iterators_tIbNS6_6detail15normal_iteratorINS6_10device_ptrIKyEEEESL_NS6_8equal_toIyEEEENSG_9not_fun_tINSD_8identityEEEEENSD_19counting_iterator_tIlEES8_S8_S8_S8_S8_S8_S8_S8_EEEEPS9_S9_NSD_9__find_if7functorIS9_EEEE10hipError_tPvRmT1_T2_T3_mT4_P12ihipStream_tbEUlT_E1_NS1_11comp_targetILNS1_3genE9ELNS1_11target_archE1100ELNS1_3gpuE3ELNS1_3repE0EEENS1_30default_config_static_selectorELNS0_4arch9wavefront6targetE0EEEvS14_.num_agpr, 0
	.set _ZN7rocprim17ROCPRIM_400000_NS6detail17trampoline_kernelINS0_14default_configENS1_22reduce_config_selectorIN6thrust23THRUST_200600_302600_NS5tupleIblNS6_9null_typeES8_S8_S8_S8_S8_S8_S8_EEEEZNS1_11reduce_implILb1ES3_NS6_12zip_iteratorINS7_INS6_11hip_rocprim26transform_input_iterator_tIbNSD_35transform_pair_of_input_iterators_tIbNS6_6detail15normal_iteratorINS6_10device_ptrIKyEEEESL_NS6_8equal_toIyEEEENSG_9not_fun_tINSD_8identityEEEEENSD_19counting_iterator_tIlEES8_S8_S8_S8_S8_S8_S8_S8_EEEEPS9_S9_NSD_9__find_if7functorIS9_EEEE10hipError_tPvRmT1_T2_T3_mT4_P12ihipStream_tbEUlT_E1_NS1_11comp_targetILNS1_3genE9ELNS1_11target_archE1100ELNS1_3gpuE3ELNS1_3repE0EEENS1_30default_config_static_selectorELNS0_4arch9wavefront6targetE0EEEvS14_.numbered_sgpr, 0
	.set _ZN7rocprim17ROCPRIM_400000_NS6detail17trampoline_kernelINS0_14default_configENS1_22reduce_config_selectorIN6thrust23THRUST_200600_302600_NS5tupleIblNS6_9null_typeES8_S8_S8_S8_S8_S8_S8_EEEEZNS1_11reduce_implILb1ES3_NS6_12zip_iteratorINS7_INS6_11hip_rocprim26transform_input_iterator_tIbNSD_35transform_pair_of_input_iterators_tIbNS6_6detail15normal_iteratorINS6_10device_ptrIKyEEEESL_NS6_8equal_toIyEEEENSG_9not_fun_tINSD_8identityEEEEENSD_19counting_iterator_tIlEES8_S8_S8_S8_S8_S8_S8_S8_EEEEPS9_S9_NSD_9__find_if7functorIS9_EEEE10hipError_tPvRmT1_T2_T3_mT4_P12ihipStream_tbEUlT_E1_NS1_11comp_targetILNS1_3genE9ELNS1_11target_archE1100ELNS1_3gpuE3ELNS1_3repE0EEENS1_30default_config_static_selectorELNS0_4arch9wavefront6targetE0EEEvS14_.num_named_barrier, 0
	.set _ZN7rocprim17ROCPRIM_400000_NS6detail17trampoline_kernelINS0_14default_configENS1_22reduce_config_selectorIN6thrust23THRUST_200600_302600_NS5tupleIblNS6_9null_typeES8_S8_S8_S8_S8_S8_S8_EEEEZNS1_11reduce_implILb1ES3_NS6_12zip_iteratorINS7_INS6_11hip_rocprim26transform_input_iterator_tIbNSD_35transform_pair_of_input_iterators_tIbNS6_6detail15normal_iteratorINS6_10device_ptrIKyEEEESL_NS6_8equal_toIyEEEENSG_9not_fun_tINSD_8identityEEEEENSD_19counting_iterator_tIlEES8_S8_S8_S8_S8_S8_S8_S8_EEEEPS9_S9_NSD_9__find_if7functorIS9_EEEE10hipError_tPvRmT1_T2_T3_mT4_P12ihipStream_tbEUlT_E1_NS1_11comp_targetILNS1_3genE9ELNS1_11target_archE1100ELNS1_3gpuE3ELNS1_3repE0EEENS1_30default_config_static_selectorELNS0_4arch9wavefront6targetE0EEEvS14_.private_seg_size, 0
	.set _ZN7rocprim17ROCPRIM_400000_NS6detail17trampoline_kernelINS0_14default_configENS1_22reduce_config_selectorIN6thrust23THRUST_200600_302600_NS5tupleIblNS6_9null_typeES8_S8_S8_S8_S8_S8_S8_EEEEZNS1_11reduce_implILb1ES3_NS6_12zip_iteratorINS7_INS6_11hip_rocprim26transform_input_iterator_tIbNSD_35transform_pair_of_input_iterators_tIbNS6_6detail15normal_iteratorINS6_10device_ptrIKyEEEESL_NS6_8equal_toIyEEEENSG_9not_fun_tINSD_8identityEEEEENSD_19counting_iterator_tIlEES8_S8_S8_S8_S8_S8_S8_S8_EEEEPS9_S9_NSD_9__find_if7functorIS9_EEEE10hipError_tPvRmT1_T2_T3_mT4_P12ihipStream_tbEUlT_E1_NS1_11comp_targetILNS1_3genE9ELNS1_11target_archE1100ELNS1_3gpuE3ELNS1_3repE0EEENS1_30default_config_static_selectorELNS0_4arch9wavefront6targetE0EEEvS14_.uses_vcc, 0
	.set _ZN7rocprim17ROCPRIM_400000_NS6detail17trampoline_kernelINS0_14default_configENS1_22reduce_config_selectorIN6thrust23THRUST_200600_302600_NS5tupleIblNS6_9null_typeES8_S8_S8_S8_S8_S8_S8_EEEEZNS1_11reduce_implILb1ES3_NS6_12zip_iteratorINS7_INS6_11hip_rocprim26transform_input_iterator_tIbNSD_35transform_pair_of_input_iterators_tIbNS6_6detail15normal_iteratorINS6_10device_ptrIKyEEEESL_NS6_8equal_toIyEEEENSG_9not_fun_tINSD_8identityEEEEENSD_19counting_iterator_tIlEES8_S8_S8_S8_S8_S8_S8_S8_EEEEPS9_S9_NSD_9__find_if7functorIS9_EEEE10hipError_tPvRmT1_T2_T3_mT4_P12ihipStream_tbEUlT_E1_NS1_11comp_targetILNS1_3genE9ELNS1_11target_archE1100ELNS1_3gpuE3ELNS1_3repE0EEENS1_30default_config_static_selectorELNS0_4arch9wavefront6targetE0EEEvS14_.uses_flat_scratch, 0
	.set _ZN7rocprim17ROCPRIM_400000_NS6detail17trampoline_kernelINS0_14default_configENS1_22reduce_config_selectorIN6thrust23THRUST_200600_302600_NS5tupleIblNS6_9null_typeES8_S8_S8_S8_S8_S8_S8_EEEEZNS1_11reduce_implILb1ES3_NS6_12zip_iteratorINS7_INS6_11hip_rocprim26transform_input_iterator_tIbNSD_35transform_pair_of_input_iterators_tIbNS6_6detail15normal_iteratorINS6_10device_ptrIKyEEEESL_NS6_8equal_toIyEEEENSG_9not_fun_tINSD_8identityEEEEENSD_19counting_iterator_tIlEES8_S8_S8_S8_S8_S8_S8_S8_EEEEPS9_S9_NSD_9__find_if7functorIS9_EEEE10hipError_tPvRmT1_T2_T3_mT4_P12ihipStream_tbEUlT_E1_NS1_11comp_targetILNS1_3genE9ELNS1_11target_archE1100ELNS1_3gpuE3ELNS1_3repE0EEENS1_30default_config_static_selectorELNS0_4arch9wavefront6targetE0EEEvS14_.has_dyn_sized_stack, 0
	.set _ZN7rocprim17ROCPRIM_400000_NS6detail17trampoline_kernelINS0_14default_configENS1_22reduce_config_selectorIN6thrust23THRUST_200600_302600_NS5tupleIblNS6_9null_typeES8_S8_S8_S8_S8_S8_S8_EEEEZNS1_11reduce_implILb1ES3_NS6_12zip_iteratorINS7_INS6_11hip_rocprim26transform_input_iterator_tIbNSD_35transform_pair_of_input_iterators_tIbNS6_6detail15normal_iteratorINS6_10device_ptrIKyEEEESL_NS6_8equal_toIyEEEENSG_9not_fun_tINSD_8identityEEEEENSD_19counting_iterator_tIlEES8_S8_S8_S8_S8_S8_S8_S8_EEEEPS9_S9_NSD_9__find_if7functorIS9_EEEE10hipError_tPvRmT1_T2_T3_mT4_P12ihipStream_tbEUlT_E1_NS1_11comp_targetILNS1_3genE9ELNS1_11target_archE1100ELNS1_3gpuE3ELNS1_3repE0EEENS1_30default_config_static_selectorELNS0_4arch9wavefront6targetE0EEEvS14_.has_recursion, 0
	.set _ZN7rocprim17ROCPRIM_400000_NS6detail17trampoline_kernelINS0_14default_configENS1_22reduce_config_selectorIN6thrust23THRUST_200600_302600_NS5tupleIblNS6_9null_typeES8_S8_S8_S8_S8_S8_S8_EEEEZNS1_11reduce_implILb1ES3_NS6_12zip_iteratorINS7_INS6_11hip_rocprim26transform_input_iterator_tIbNSD_35transform_pair_of_input_iterators_tIbNS6_6detail15normal_iteratorINS6_10device_ptrIKyEEEESL_NS6_8equal_toIyEEEENSG_9not_fun_tINSD_8identityEEEEENSD_19counting_iterator_tIlEES8_S8_S8_S8_S8_S8_S8_S8_EEEEPS9_S9_NSD_9__find_if7functorIS9_EEEE10hipError_tPvRmT1_T2_T3_mT4_P12ihipStream_tbEUlT_E1_NS1_11comp_targetILNS1_3genE9ELNS1_11target_archE1100ELNS1_3gpuE3ELNS1_3repE0EEENS1_30default_config_static_selectorELNS0_4arch9wavefront6targetE0EEEvS14_.has_indirect_call, 0
	.section	.AMDGPU.csdata,"",@progbits
; Kernel info:
; codeLenInByte = 0
; TotalNumSgprs: 0
; NumVgprs: 0
; ScratchSize: 0
; MemoryBound: 0
; FloatMode: 240
; IeeeMode: 1
; LDSByteSize: 0 bytes/workgroup (compile time only)
; SGPRBlocks: 0
; VGPRBlocks: 0
; NumSGPRsForWavesPerEU: 1
; NumVGPRsForWavesPerEU: 1
; NamedBarCnt: 0
; Occupancy: 16
; WaveLimiterHint : 0
; COMPUTE_PGM_RSRC2:SCRATCH_EN: 0
; COMPUTE_PGM_RSRC2:USER_SGPR: 2
; COMPUTE_PGM_RSRC2:TRAP_HANDLER: 0
; COMPUTE_PGM_RSRC2:TGID_X_EN: 1
; COMPUTE_PGM_RSRC2:TGID_Y_EN: 0
; COMPUTE_PGM_RSRC2:TGID_Z_EN: 0
; COMPUTE_PGM_RSRC2:TIDIG_COMP_CNT: 0
	.section	.text._ZN7rocprim17ROCPRIM_400000_NS6detail17trampoline_kernelINS0_14default_configENS1_22reduce_config_selectorIN6thrust23THRUST_200600_302600_NS5tupleIblNS6_9null_typeES8_S8_S8_S8_S8_S8_S8_EEEEZNS1_11reduce_implILb1ES3_NS6_12zip_iteratorINS7_INS6_11hip_rocprim26transform_input_iterator_tIbNSD_35transform_pair_of_input_iterators_tIbNS6_6detail15normal_iteratorINS6_10device_ptrIKyEEEESL_NS6_8equal_toIyEEEENSG_9not_fun_tINSD_8identityEEEEENSD_19counting_iterator_tIlEES8_S8_S8_S8_S8_S8_S8_S8_EEEEPS9_S9_NSD_9__find_if7functorIS9_EEEE10hipError_tPvRmT1_T2_T3_mT4_P12ihipStream_tbEUlT_E1_NS1_11comp_targetILNS1_3genE8ELNS1_11target_archE1030ELNS1_3gpuE2ELNS1_3repE0EEENS1_30default_config_static_selectorELNS0_4arch9wavefront6targetE0EEEvS14_,"axG",@progbits,_ZN7rocprim17ROCPRIM_400000_NS6detail17trampoline_kernelINS0_14default_configENS1_22reduce_config_selectorIN6thrust23THRUST_200600_302600_NS5tupleIblNS6_9null_typeES8_S8_S8_S8_S8_S8_S8_EEEEZNS1_11reduce_implILb1ES3_NS6_12zip_iteratorINS7_INS6_11hip_rocprim26transform_input_iterator_tIbNSD_35transform_pair_of_input_iterators_tIbNS6_6detail15normal_iteratorINS6_10device_ptrIKyEEEESL_NS6_8equal_toIyEEEENSG_9not_fun_tINSD_8identityEEEEENSD_19counting_iterator_tIlEES8_S8_S8_S8_S8_S8_S8_S8_EEEEPS9_S9_NSD_9__find_if7functorIS9_EEEE10hipError_tPvRmT1_T2_T3_mT4_P12ihipStream_tbEUlT_E1_NS1_11comp_targetILNS1_3genE8ELNS1_11target_archE1030ELNS1_3gpuE2ELNS1_3repE0EEENS1_30default_config_static_selectorELNS0_4arch9wavefront6targetE0EEEvS14_,comdat
	.protected	_ZN7rocprim17ROCPRIM_400000_NS6detail17trampoline_kernelINS0_14default_configENS1_22reduce_config_selectorIN6thrust23THRUST_200600_302600_NS5tupleIblNS6_9null_typeES8_S8_S8_S8_S8_S8_S8_EEEEZNS1_11reduce_implILb1ES3_NS6_12zip_iteratorINS7_INS6_11hip_rocprim26transform_input_iterator_tIbNSD_35transform_pair_of_input_iterators_tIbNS6_6detail15normal_iteratorINS6_10device_ptrIKyEEEESL_NS6_8equal_toIyEEEENSG_9not_fun_tINSD_8identityEEEEENSD_19counting_iterator_tIlEES8_S8_S8_S8_S8_S8_S8_S8_EEEEPS9_S9_NSD_9__find_if7functorIS9_EEEE10hipError_tPvRmT1_T2_T3_mT4_P12ihipStream_tbEUlT_E1_NS1_11comp_targetILNS1_3genE8ELNS1_11target_archE1030ELNS1_3gpuE2ELNS1_3repE0EEENS1_30default_config_static_selectorELNS0_4arch9wavefront6targetE0EEEvS14_ ; -- Begin function _ZN7rocprim17ROCPRIM_400000_NS6detail17trampoline_kernelINS0_14default_configENS1_22reduce_config_selectorIN6thrust23THRUST_200600_302600_NS5tupleIblNS6_9null_typeES8_S8_S8_S8_S8_S8_S8_EEEEZNS1_11reduce_implILb1ES3_NS6_12zip_iteratorINS7_INS6_11hip_rocprim26transform_input_iterator_tIbNSD_35transform_pair_of_input_iterators_tIbNS6_6detail15normal_iteratorINS6_10device_ptrIKyEEEESL_NS6_8equal_toIyEEEENSG_9not_fun_tINSD_8identityEEEEENSD_19counting_iterator_tIlEES8_S8_S8_S8_S8_S8_S8_S8_EEEEPS9_S9_NSD_9__find_if7functorIS9_EEEE10hipError_tPvRmT1_T2_T3_mT4_P12ihipStream_tbEUlT_E1_NS1_11comp_targetILNS1_3genE8ELNS1_11target_archE1030ELNS1_3gpuE2ELNS1_3repE0EEENS1_30default_config_static_selectorELNS0_4arch9wavefront6targetE0EEEvS14_
	.globl	_ZN7rocprim17ROCPRIM_400000_NS6detail17trampoline_kernelINS0_14default_configENS1_22reduce_config_selectorIN6thrust23THRUST_200600_302600_NS5tupleIblNS6_9null_typeES8_S8_S8_S8_S8_S8_S8_EEEEZNS1_11reduce_implILb1ES3_NS6_12zip_iteratorINS7_INS6_11hip_rocprim26transform_input_iterator_tIbNSD_35transform_pair_of_input_iterators_tIbNS6_6detail15normal_iteratorINS6_10device_ptrIKyEEEESL_NS6_8equal_toIyEEEENSG_9not_fun_tINSD_8identityEEEEENSD_19counting_iterator_tIlEES8_S8_S8_S8_S8_S8_S8_S8_EEEEPS9_S9_NSD_9__find_if7functorIS9_EEEE10hipError_tPvRmT1_T2_T3_mT4_P12ihipStream_tbEUlT_E1_NS1_11comp_targetILNS1_3genE8ELNS1_11target_archE1030ELNS1_3gpuE2ELNS1_3repE0EEENS1_30default_config_static_selectorELNS0_4arch9wavefront6targetE0EEEvS14_
	.p2align	8
	.type	_ZN7rocprim17ROCPRIM_400000_NS6detail17trampoline_kernelINS0_14default_configENS1_22reduce_config_selectorIN6thrust23THRUST_200600_302600_NS5tupleIblNS6_9null_typeES8_S8_S8_S8_S8_S8_S8_EEEEZNS1_11reduce_implILb1ES3_NS6_12zip_iteratorINS7_INS6_11hip_rocprim26transform_input_iterator_tIbNSD_35transform_pair_of_input_iterators_tIbNS6_6detail15normal_iteratorINS6_10device_ptrIKyEEEESL_NS6_8equal_toIyEEEENSG_9not_fun_tINSD_8identityEEEEENSD_19counting_iterator_tIlEES8_S8_S8_S8_S8_S8_S8_S8_EEEEPS9_S9_NSD_9__find_if7functorIS9_EEEE10hipError_tPvRmT1_T2_T3_mT4_P12ihipStream_tbEUlT_E1_NS1_11comp_targetILNS1_3genE8ELNS1_11target_archE1030ELNS1_3gpuE2ELNS1_3repE0EEENS1_30default_config_static_selectorELNS0_4arch9wavefront6targetE0EEEvS14_,@function
_ZN7rocprim17ROCPRIM_400000_NS6detail17trampoline_kernelINS0_14default_configENS1_22reduce_config_selectorIN6thrust23THRUST_200600_302600_NS5tupleIblNS6_9null_typeES8_S8_S8_S8_S8_S8_S8_EEEEZNS1_11reduce_implILb1ES3_NS6_12zip_iteratorINS7_INS6_11hip_rocprim26transform_input_iterator_tIbNSD_35transform_pair_of_input_iterators_tIbNS6_6detail15normal_iteratorINS6_10device_ptrIKyEEEESL_NS6_8equal_toIyEEEENSG_9not_fun_tINSD_8identityEEEEENSD_19counting_iterator_tIlEES8_S8_S8_S8_S8_S8_S8_S8_EEEEPS9_S9_NSD_9__find_if7functorIS9_EEEE10hipError_tPvRmT1_T2_T3_mT4_P12ihipStream_tbEUlT_E1_NS1_11comp_targetILNS1_3genE8ELNS1_11target_archE1030ELNS1_3gpuE2ELNS1_3repE0EEENS1_30default_config_static_selectorELNS0_4arch9wavefront6targetE0EEEvS14_: ; @_ZN7rocprim17ROCPRIM_400000_NS6detail17trampoline_kernelINS0_14default_configENS1_22reduce_config_selectorIN6thrust23THRUST_200600_302600_NS5tupleIblNS6_9null_typeES8_S8_S8_S8_S8_S8_S8_EEEEZNS1_11reduce_implILb1ES3_NS6_12zip_iteratorINS7_INS6_11hip_rocprim26transform_input_iterator_tIbNSD_35transform_pair_of_input_iterators_tIbNS6_6detail15normal_iteratorINS6_10device_ptrIKyEEEESL_NS6_8equal_toIyEEEENSG_9not_fun_tINSD_8identityEEEEENSD_19counting_iterator_tIlEES8_S8_S8_S8_S8_S8_S8_S8_EEEEPS9_S9_NSD_9__find_if7functorIS9_EEEE10hipError_tPvRmT1_T2_T3_mT4_P12ihipStream_tbEUlT_E1_NS1_11comp_targetILNS1_3genE8ELNS1_11target_archE1030ELNS1_3gpuE2ELNS1_3repE0EEENS1_30default_config_static_selectorELNS0_4arch9wavefront6targetE0EEEvS14_
; %bb.0:
	.section	.rodata,"a",@progbits
	.p2align	6, 0x0
	.amdhsa_kernel _ZN7rocprim17ROCPRIM_400000_NS6detail17trampoline_kernelINS0_14default_configENS1_22reduce_config_selectorIN6thrust23THRUST_200600_302600_NS5tupleIblNS6_9null_typeES8_S8_S8_S8_S8_S8_S8_EEEEZNS1_11reduce_implILb1ES3_NS6_12zip_iteratorINS7_INS6_11hip_rocprim26transform_input_iterator_tIbNSD_35transform_pair_of_input_iterators_tIbNS6_6detail15normal_iteratorINS6_10device_ptrIKyEEEESL_NS6_8equal_toIyEEEENSG_9not_fun_tINSD_8identityEEEEENSD_19counting_iterator_tIlEES8_S8_S8_S8_S8_S8_S8_S8_EEEEPS9_S9_NSD_9__find_if7functorIS9_EEEE10hipError_tPvRmT1_T2_T3_mT4_P12ihipStream_tbEUlT_E1_NS1_11comp_targetILNS1_3genE8ELNS1_11target_archE1030ELNS1_3gpuE2ELNS1_3repE0EEENS1_30default_config_static_selectorELNS0_4arch9wavefront6targetE0EEEvS14_
		.amdhsa_group_segment_fixed_size 0
		.amdhsa_private_segment_fixed_size 0
		.amdhsa_kernarg_size 88
		.amdhsa_user_sgpr_count 2
		.amdhsa_user_sgpr_dispatch_ptr 0
		.amdhsa_user_sgpr_queue_ptr 0
		.amdhsa_user_sgpr_kernarg_segment_ptr 1
		.amdhsa_user_sgpr_dispatch_id 0
		.amdhsa_user_sgpr_kernarg_preload_length 0
		.amdhsa_user_sgpr_kernarg_preload_offset 0
		.amdhsa_user_sgpr_private_segment_size 0
		.amdhsa_wavefront_size32 1
		.amdhsa_uses_dynamic_stack 0
		.amdhsa_enable_private_segment 0
		.amdhsa_system_sgpr_workgroup_id_x 1
		.amdhsa_system_sgpr_workgroup_id_y 0
		.amdhsa_system_sgpr_workgroup_id_z 0
		.amdhsa_system_sgpr_workgroup_info 0
		.amdhsa_system_vgpr_workitem_id 0
		.amdhsa_next_free_vgpr 1
		.amdhsa_next_free_sgpr 1
		.amdhsa_named_barrier_count 0
		.amdhsa_reserve_vcc 0
		.amdhsa_float_round_mode_32 0
		.amdhsa_float_round_mode_16_64 0
		.amdhsa_float_denorm_mode_32 3
		.amdhsa_float_denorm_mode_16_64 3
		.amdhsa_fp16_overflow 0
		.amdhsa_memory_ordered 1
		.amdhsa_forward_progress 1
		.amdhsa_inst_pref_size 0
		.amdhsa_round_robin_scheduling 0
		.amdhsa_exception_fp_ieee_invalid_op 0
		.amdhsa_exception_fp_denorm_src 0
		.amdhsa_exception_fp_ieee_div_zero 0
		.amdhsa_exception_fp_ieee_overflow 0
		.amdhsa_exception_fp_ieee_underflow 0
		.amdhsa_exception_fp_ieee_inexact 0
		.amdhsa_exception_int_div_zero 0
	.end_amdhsa_kernel
	.section	.text._ZN7rocprim17ROCPRIM_400000_NS6detail17trampoline_kernelINS0_14default_configENS1_22reduce_config_selectorIN6thrust23THRUST_200600_302600_NS5tupleIblNS6_9null_typeES8_S8_S8_S8_S8_S8_S8_EEEEZNS1_11reduce_implILb1ES3_NS6_12zip_iteratorINS7_INS6_11hip_rocprim26transform_input_iterator_tIbNSD_35transform_pair_of_input_iterators_tIbNS6_6detail15normal_iteratorINS6_10device_ptrIKyEEEESL_NS6_8equal_toIyEEEENSG_9not_fun_tINSD_8identityEEEEENSD_19counting_iterator_tIlEES8_S8_S8_S8_S8_S8_S8_S8_EEEEPS9_S9_NSD_9__find_if7functorIS9_EEEE10hipError_tPvRmT1_T2_T3_mT4_P12ihipStream_tbEUlT_E1_NS1_11comp_targetILNS1_3genE8ELNS1_11target_archE1030ELNS1_3gpuE2ELNS1_3repE0EEENS1_30default_config_static_selectorELNS0_4arch9wavefront6targetE0EEEvS14_,"axG",@progbits,_ZN7rocprim17ROCPRIM_400000_NS6detail17trampoline_kernelINS0_14default_configENS1_22reduce_config_selectorIN6thrust23THRUST_200600_302600_NS5tupleIblNS6_9null_typeES8_S8_S8_S8_S8_S8_S8_EEEEZNS1_11reduce_implILb1ES3_NS6_12zip_iteratorINS7_INS6_11hip_rocprim26transform_input_iterator_tIbNSD_35transform_pair_of_input_iterators_tIbNS6_6detail15normal_iteratorINS6_10device_ptrIKyEEEESL_NS6_8equal_toIyEEEENSG_9not_fun_tINSD_8identityEEEEENSD_19counting_iterator_tIlEES8_S8_S8_S8_S8_S8_S8_S8_EEEEPS9_S9_NSD_9__find_if7functorIS9_EEEE10hipError_tPvRmT1_T2_T3_mT4_P12ihipStream_tbEUlT_E1_NS1_11comp_targetILNS1_3genE8ELNS1_11target_archE1030ELNS1_3gpuE2ELNS1_3repE0EEENS1_30default_config_static_selectorELNS0_4arch9wavefront6targetE0EEEvS14_,comdat
.Lfunc_end131:
	.size	_ZN7rocprim17ROCPRIM_400000_NS6detail17trampoline_kernelINS0_14default_configENS1_22reduce_config_selectorIN6thrust23THRUST_200600_302600_NS5tupleIblNS6_9null_typeES8_S8_S8_S8_S8_S8_S8_EEEEZNS1_11reduce_implILb1ES3_NS6_12zip_iteratorINS7_INS6_11hip_rocprim26transform_input_iterator_tIbNSD_35transform_pair_of_input_iterators_tIbNS6_6detail15normal_iteratorINS6_10device_ptrIKyEEEESL_NS6_8equal_toIyEEEENSG_9not_fun_tINSD_8identityEEEEENSD_19counting_iterator_tIlEES8_S8_S8_S8_S8_S8_S8_S8_EEEEPS9_S9_NSD_9__find_if7functorIS9_EEEE10hipError_tPvRmT1_T2_T3_mT4_P12ihipStream_tbEUlT_E1_NS1_11comp_targetILNS1_3genE8ELNS1_11target_archE1030ELNS1_3gpuE2ELNS1_3repE0EEENS1_30default_config_static_selectorELNS0_4arch9wavefront6targetE0EEEvS14_, .Lfunc_end131-_ZN7rocprim17ROCPRIM_400000_NS6detail17trampoline_kernelINS0_14default_configENS1_22reduce_config_selectorIN6thrust23THRUST_200600_302600_NS5tupleIblNS6_9null_typeES8_S8_S8_S8_S8_S8_S8_EEEEZNS1_11reduce_implILb1ES3_NS6_12zip_iteratorINS7_INS6_11hip_rocprim26transform_input_iterator_tIbNSD_35transform_pair_of_input_iterators_tIbNS6_6detail15normal_iteratorINS6_10device_ptrIKyEEEESL_NS6_8equal_toIyEEEENSG_9not_fun_tINSD_8identityEEEEENSD_19counting_iterator_tIlEES8_S8_S8_S8_S8_S8_S8_S8_EEEEPS9_S9_NSD_9__find_if7functorIS9_EEEE10hipError_tPvRmT1_T2_T3_mT4_P12ihipStream_tbEUlT_E1_NS1_11comp_targetILNS1_3genE8ELNS1_11target_archE1030ELNS1_3gpuE2ELNS1_3repE0EEENS1_30default_config_static_selectorELNS0_4arch9wavefront6targetE0EEEvS14_
                                        ; -- End function
	.set _ZN7rocprim17ROCPRIM_400000_NS6detail17trampoline_kernelINS0_14default_configENS1_22reduce_config_selectorIN6thrust23THRUST_200600_302600_NS5tupleIblNS6_9null_typeES8_S8_S8_S8_S8_S8_S8_EEEEZNS1_11reduce_implILb1ES3_NS6_12zip_iteratorINS7_INS6_11hip_rocprim26transform_input_iterator_tIbNSD_35transform_pair_of_input_iterators_tIbNS6_6detail15normal_iteratorINS6_10device_ptrIKyEEEESL_NS6_8equal_toIyEEEENSG_9not_fun_tINSD_8identityEEEEENSD_19counting_iterator_tIlEES8_S8_S8_S8_S8_S8_S8_S8_EEEEPS9_S9_NSD_9__find_if7functorIS9_EEEE10hipError_tPvRmT1_T2_T3_mT4_P12ihipStream_tbEUlT_E1_NS1_11comp_targetILNS1_3genE8ELNS1_11target_archE1030ELNS1_3gpuE2ELNS1_3repE0EEENS1_30default_config_static_selectorELNS0_4arch9wavefront6targetE0EEEvS14_.num_vgpr, 0
	.set _ZN7rocprim17ROCPRIM_400000_NS6detail17trampoline_kernelINS0_14default_configENS1_22reduce_config_selectorIN6thrust23THRUST_200600_302600_NS5tupleIblNS6_9null_typeES8_S8_S8_S8_S8_S8_S8_EEEEZNS1_11reduce_implILb1ES3_NS6_12zip_iteratorINS7_INS6_11hip_rocprim26transform_input_iterator_tIbNSD_35transform_pair_of_input_iterators_tIbNS6_6detail15normal_iteratorINS6_10device_ptrIKyEEEESL_NS6_8equal_toIyEEEENSG_9not_fun_tINSD_8identityEEEEENSD_19counting_iterator_tIlEES8_S8_S8_S8_S8_S8_S8_S8_EEEEPS9_S9_NSD_9__find_if7functorIS9_EEEE10hipError_tPvRmT1_T2_T3_mT4_P12ihipStream_tbEUlT_E1_NS1_11comp_targetILNS1_3genE8ELNS1_11target_archE1030ELNS1_3gpuE2ELNS1_3repE0EEENS1_30default_config_static_selectorELNS0_4arch9wavefront6targetE0EEEvS14_.num_agpr, 0
	.set _ZN7rocprim17ROCPRIM_400000_NS6detail17trampoline_kernelINS0_14default_configENS1_22reduce_config_selectorIN6thrust23THRUST_200600_302600_NS5tupleIblNS6_9null_typeES8_S8_S8_S8_S8_S8_S8_EEEEZNS1_11reduce_implILb1ES3_NS6_12zip_iteratorINS7_INS6_11hip_rocprim26transform_input_iterator_tIbNSD_35transform_pair_of_input_iterators_tIbNS6_6detail15normal_iteratorINS6_10device_ptrIKyEEEESL_NS6_8equal_toIyEEEENSG_9not_fun_tINSD_8identityEEEEENSD_19counting_iterator_tIlEES8_S8_S8_S8_S8_S8_S8_S8_EEEEPS9_S9_NSD_9__find_if7functorIS9_EEEE10hipError_tPvRmT1_T2_T3_mT4_P12ihipStream_tbEUlT_E1_NS1_11comp_targetILNS1_3genE8ELNS1_11target_archE1030ELNS1_3gpuE2ELNS1_3repE0EEENS1_30default_config_static_selectorELNS0_4arch9wavefront6targetE0EEEvS14_.numbered_sgpr, 0
	.set _ZN7rocprim17ROCPRIM_400000_NS6detail17trampoline_kernelINS0_14default_configENS1_22reduce_config_selectorIN6thrust23THRUST_200600_302600_NS5tupleIblNS6_9null_typeES8_S8_S8_S8_S8_S8_S8_EEEEZNS1_11reduce_implILb1ES3_NS6_12zip_iteratorINS7_INS6_11hip_rocprim26transform_input_iterator_tIbNSD_35transform_pair_of_input_iterators_tIbNS6_6detail15normal_iteratorINS6_10device_ptrIKyEEEESL_NS6_8equal_toIyEEEENSG_9not_fun_tINSD_8identityEEEEENSD_19counting_iterator_tIlEES8_S8_S8_S8_S8_S8_S8_S8_EEEEPS9_S9_NSD_9__find_if7functorIS9_EEEE10hipError_tPvRmT1_T2_T3_mT4_P12ihipStream_tbEUlT_E1_NS1_11comp_targetILNS1_3genE8ELNS1_11target_archE1030ELNS1_3gpuE2ELNS1_3repE0EEENS1_30default_config_static_selectorELNS0_4arch9wavefront6targetE0EEEvS14_.num_named_barrier, 0
	.set _ZN7rocprim17ROCPRIM_400000_NS6detail17trampoline_kernelINS0_14default_configENS1_22reduce_config_selectorIN6thrust23THRUST_200600_302600_NS5tupleIblNS6_9null_typeES8_S8_S8_S8_S8_S8_S8_EEEEZNS1_11reduce_implILb1ES3_NS6_12zip_iteratorINS7_INS6_11hip_rocprim26transform_input_iterator_tIbNSD_35transform_pair_of_input_iterators_tIbNS6_6detail15normal_iteratorINS6_10device_ptrIKyEEEESL_NS6_8equal_toIyEEEENSG_9not_fun_tINSD_8identityEEEEENSD_19counting_iterator_tIlEES8_S8_S8_S8_S8_S8_S8_S8_EEEEPS9_S9_NSD_9__find_if7functorIS9_EEEE10hipError_tPvRmT1_T2_T3_mT4_P12ihipStream_tbEUlT_E1_NS1_11comp_targetILNS1_3genE8ELNS1_11target_archE1030ELNS1_3gpuE2ELNS1_3repE0EEENS1_30default_config_static_selectorELNS0_4arch9wavefront6targetE0EEEvS14_.private_seg_size, 0
	.set _ZN7rocprim17ROCPRIM_400000_NS6detail17trampoline_kernelINS0_14default_configENS1_22reduce_config_selectorIN6thrust23THRUST_200600_302600_NS5tupleIblNS6_9null_typeES8_S8_S8_S8_S8_S8_S8_EEEEZNS1_11reduce_implILb1ES3_NS6_12zip_iteratorINS7_INS6_11hip_rocprim26transform_input_iterator_tIbNSD_35transform_pair_of_input_iterators_tIbNS6_6detail15normal_iteratorINS6_10device_ptrIKyEEEESL_NS6_8equal_toIyEEEENSG_9not_fun_tINSD_8identityEEEEENSD_19counting_iterator_tIlEES8_S8_S8_S8_S8_S8_S8_S8_EEEEPS9_S9_NSD_9__find_if7functorIS9_EEEE10hipError_tPvRmT1_T2_T3_mT4_P12ihipStream_tbEUlT_E1_NS1_11comp_targetILNS1_3genE8ELNS1_11target_archE1030ELNS1_3gpuE2ELNS1_3repE0EEENS1_30default_config_static_selectorELNS0_4arch9wavefront6targetE0EEEvS14_.uses_vcc, 0
	.set _ZN7rocprim17ROCPRIM_400000_NS6detail17trampoline_kernelINS0_14default_configENS1_22reduce_config_selectorIN6thrust23THRUST_200600_302600_NS5tupleIblNS6_9null_typeES8_S8_S8_S8_S8_S8_S8_EEEEZNS1_11reduce_implILb1ES3_NS6_12zip_iteratorINS7_INS6_11hip_rocprim26transform_input_iterator_tIbNSD_35transform_pair_of_input_iterators_tIbNS6_6detail15normal_iteratorINS6_10device_ptrIKyEEEESL_NS6_8equal_toIyEEEENSG_9not_fun_tINSD_8identityEEEEENSD_19counting_iterator_tIlEES8_S8_S8_S8_S8_S8_S8_S8_EEEEPS9_S9_NSD_9__find_if7functorIS9_EEEE10hipError_tPvRmT1_T2_T3_mT4_P12ihipStream_tbEUlT_E1_NS1_11comp_targetILNS1_3genE8ELNS1_11target_archE1030ELNS1_3gpuE2ELNS1_3repE0EEENS1_30default_config_static_selectorELNS0_4arch9wavefront6targetE0EEEvS14_.uses_flat_scratch, 0
	.set _ZN7rocprim17ROCPRIM_400000_NS6detail17trampoline_kernelINS0_14default_configENS1_22reduce_config_selectorIN6thrust23THRUST_200600_302600_NS5tupleIblNS6_9null_typeES8_S8_S8_S8_S8_S8_S8_EEEEZNS1_11reduce_implILb1ES3_NS6_12zip_iteratorINS7_INS6_11hip_rocprim26transform_input_iterator_tIbNSD_35transform_pair_of_input_iterators_tIbNS6_6detail15normal_iteratorINS6_10device_ptrIKyEEEESL_NS6_8equal_toIyEEEENSG_9not_fun_tINSD_8identityEEEEENSD_19counting_iterator_tIlEES8_S8_S8_S8_S8_S8_S8_S8_EEEEPS9_S9_NSD_9__find_if7functorIS9_EEEE10hipError_tPvRmT1_T2_T3_mT4_P12ihipStream_tbEUlT_E1_NS1_11comp_targetILNS1_3genE8ELNS1_11target_archE1030ELNS1_3gpuE2ELNS1_3repE0EEENS1_30default_config_static_selectorELNS0_4arch9wavefront6targetE0EEEvS14_.has_dyn_sized_stack, 0
	.set _ZN7rocprim17ROCPRIM_400000_NS6detail17trampoline_kernelINS0_14default_configENS1_22reduce_config_selectorIN6thrust23THRUST_200600_302600_NS5tupleIblNS6_9null_typeES8_S8_S8_S8_S8_S8_S8_EEEEZNS1_11reduce_implILb1ES3_NS6_12zip_iteratorINS7_INS6_11hip_rocprim26transform_input_iterator_tIbNSD_35transform_pair_of_input_iterators_tIbNS6_6detail15normal_iteratorINS6_10device_ptrIKyEEEESL_NS6_8equal_toIyEEEENSG_9not_fun_tINSD_8identityEEEEENSD_19counting_iterator_tIlEES8_S8_S8_S8_S8_S8_S8_S8_EEEEPS9_S9_NSD_9__find_if7functorIS9_EEEE10hipError_tPvRmT1_T2_T3_mT4_P12ihipStream_tbEUlT_E1_NS1_11comp_targetILNS1_3genE8ELNS1_11target_archE1030ELNS1_3gpuE2ELNS1_3repE0EEENS1_30default_config_static_selectorELNS0_4arch9wavefront6targetE0EEEvS14_.has_recursion, 0
	.set _ZN7rocprim17ROCPRIM_400000_NS6detail17trampoline_kernelINS0_14default_configENS1_22reduce_config_selectorIN6thrust23THRUST_200600_302600_NS5tupleIblNS6_9null_typeES8_S8_S8_S8_S8_S8_S8_EEEEZNS1_11reduce_implILb1ES3_NS6_12zip_iteratorINS7_INS6_11hip_rocprim26transform_input_iterator_tIbNSD_35transform_pair_of_input_iterators_tIbNS6_6detail15normal_iteratorINS6_10device_ptrIKyEEEESL_NS6_8equal_toIyEEEENSG_9not_fun_tINSD_8identityEEEEENSD_19counting_iterator_tIlEES8_S8_S8_S8_S8_S8_S8_S8_EEEEPS9_S9_NSD_9__find_if7functorIS9_EEEE10hipError_tPvRmT1_T2_T3_mT4_P12ihipStream_tbEUlT_E1_NS1_11comp_targetILNS1_3genE8ELNS1_11target_archE1030ELNS1_3gpuE2ELNS1_3repE0EEENS1_30default_config_static_selectorELNS0_4arch9wavefront6targetE0EEEvS14_.has_indirect_call, 0
	.section	.AMDGPU.csdata,"",@progbits
; Kernel info:
; codeLenInByte = 0
; TotalNumSgprs: 0
; NumVgprs: 0
; ScratchSize: 0
; MemoryBound: 0
; FloatMode: 240
; IeeeMode: 1
; LDSByteSize: 0 bytes/workgroup (compile time only)
; SGPRBlocks: 0
; VGPRBlocks: 0
; NumSGPRsForWavesPerEU: 1
; NumVGPRsForWavesPerEU: 1
; NamedBarCnt: 0
; Occupancy: 16
; WaveLimiterHint : 0
; COMPUTE_PGM_RSRC2:SCRATCH_EN: 0
; COMPUTE_PGM_RSRC2:USER_SGPR: 2
; COMPUTE_PGM_RSRC2:TRAP_HANDLER: 0
; COMPUTE_PGM_RSRC2:TGID_X_EN: 1
; COMPUTE_PGM_RSRC2:TGID_Y_EN: 0
; COMPUTE_PGM_RSRC2:TGID_Z_EN: 0
; COMPUTE_PGM_RSRC2:TIDIG_COMP_CNT: 0
	.section	.text._ZN6thrust23THRUST_200600_302600_NS11hip_rocprim14__parallel_for6kernelILj256ENS1_20__uninitialized_fill7functorINS0_10device_ptrIjEEjEEmLj1EEEvT0_T1_SA_,"axG",@progbits,_ZN6thrust23THRUST_200600_302600_NS11hip_rocprim14__parallel_for6kernelILj256ENS1_20__uninitialized_fill7functorINS0_10device_ptrIjEEjEEmLj1EEEvT0_T1_SA_,comdat
	.protected	_ZN6thrust23THRUST_200600_302600_NS11hip_rocprim14__parallel_for6kernelILj256ENS1_20__uninitialized_fill7functorINS0_10device_ptrIjEEjEEmLj1EEEvT0_T1_SA_ ; -- Begin function _ZN6thrust23THRUST_200600_302600_NS11hip_rocprim14__parallel_for6kernelILj256ENS1_20__uninitialized_fill7functorINS0_10device_ptrIjEEjEEmLj1EEEvT0_T1_SA_
	.globl	_ZN6thrust23THRUST_200600_302600_NS11hip_rocprim14__parallel_for6kernelILj256ENS1_20__uninitialized_fill7functorINS0_10device_ptrIjEEjEEmLj1EEEvT0_T1_SA_
	.p2align	8
	.type	_ZN6thrust23THRUST_200600_302600_NS11hip_rocprim14__parallel_for6kernelILj256ENS1_20__uninitialized_fill7functorINS0_10device_ptrIjEEjEEmLj1EEEvT0_T1_SA_,@function
_ZN6thrust23THRUST_200600_302600_NS11hip_rocprim14__parallel_for6kernelILj256ENS1_20__uninitialized_fill7functorINS0_10device_ptrIjEEjEEmLj1EEEvT0_T1_SA_: ; @_ZN6thrust23THRUST_200600_302600_NS11hip_rocprim14__parallel_for6kernelILj256ENS1_20__uninitialized_fill7functorINS0_10device_ptrIjEEjEEmLj1EEEvT0_T1_SA_
; %bb.0:
	s_load_b128 s[8:11], s[0:1], 0x10
	s_bfe_u32 s2, ttmp6, 0x4000c
	s_and_b32 s3, ttmp6, 15
	s_add_co_i32 s2, s2, 1
	s_getreg_b32 s4, hwreg(HW_REG_IB_STS2, 6, 4)
	s_mul_i32 s2, ttmp9, s2
	s_delay_alu instid0(SALU_CYCLE_1)
	s_add_co_i32 s3, s3, s2
	s_cmp_eq_u32 s4, 0
	s_load_b96 s[4:6], s[0:1], 0x0
	s_wait_xcnt 0x0
	s_cselect_b32 s0, ttmp9, s3
	s_mov_b32 s1, 0
	s_lshl_b32 s0, s0, 8
	s_wait_kmcnt 0x0
	s_add_nc_u64 s[0:1], s[10:11], s[0:1]
	s_delay_alu instid0(SALU_CYCLE_1) | instskip(NEXT) | instid1(SALU_CYCLE_1)
	s_sub_nc_u64 s[2:3], s[8:9], s[0:1]
	v_cmp_lt_u64_e64 s3, 0xff, s[2:3]
	s_and_b32 vcc_lo, exec_lo, s3
	s_mov_b32 s3, -1
	s_cbranch_vccz .LBB132_3
; %bb.1:
	s_and_not1_b32 vcc_lo, exec_lo, s3
	s_cbranch_vccz .LBB132_6
.LBB132_2:
	s_endpgm
.LBB132_3:
	v_cmp_gt_u32_e32 vcc_lo, s2, v0
	s_and_saveexec_b32 s2, vcc_lo
	s_cbranch_execz .LBB132_5
; %bb.4:
	v_mov_b32_e32 v1, s6
	s_lshl_b64 s[8:9], s[0:1], 2
	s_delay_alu instid0(SALU_CYCLE_1)
	s_add_nc_u64 s[8:9], s[4:5], s[8:9]
	flat_store_b32 v0, v1, s[8:9] scale_offset
.LBB132_5:
	s_wait_xcnt 0x0
	s_or_b32 exec_lo, exec_lo, s2
	s_cbranch_execnz .LBB132_2
.LBB132_6:
	v_mov_b32_e32 v1, s6
	s_lshl_b64 s[0:1], s[0:1], 2
	s_delay_alu instid0(SALU_CYCLE_1)
	s_add_nc_u64 s[0:1], s[4:5], s[0:1]
	flat_store_b32 v0, v1, s[0:1] scale_offset
	s_endpgm
	.section	.rodata,"a",@progbits
	.p2align	6, 0x0
	.amdhsa_kernel _ZN6thrust23THRUST_200600_302600_NS11hip_rocprim14__parallel_for6kernelILj256ENS1_20__uninitialized_fill7functorINS0_10device_ptrIjEEjEEmLj1EEEvT0_T1_SA_
		.amdhsa_group_segment_fixed_size 0
		.amdhsa_private_segment_fixed_size 0
		.amdhsa_kernarg_size 32
		.amdhsa_user_sgpr_count 2
		.amdhsa_user_sgpr_dispatch_ptr 0
		.amdhsa_user_sgpr_queue_ptr 0
		.amdhsa_user_sgpr_kernarg_segment_ptr 1
		.amdhsa_user_sgpr_dispatch_id 0
		.amdhsa_user_sgpr_kernarg_preload_length 0
		.amdhsa_user_sgpr_kernarg_preload_offset 0
		.amdhsa_user_sgpr_private_segment_size 0
		.amdhsa_wavefront_size32 1
		.amdhsa_uses_dynamic_stack 0
		.amdhsa_enable_private_segment 0
		.amdhsa_system_sgpr_workgroup_id_x 1
		.amdhsa_system_sgpr_workgroup_id_y 0
		.amdhsa_system_sgpr_workgroup_id_z 0
		.amdhsa_system_sgpr_workgroup_info 0
		.amdhsa_system_vgpr_workitem_id 0
		.amdhsa_next_free_vgpr 2
		.amdhsa_next_free_sgpr 12
		.amdhsa_named_barrier_count 0
		.amdhsa_reserve_vcc 1
		.amdhsa_float_round_mode_32 0
		.amdhsa_float_round_mode_16_64 0
		.amdhsa_float_denorm_mode_32 3
		.amdhsa_float_denorm_mode_16_64 3
		.amdhsa_fp16_overflow 0
		.amdhsa_memory_ordered 1
		.amdhsa_forward_progress 1
		.amdhsa_inst_pref_size 2
		.amdhsa_round_robin_scheduling 0
		.amdhsa_exception_fp_ieee_invalid_op 0
		.amdhsa_exception_fp_denorm_src 0
		.amdhsa_exception_fp_ieee_div_zero 0
		.amdhsa_exception_fp_ieee_overflow 0
		.amdhsa_exception_fp_ieee_underflow 0
		.amdhsa_exception_fp_ieee_inexact 0
		.amdhsa_exception_int_div_zero 0
	.end_amdhsa_kernel
	.section	.text._ZN6thrust23THRUST_200600_302600_NS11hip_rocprim14__parallel_for6kernelILj256ENS1_20__uninitialized_fill7functorINS0_10device_ptrIjEEjEEmLj1EEEvT0_T1_SA_,"axG",@progbits,_ZN6thrust23THRUST_200600_302600_NS11hip_rocprim14__parallel_for6kernelILj256ENS1_20__uninitialized_fill7functorINS0_10device_ptrIjEEjEEmLj1EEEvT0_T1_SA_,comdat
.Lfunc_end132:
	.size	_ZN6thrust23THRUST_200600_302600_NS11hip_rocprim14__parallel_for6kernelILj256ENS1_20__uninitialized_fill7functorINS0_10device_ptrIjEEjEEmLj1EEEvT0_T1_SA_, .Lfunc_end132-_ZN6thrust23THRUST_200600_302600_NS11hip_rocprim14__parallel_for6kernelILj256ENS1_20__uninitialized_fill7functorINS0_10device_ptrIjEEjEEmLj1EEEvT0_T1_SA_
                                        ; -- End function
	.set _ZN6thrust23THRUST_200600_302600_NS11hip_rocprim14__parallel_for6kernelILj256ENS1_20__uninitialized_fill7functorINS0_10device_ptrIjEEjEEmLj1EEEvT0_T1_SA_.num_vgpr, 2
	.set _ZN6thrust23THRUST_200600_302600_NS11hip_rocprim14__parallel_for6kernelILj256ENS1_20__uninitialized_fill7functorINS0_10device_ptrIjEEjEEmLj1EEEvT0_T1_SA_.num_agpr, 0
	.set _ZN6thrust23THRUST_200600_302600_NS11hip_rocprim14__parallel_for6kernelILj256ENS1_20__uninitialized_fill7functorINS0_10device_ptrIjEEjEEmLj1EEEvT0_T1_SA_.numbered_sgpr, 12
	.set _ZN6thrust23THRUST_200600_302600_NS11hip_rocprim14__parallel_for6kernelILj256ENS1_20__uninitialized_fill7functorINS0_10device_ptrIjEEjEEmLj1EEEvT0_T1_SA_.num_named_barrier, 0
	.set _ZN6thrust23THRUST_200600_302600_NS11hip_rocprim14__parallel_for6kernelILj256ENS1_20__uninitialized_fill7functorINS0_10device_ptrIjEEjEEmLj1EEEvT0_T1_SA_.private_seg_size, 0
	.set _ZN6thrust23THRUST_200600_302600_NS11hip_rocprim14__parallel_for6kernelILj256ENS1_20__uninitialized_fill7functorINS0_10device_ptrIjEEjEEmLj1EEEvT0_T1_SA_.uses_vcc, 1
	.set _ZN6thrust23THRUST_200600_302600_NS11hip_rocprim14__parallel_for6kernelILj256ENS1_20__uninitialized_fill7functorINS0_10device_ptrIjEEjEEmLj1EEEvT0_T1_SA_.uses_flat_scratch, 0
	.set _ZN6thrust23THRUST_200600_302600_NS11hip_rocprim14__parallel_for6kernelILj256ENS1_20__uninitialized_fill7functorINS0_10device_ptrIjEEjEEmLj1EEEvT0_T1_SA_.has_dyn_sized_stack, 0
	.set _ZN6thrust23THRUST_200600_302600_NS11hip_rocprim14__parallel_for6kernelILj256ENS1_20__uninitialized_fill7functorINS0_10device_ptrIjEEjEEmLj1EEEvT0_T1_SA_.has_recursion, 0
	.set _ZN6thrust23THRUST_200600_302600_NS11hip_rocprim14__parallel_for6kernelILj256ENS1_20__uninitialized_fill7functorINS0_10device_ptrIjEEjEEmLj1EEEvT0_T1_SA_.has_indirect_call, 0
	.section	.AMDGPU.csdata,"",@progbits
; Kernel info:
; codeLenInByte = 204
; TotalNumSgprs: 14
; NumVgprs: 2
; ScratchSize: 0
; MemoryBound: 0
; FloatMode: 240
; IeeeMode: 1
; LDSByteSize: 0 bytes/workgroup (compile time only)
; SGPRBlocks: 0
; VGPRBlocks: 0
; NumSGPRsForWavesPerEU: 14
; NumVGPRsForWavesPerEU: 2
; NamedBarCnt: 0
; Occupancy: 16
; WaveLimiterHint : 0
; COMPUTE_PGM_RSRC2:SCRATCH_EN: 0
; COMPUTE_PGM_RSRC2:USER_SGPR: 2
; COMPUTE_PGM_RSRC2:TRAP_HANDLER: 0
; COMPUTE_PGM_RSRC2:TGID_X_EN: 1
; COMPUTE_PGM_RSRC2:TGID_Y_EN: 0
; COMPUTE_PGM_RSRC2:TGID_Z_EN: 0
; COMPUTE_PGM_RSRC2:TIDIG_COMP_CNT: 0
	.section	.text._ZN7rocprim17ROCPRIM_400000_NS6detail17trampoline_kernelINS0_14default_configENS1_21merge_config_selectorINS0_5tupleIJjjEEENS0_10empty_typeEEEZNS1_10merge_implIS3_NS0_12zip_iteratorINS5_IJN6thrust23THRUST_200600_302600_NS6detail15normal_iteratorINSC_10device_ptrIKjEEEESI_EEEEESK_NSA_INS5_IJNSE_INSF_IjEEEESM_EEEEEPS7_SP_SP_NSC_11hip_rocprim7__merge17predicate_wrapperIjjNSC_4lessIjEEEEEE10hipError_tPvRmT0_T1_T2_T3_T4_T5_mmT6_P12ihipStream_tbEUlT_E_NS1_11comp_targetILNS1_3genE0ELNS1_11target_archE4294967295ELNS1_3gpuE0ELNS1_3repE0EEENS1_30default_config_static_selectorELNS0_4arch9wavefront6targetE0EEEvS10_,"axG",@progbits,_ZN7rocprim17ROCPRIM_400000_NS6detail17trampoline_kernelINS0_14default_configENS1_21merge_config_selectorINS0_5tupleIJjjEEENS0_10empty_typeEEEZNS1_10merge_implIS3_NS0_12zip_iteratorINS5_IJN6thrust23THRUST_200600_302600_NS6detail15normal_iteratorINSC_10device_ptrIKjEEEESI_EEEEESK_NSA_INS5_IJNSE_INSF_IjEEEESM_EEEEEPS7_SP_SP_NSC_11hip_rocprim7__merge17predicate_wrapperIjjNSC_4lessIjEEEEEE10hipError_tPvRmT0_T1_T2_T3_T4_T5_mmT6_P12ihipStream_tbEUlT_E_NS1_11comp_targetILNS1_3genE0ELNS1_11target_archE4294967295ELNS1_3gpuE0ELNS1_3repE0EEENS1_30default_config_static_selectorELNS0_4arch9wavefront6targetE0EEEvS10_,comdat
	.protected	_ZN7rocprim17ROCPRIM_400000_NS6detail17trampoline_kernelINS0_14default_configENS1_21merge_config_selectorINS0_5tupleIJjjEEENS0_10empty_typeEEEZNS1_10merge_implIS3_NS0_12zip_iteratorINS5_IJN6thrust23THRUST_200600_302600_NS6detail15normal_iteratorINSC_10device_ptrIKjEEEESI_EEEEESK_NSA_INS5_IJNSE_INSF_IjEEEESM_EEEEEPS7_SP_SP_NSC_11hip_rocprim7__merge17predicate_wrapperIjjNSC_4lessIjEEEEEE10hipError_tPvRmT0_T1_T2_T3_T4_T5_mmT6_P12ihipStream_tbEUlT_E_NS1_11comp_targetILNS1_3genE0ELNS1_11target_archE4294967295ELNS1_3gpuE0ELNS1_3repE0EEENS1_30default_config_static_selectorELNS0_4arch9wavefront6targetE0EEEvS10_ ; -- Begin function _ZN7rocprim17ROCPRIM_400000_NS6detail17trampoline_kernelINS0_14default_configENS1_21merge_config_selectorINS0_5tupleIJjjEEENS0_10empty_typeEEEZNS1_10merge_implIS3_NS0_12zip_iteratorINS5_IJN6thrust23THRUST_200600_302600_NS6detail15normal_iteratorINSC_10device_ptrIKjEEEESI_EEEEESK_NSA_INS5_IJNSE_INSF_IjEEEESM_EEEEEPS7_SP_SP_NSC_11hip_rocprim7__merge17predicate_wrapperIjjNSC_4lessIjEEEEEE10hipError_tPvRmT0_T1_T2_T3_T4_T5_mmT6_P12ihipStream_tbEUlT_E_NS1_11comp_targetILNS1_3genE0ELNS1_11target_archE4294967295ELNS1_3gpuE0ELNS1_3repE0EEENS1_30default_config_static_selectorELNS0_4arch9wavefront6targetE0EEEvS10_
	.globl	_ZN7rocprim17ROCPRIM_400000_NS6detail17trampoline_kernelINS0_14default_configENS1_21merge_config_selectorINS0_5tupleIJjjEEENS0_10empty_typeEEEZNS1_10merge_implIS3_NS0_12zip_iteratorINS5_IJN6thrust23THRUST_200600_302600_NS6detail15normal_iteratorINSC_10device_ptrIKjEEEESI_EEEEESK_NSA_INS5_IJNSE_INSF_IjEEEESM_EEEEEPS7_SP_SP_NSC_11hip_rocprim7__merge17predicate_wrapperIjjNSC_4lessIjEEEEEE10hipError_tPvRmT0_T1_T2_T3_T4_T5_mmT6_P12ihipStream_tbEUlT_E_NS1_11comp_targetILNS1_3genE0ELNS1_11target_archE4294967295ELNS1_3gpuE0ELNS1_3repE0EEENS1_30default_config_static_selectorELNS0_4arch9wavefront6targetE0EEEvS10_
	.p2align	8
	.type	_ZN7rocprim17ROCPRIM_400000_NS6detail17trampoline_kernelINS0_14default_configENS1_21merge_config_selectorINS0_5tupleIJjjEEENS0_10empty_typeEEEZNS1_10merge_implIS3_NS0_12zip_iteratorINS5_IJN6thrust23THRUST_200600_302600_NS6detail15normal_iteratorINSC_10device_ptrIKjEEEESI_EEEEESK_NSA_INS5_IJNSE_INSF_IjEEEESM_EEEEEPS7_SP_SP_NSC_11hip_rocprim7__merge17predicate_wrapperIjjNSC_4lessIjEEEEEE10hipError_tPvRmT0_T1_T2_T3_T4_T5_mmT6_P12ihipStream_tbEUlT_E_NS1_11comp_targetILNS1_3genE0ELNS1_11target_archE4294967295ELNS1_3gpuE0ELNS1_3repE0EEENS1_30default_config_static_selectorELNS0_4arch9wavefront6targetE0EEEvS10_,@function
_ZN7rocprim17ROCPRIM_400000_NS6detail17trampoline_kernelINS0_14default_configENS1_21merge_config_selectorINS0_5tupleIJjjEEENS0_10empty_typeEEEZNS1_10merge_implIS3_NS0_12zip_iteratorINS5_IJN6thrust23THRUST_200600_302600_NS6detail15normal_iteratorINSC_10device_ptrIKjEEEESI_EEEEESK_NSA_INS5_IJNSE_INSF_IjEEEESM_EEEEEPS7_SP_SP_NSC_11hip_rocprim7__merge17predicate_wrapperIjjNSC_4lessIjEEEEEE10hipError_tPvRmT0_T1_T2_T3_T4_T5_mmT6_P12ihipStream_tbEUlT_E_NS1_11comp_targetILNS1_3genE0ELNS1_11target_archE4294967295ELNS1_3gpuE0ELNS1_3repE0EEENS1_30default_config_static_selectorELNS0_4arch9wavefront6targetE0EEEvS10_: ; @_ZN7rocprim17ROCPRIM_400000_NS6detail17trampoline_kernelINS0_14default_configENS1_21merge_config_selectorINS0_5tupleIJjjEEENS0_10empty_typeEEEZNS1_10merge_implIS3_NS0_12zip_iteratorINS5_IJN6thrust23THRUST_200600_302600_NS6detail15normal_iteratorINSC_10device_ptrIKjEEEESI_EEEEESK_NSA_INS5_IJNSE_INSF_IjEEEESM_EEEEEPS7_SP_SP_NSC_11hip_rocprim7__merge17predicate_wrapperIjjNSC_4lessIjEEEEEE10hipError_tPvRmT0_T1_T2_T3_T4_T5_mmT6_P12ihipStream_tbEUlT_E_NS1_11comp_targetILNS1_3genE0ELNS1_11target_archE4294967295ELNS1_3gpuE0ELNS1_3repE0EEENS1_30default_config_static_selectorELNS0_4arch9wavefront6targetE0EEEvS10_
; %bb.0:
	s_clause 0x2
	s_load_b32 s4, s[0:1], 0x38
	s_load_b32 s2, s[0:1], 0x4c
	s_load_b128 s[8:11], s[0:1], 0x28
	s_getreg_b32 s7, hwreg(HW_REG_IB_STS2, 6, 4)
	s_wait_kmcnt 0x0
	s_cvt_f32_u32 s3, s4
	s_and_b32 s6, s2, 0xffff
	s_and_b32 s2, ttmp6, 15
	s_delay_alu instid0(SALU_CYCLE_1) | instskip(SKIP_1) | instid1(SALU_CYCLE_1)
	v_rcp_iflag_f32_e32 v1, s3
	s_bfe_u32 s3, ttmp6, 0x4000c
	s_add_co_i32 s3, s3, 1
	s_delay_alu instid0(SALU_CYCLE_1) | instskip(NEXT) | instid1(SALU_CYCLE_1)
	s_mul_i32 s3, ttmp9, s3
	s_add_co_i32 s2, s2, s3
	v_nop
	s_delay_alu instid0(TRANS32_DEP_1)
	v_readfirstlane_b32 s5, v1
	s_cmp_eq_u32 s7, 0
	s_cselect_b32 s7, ttmp9, s2
	s_sub_co_i32 s12, 0, s4
	s_mul_f32 s5, s5, 0x4f7ffffe
	s_add_nc_u64 s[2:3], s[10:11], s[8:9]
	v_mad_u32 v6, s7, s6, v0
	s_add_co_i32 s13, s4, s2
	s_cvt_u32_f32 s5, s5
	s_add_co_i32 s13, s13, -1
	s_delay_alu instid0(SALU_CYCLE_2) | instskip(NEXT) | instid1(SALU_CYCLE_1)
	s_mul_i32 s12, s12, s5
	s_mul_hi_u32 s12, s5, s12
	s_delay_alu instid0(SALU_CYCLE_1) | instskip(NEXT) | instid1(SALU_CYCLE_1)
	s_add_co_i32 s5, s5, s12
	s_mul_hi_u32 s5, s13, s5
	s_delay_alu instid0(SALU_CYCLE_1) | instskip(SKIP_2) | instid1(SALU_CYCLE_1)
	s_mul_i32 s12, s5, s4
	s_add_co_i32 s7, s5, 1
	s_sub_co_i32 s6, s13, s12
	s_sub_co_i32 s12, s6, s4
	s_cmp_ge_u32 s6, s4
	s_cselect_b32 s5, s7, s5
	s_cselect_b32 s6, s12, s6
	s_add_co_i32 s7, s5, 1
	s_cmp_ge_u32 s6, s4
	s_cselect_b32 s5, s7, s5
	s_delay_alu instid0(SALU_CYCLE_1)
	v_cmp_ge_u32_e32 vcc_lo, s5, v6
	s_and_saveexec_b32 s5, vcc_lo
	s_cbranch_execz .LBB133_6
; %bb.1:
	v_mul_lo_u32 v0, v6, s4
	v_mov_b32_e32 v1, 0
	s_load_b128 s[4:7], s[0:1], 0x0
	s_delay_alu instid0(VALU_DEP_1) | instskip(SKIP_1) | instid1(VALU_DEP_1)
	v_min_u64 v[4:5], v[0:1], s[2:3]
	s_mov_b32 s2, exec_lo
	v_max_u64 v[0:1], v[4:5], s[10:11]
	v_min_u64 v[2:3], v[4:5], s[8:9]
	s_delay_alu instid0(VALU_DEP_2) | instskip(NEXT) | instid1(VALU_DEP_1)
	v_sub_nc_u64_e64 v[0:1], v[0:1], s[10:11]
	v_cmpx_lt_u64_e64 v[0:1], v[2:3]
	s_cbranch_execz .LBB133_5
; %bb.2:
	s_wait_xcnt 0x0
	s_load_b64 s[0:1], s[0:1], 0x18
	s_wait_kmcnt 0x0
	v_lshl_add_u64 v[4:5], v[4:5], 2, s[0:1]
	s_mov_b32 s0, 0
.LBB133_3:                              ; =>This Inner Loop Header: Depth=1
	v_add_nc_u64_e32 v[8:9], v[2:3], v[0:1]
	s_delay_alu instid0(VALU_DEP_1) | instskip(NEXT) | instid1(VALU_DEP_1)
	v_lshrrev_b64 v[8:9], 1, v[8:9]
	v_lshlrev_b64_e32 v[10:11], 2, v[8:9]
	s_delay_alu instid0(VALU_DEP_1) | instskip(NEXT) | instid1(VALU_DEP_2)
	v_xor_b32_e32 v13, -1, v11
	v_xor_b32_e32 v12, -4, v10
	v_add_nc_u64_e32 v[10:11], s[6:7], v[10:11]
	s_delay_alu instid0(VALU_DEP_2)
	v_add_nc_u64_e32 v[12:13], v[4:5], v[12:13]
	global_load_b32 v7, v[10:11], off
	global_load_b32 v14, v[12:13], off
	s_wait_xcnt 0x1
	v_add_nc_u64_e32 v[10:11], 1, v[8:9]
	s_wait_loadcnt 0x0
	v_cmp_lt_u32_e32 vcc_lo, v14, v7
	v_dual_cndmask_b32 v3, v3, v9 :: v_dual_cndmask_b32 v2, v2, v8
	s_delay_alu instid0(VALU_DEP_3) | instskip(NEXT) | instid1(VALU_DEP_1)
	v_dual_cndmask_b32 v1, v11, v1 :: v_dual_cndmask_b32 v0, v10, v0
	v_cmp_ge_u64_e32 vcc_lo, v[0:1], v[2:3]
	s_or_b32 s0, vcc_lo, s0
	s_delay_alu instid0(SALU_CYCLE_1)
	s_and_not1_b32 exec_lo, exec_lo, s0
	s_cbranch_execnz .LBB133_3
; %bb.4:
	s_or_b32 exec_lo, exec_lo, s0
.LBB133_5:
	s_delay_alu instid0(SALU_CYCLE_1)
	s_or_b32 exec_lo, exec_lo, s2
	s_wait_kmcnt 0x0
	global_store_b32 v6, v0, s[4:5] scale_offset
.LBB133_6:
	s_endpgm
	.section	.rodata,"a",@progbits
	.p2align	6, 0x0
	.amdhsa_kernel _ZN7rocprim17ROCPRIM_400000_NS6detail17trampoline_kernelINS0_14default_configENS1_21merge_config_selectorINS0_5tupleIJjjEEENS0_10empty_typeEEEZNS1_10merge_implIS3_NS0_12zip_iteratorINS5_IJN6thrust23THRUST_200600_302600_NS6detail15normal_iteratorINSC_10device_ptrIKjEEEESI_EEEEESK_NSA_INS5_IJNSE_INSF_IjEEEESM_EEEEEPS7_SP_SP_NSC_11hip_rocprim7__merge17predicate_wrapperIjjNSC_4lessIjEEEEEE10hipError_tPvRmT0_T1_T2_T3_T4_T5_mmT6_P12ihipStream_tbEUlT_E_NS1_11comp_targetILNS1_3genE0ELNS1_11target_archE4294967295ELNS1_3gpuE0ELNS1_3repE0EEENS1_30default_config_static_selectorELNS0_4arch9wavefront6targetE0EEEvS10_
		.amdhsa_group_segment_fixed_size 0
		.amdhsa_private_segment_fixed_size 0
		.amdhsa_kernarg_size 320
		.amdhsa_user_sgpr_count 2
		.amdhsa_user_sgpr_dispatch_ptr 0
		.amdhsa_user_sgpr_queue_ptr 0
		.amdhsa_user_sgpr_kernarg_segment_ptr 1
		.amdhsa_user_sgpr_dispatch_id 0
		.amdhsa_user_sgpr_kernarg_preload_length 0
		.amdhsa_user_sgpr_kernarg_preload_offset 0
		.amdhsa_user_sgpr_private_segment_size 0
		.amdhsa_wavefront_size32 1
		.amdhsa_uses_dynamic_stack 0
		.amdhsa_enable_private_segment 0
		.amdhsa_system_sgpr_workgroup_id_x 1
		.amdhsa_system_sgpr_workgroup_id_y 0
		.amdhsa_system_sgpr_workgroup_id_z 0
		.amdhsa_system_sgpr_workgroup_info 0
		.amdhsa_system_vgpr_workitem_id 0
		.amdhsa_next_free_vgpr 15
		.amdhsa_next_free_sgpr 14
		.amdhsa_named_barrier_count 0
		.amdhsa_reserve_vcc 1
		.amdhsa_float_round_mode_32 0
		.amdhsa_float_round_mode_16_64 0
		.amdhsa_float_denorm_mode_32 3
		.amdhsa_float_denorm_mode_16_64 3
		.amdhsa_fp16_overflow 0
		.amdhsa_memory_ordered 1
		.amdhsa_forward_progress 1
		.amdhsa_inst_pref_size 4
		.amdhsa_round_robin_scheduling 0
		.amdhsa_exception_fp_ieee_invalid_op 0
		.amdhsa_exception_fp_denorm_src 0
		.amdhsa_exception_fp_ieee_div_zero 0
		.amdhsa_exception_fp_ieee_overflow 0
		.amdhsa_exception_fp_ieee_underflow 0
		.amdhsa_exception_fp_ieee_inexact 0
		.amdhsa_exception_int_div_zero 0
	.end_amdhsa_kernel
	.section	.text._ZN7rocprim17ROCPRIM_400000_NS6detail17trampoline_kernelINS0_14default_configENS1_21merge_config_selectorINS0_5tupleIJjjEEENS0_10empty_typeEEEZNS1_10merge_implIS3_NS0_12zip_iteratorINS5_IJN6thrust23THRUST_200600_302600_NS6detail15normal_iteratorINSC_10device_ptrIKjEEEESI_EEEEESK_NSA_INS5_IJNSE_INSF_IjEEEESM_EEEEEPS7_SP_SP_NSC_11hip_rocprim7__merge17predicate_wrapperIjjNSC_4lessIjEEEEEE10hipError_tPvRmT0_T1_T2_T3_T4_T5_mmT6_P12ihipStream_tbEUlT_E_NS1_11comp_targetILNS1_3genE0ELNS1_11target_archE4294967295ELNS1_3gpuE0ELNS1_3repE0EEENS1_30default_config_static_selectorELNS0_4arch9wavefront6targetE0EEEvS10_,"axG",@progbits,_ZN7rocprim17ROCPRIM_400000_NS6detail17trampoline_kernelINS0_14default_configENS1_21merge_config_selectorINS0_5tupleIJjjEEENS0_10empty_typeEEEZNS1_10merge_implIS3_NS0_12zip_iteratorINS5_IJN6thrust23THRUST_200600_302600_NS6detail15normal_iteratorINSC_10device_ptrIKjEEEESI_EEEEESK_NSA_INS5_IJNSE_INSF_IjEEEESM_EEEEEPS7_SP_SP_NSC_11hip_rocprim7__merge17predicate_wrapperIjjNSC_4lessIjEEEEEE10hipError_tPvRmT0_T1_T2_T3_T4_T5_mmT6_P12ihipStream_tbEUlT_E_NS1_11comp_targetILNS1_3genE0ELNS1_11target_archE4294967295ELNS1_3gpuE0ELNS1_3repE0EEENS1_30default_config_static_selectorELNS0_4arch9wavefront6targetE0EEEvS10_,comdat
.Lfunc_end133:
	.size	_ZN7rocprim17ROCPRIM_400000_NS6detail17trampoline_kernelINS0_14default_configENS1_21merge_config_selectorINS0_5tupleIJjjEEENS0_10empty_typeEEEZNS1_10merge_implIS3_NS0_12zip_iteratorINS5_IJN6thrust23THRUST_200600_302600_NS6detail15normal_iteratorINSC_10device_ptrIKjEEEESI_EEEEESK_NSA_INS5_IJNSE_INSF_IjEEEESM_EEEEEPS7_SP_SP_NSC_11hip_rocprim7__merge17predicate_wrapperIjjNSC_4lessIjEEEEEE10hipError_tPvRmT0_T1_T2_T3_T4_T5_mmT6_P12ihipStream_tbEUlT_E_NS1_11comp_targetILNS1_3genE0ELNS1_11target_archE4294967295ELNS1_3gpuE0ELNS1_3repE0EEENS1_30default_config_static_selectorELNS0_4arch9wavefront6targetE0EEEvS10_, .Lfunc_end133-_ZN7rocprim17ROCPRIM_400000_NS6detail17trampoline_kernelINS0_14default_configENS1_21merge_config_selectorINS0_5tupleIJjjEEENS0_10empty_typeEEEZNS1_10merge_implIS3_NS0_12zip_iteratorINS5_IJN6thrust23THRUST_200600_302600_NS6detail15normal_iteratorINSC_10device_ptrIKjEEEESI_EEEEESK_NSA_INS5_IJNSE_INSF_IjEEEESM_EEEEEPS7_SP_SP_NSC_11hip_rocprim7__merge17predicate_wrapperIjjNSC_4lessIjEEEEEE10hipError_tPvRmT0_T1_T2_T3_T4_T5_mmT6_P12ihipStream_tbEUlT_E_NS1_11comp_targetILNS1_3genE0ELNS1_11target_archE4294967295ELNS1_3gpuE0ELNS1_3repE0EEENS1_30default_config_static_selectorELNS0_4arch9wavefront6targetE0EEEvS10_
                                        ; -- End function
	.set _ZN7rocprim17ROCPRIM_400000_NS6detail17trampoline_kernelINS0_14default_configENS1_21merge_config_selectorINS0_5tupleIJjjEEENS0_10empty_typeEEEZNS1_10merge_implIS3_NS0_12zip_iteratorINS5_IJN6thrust23THRUST_200600_302600_NS6detail15normal_iteratorINSC_10device_ptrIKjEEEESI_EEEEESK_NSA_INS5_IJNSE_INSF_IjEEEESM_EEEEEPS7_SP_SP_NSC_11hip_rocprim7__merge17predicate_wrapperIjjNSC_4lessIjEEEEEE10hipError_tPvRmT0_T1_T2_T3_T4_T5_mmT6_P12ihipStream_tbEUlT_E_NS1_11comp_targetILNS1_3genE0ELNS1_11target_archE4294967295ELNS1_3gpuE0ELNS1_3repE0EEENS1_30default_config_static_selectorELNS0_4arch9wavefront6targetE0EEEvS10_.num_vgpr, 15
	.set _ZN7rocprim17ROCPRIM_400000_NS6detail17trampoline_kernelINS0_14default_configENS1_21merge_config_selectorINS0_5tupleIJjjEEENS0_10empty_typeEEEZNS1_10merge_implIS3_NS0_12zip_iteratorINS5_IJN6thrust23THRUST_200600_302600_NS6detail15normal_iteratorINSC_10device_ptrIKjEEEESI_EEEEESK_NSA_INS5_IJNSE_INSF_IjEEEESM_EEEEEPS7_SP_SP_NSC_11hip_rocprim7__merge17predicate_wrapperIjjNSC_4lessIjEEEEEE10hipError_tPvRmT0_T1_T2_T3_T4_T5_mmT6_P12ihipStream_tbEUlT_E_NS1_11comp_targetILNS1_3genE0ELNS1_11target_archE4294967295ELNS1_3gpuE0ELNS1_3repE0EEENS1_30default_config_static_selectorELNS0_4arch9wavefront6targetE0EEEvS10_.num_agpr, 0
	.set _ZN7rocprim17ROCPRIM_400000_NS6detail17trampoline_kernelINS0_14default_configENS1_21merge_config_selectorINS0_5tupleIJjjEEENS0_10empty_typeEEEZNS1_10merge_implIS3_NS0_12zip_iteratorINS5_IJN6thrust23THRUST_200600_302600_NS6detail15normal_iteratorINSC_10device_ptrIKjEEEESI_EEEEESK_NSA_INS5_IJNSE_INSF_IjEEEESM_EEEEEPS7_SP_SP_NSC_11hip_rocprim7__merge17predicate_wrapperIjjNSC_4lessIjEEEEEE10hipError_tPvRmT0_T1_T2_T3_T4_T5_mmT6_P12ihipStream_tbEUlT_E_NS1_11comp_targetILNS1_3genE0ELNS1_11target_archE4294967295ELNS1_3gpuE0ELNS1_3repE0EEENS1_30default_config_static_selectorELNS0_4arch9wavefront6targetE0EEEvS10_.numbered_sgpr, 14
	.set _ZN7rocprim17ROCPRIM_400000_NS6detail17trampoline_kernelINS0_14default_configENS1_21merge_config_selectorINS0_5tupleIJjjEEENS0_10empty_typeEEEZNS1_10merge_implIS3_NS0_12zip_iteratorINS5_IJN6thrust23THRUST_200600_302600_NS6detail15normal_iteratorINSC_10device_ptrIKjEEEESI_EEEEESK_NSA_INS5_IJNSE_INSF_IjEEEESM_EEEEEPS7_SP_SP_NSC_11hip_rocprim7__merge17predicate_wrapperIjjNSC_4lessIjEEEEEE10hipError_tPvRmT0_T1_T2_T3_T4_T5_mmT6_P12ihipStream_tbEUlT_E_NS1_11comp_targetILNS1_3genE0ELNS1_11target_archE4294967295ELNS1_3gpuE0ELNS1_3repE0EEENS1_30default_config_static_selectorELNS0_4arch9wavefront6targetE0EEEvS10_.num_named_barrier, 0
	.set _ZN7rocprim17ROCPRIM_400000_NS6detail17trampoline_kernelINS0_14default_configENS1_21merge_config_selectorINS0_5tupleIJjjEEENS0_10empty_typeEEEZNS1_10merge_implIS3_NS0_12zip_iteratorINS5_IJN6thrust23THRUST_200600_302600_NS6detail15normal_iteratorINSC_10device_ptrIKjEEEESI_EEEEESK_NSA_INS5_IJNSE_INSF_IjEEEESM_EEEEEPS7_SP_SP_NSC_11hip_rocprim7__merge17predicate_wrapperIjjNSC_4lessIjEEEEEE10hipError_tPvRmT0_T1_T2_T3_T4_T5_mmT6_P12ihipStream_tbEUlT_E_NS1_11comp_targetILNS1_3genE0ELNS1_11target_archE4294967295ELNS1_3gpuE0ELNS1_3repE0EEENS1_30default_config_static_selectorELNS0_4arch9wavefront6targetE0EEEvS10_.private_seg_size, 0
	.set _ZN7rocprim17ROCPRIM_400000_NS6detail17trampoline_kernelINS0_14default_configENS1_21merge_config_selectorINS0_5tupleIJjjEEENS0_10empty_typeEEEZNS1_10merge_implIS3_NS0_12zip_iteratorINS5_IJN6thrust23THRUST_200600_302600_NS6detail15normal_iteratorINSC_10device_ptrIKjEEEESI_EEEEESK_NSA_INS5_IJNSE_INSF_IjEEEESM_EEEEEPS7_SP_SP_NSC_11hip_rocprim7__merge17predicate_wrapperIjjNSC_4lessIjEEEEEE10hipError_tPvRmT0_T1_T2_T3_T4_T5_mmT6_P12ihipStream_tbEUlT_E_NS1_11comp_targetILNS1_3genE0ELNS1_11target_archE4294967295ELNS1_3gpuE0ELNS1_3repE0EEENS1_30default_config_static_selectorELNS0_4arch9wavefront6targetE0EEEvS10_.uses_vcc, 1
	.set _ZN7rocprim17ROCPRIM_400000_NS6detail17trampoline_kernelINS0_14default_configENS1_21merge_config_selectorINS0_5tupleIJjjEEENS0_10empty_typeEEEZNS1_10merge_implIS3_NS0_12zip_iteratorINS5_IJN6thrust23THRUST_200600_302600_NS6detail15normal_iteratorINSC_10device_ptrIKjEEEESI_EEEEESK_NSA_INS5_IJNSE_INSF_IjEEEESM_EEEEEPS7_SP_SP_NSC_11hip_rocprim7__merge17predicate_wrapperIjjNSC_4lessIjEEEEEE10hipError_tPvRmT0_T1_T2_T3_T4_T5_mmT6_P12ihipStream_tbEUlT_E_NS1_11comp_targetILNS1_3genE0ELNS1_11target_archE4294967295ELNS1_3gpuE0ELNS1_3repE0EEENS1_30default_config_static_selectorELNS0_4arch9wavefront6targetE0EEEvS10_.uses_flat_scratch, 0
	.set _ZN7rocprim17ROCPRIM_400000_NS6detail17trampoline_kernelINS0_14default_configENS1_21merge_config_selectorINS0_5tupleIJjjEEENS0_10empty_typeEEEZNS1_10merge_implIS3_NS0_12zip_iteratorINS5_IJN6thrust23THRUST_200600_302600_NS6detail15normal_iteratorINSC_10device_ptrIKjEEEESI_EEEEESK_NSA_INS5_IJNSE_INSF_IjEEEESM_EEEEEPS7_SP_SP_NSC_11hip_rocprim7__merge17predicate_wrapperIjjNSC_4lessIjEEEEEE10hipError_tPvRmT0_T1_T2_T3_T4_T5_mmT6_P12ihipStream_tbEUlT_E_NS1_11comp_targetILNS1_3genE0ELNS1_11target_archE4294967295ELNS1_3gpuE0ELNS1_3repE0EEENS1_30default_config_static_selectorELNS0_4arch9wavefront6targetE0EEEvS10_.has_dyn_sized_stack, 0
	.set _ZN7rocprim17ROCPRIM_400000_NS6detail17trampoline_kernelINS0_14default_configENS1_21merge_config_selectorINS0_5tupleIJjjEEENS0_10empty_typeEEEZNS1_10merge_implIS3_NS0_12zip_iteratorINS5_IJN6thrust23THRUST_200600_302600_NS6detail15normal_iteratorINSC_10device_ptrIKjEEEESI_EEEEESK_NSA_INS5_IJNSE_INSF_IjEEEESM_EEEEEPS7_SP_SP_NSC_11hip_rocprim7__merge17predicate_wrapperIjjNSC_4lessIjEEEEEE10hipError_tPvRmT0_T1_T2_T3_T4_T5_mmT6_P12ihipStream_tbEUlT_E_NS1_11comp_targetILNS1_3genE0ELNS1_11target_archE4294967295ELNS1_3gpuE0ELNS1_3repE0EEENS1_30default_config_static_selectorELNS0_4arch9wavefront6targetE0EEEvS10_.has_recursion, 0
	.set _ZN7rocprim17ROCPRIM_400000_NS6detail17trampoline_kernelINS0_14default_configENS1_21merge_config_selectorINS0_5tupleIJjjEEENS0_10empty_typeEEEZNS1_10merge_implIS3_NS0_12zip_iteratorINS5_IJN6thrust23THRUST_200600_302600_NS6detail15normal_iteratorINSC_10device_ptrIKjEEEESI_EEEEESK_NSA_INS5_IJNSE_INSF_IjEEEESM_EEEEEPS7_SP_SP_NSC_11hip_rocprim7__merge17predicate_wrapperIjjNSC_4lessIjEEEEEE10hipError_tPvRmT0_T1_T2_T3_T4_T5_mmT6_P12ihipStream_tbEUlT_E_NS1_11comp_targetILNS1_3genE0ELNS1_11target_archE4294967295ELNS1_3gpuE0ELNS1_3repE0EEENS1_30default_config_static_selectorELNS0_4arch9wavefront6targetE0EEEvS10_.has_indirect_call, 0
	.section	.AMDGPU.csdata,"",@progbits
; Kernel info:
; codeLenInByte = 484
; TotalNumSgprs: 16
; NumVgprs: 15
; ScratchSize: 0
; MemoryBound: 0
; FloatMode: 240
; IeeeMode: 1
; LDSByteSize: 0 bytes/workgroup (compile time only)
; SGPRBlocks: 0
; VGPRBlocks: 0
; NumSGPRsForWavesPerEU: 16
; NumVGPRsForWavesPerEU: 15
; NamedBarCnt: 0
; Occupancy: 16
; WaveLimiterHint : 0
; COMPUTE_PGM_RSRC2:SCRATCH_EN: 0
; COMPUTE_PGM_RSRC2:USER_SGPR: 2
; COMPUTE_PGM_RSRC2:TRAP_HANDLER: 0
; COMPUTE_PGM_RSRC2:TGID_X_EN: 1
; COMPUTE_PGM_RSRC2:TGID_Y_EN: 0
; COMPUTE_PGM_RSRC2:TGID_Z_EN: 0
; COMPUTE_PGM_RSRC2:TIDIG_COMP_CNT: 0
	.section	.text._ZN7rocprim17ROCPRIM_400000_NS6detail17trampoline_kernelINS0_14default_configENS1_21merge_config_selectorINS0_5tupleIJjjEEENS0_10empty_typeEEEZNS1_10merge_implIS3_NS0_12zip_iteratorINS5_IJN6thrust23THRUST_200600_302600_NS6detail15normal_iteratorINSC_10device_ptrIKjEEEESI_EEEEESK_NSA_INS5_IJNSE_INSF_IjEEEESM_EEEEEPS7_SP_SP_NSC_11hip_rocprim7__merge17predicate_wrapperIjjNSC_4lessIjEEEEEE10hipError_tPvRmT0_T1_T2_T3_T4_T5_mmT6_P12ihipStream_tbEUlT_E_NS1_11comp_targetILNS1_3genE5ELNS1_11target_archE942ELNS1_3gpuE9ELNS1_3repE0EEENS1_30default_config_static_selectorELNS0_4arch9wavefront6targetE0EEEvS10_,"axG",@progbits,_ZN7rocprim17ROCPRIM_400000_NS6detail17trampoline_kernelINS0_14default_configENS1_21merge_config_selectorINS0_5tupleIJjjEEENS0_10empty_typeEEEZNS1_10merge_implIS3_NS0_12zip_iteratorINS5_IJN6thrust23THRUST_200600_302600_NS6detail15normal_iteratorINSC_10device_ptrIKjEEEESI_EEEEESK_NSA_INS5_IJNSE_INSF_IjEEEESM_EEEEEPS7_SP_SP_NSC_11hip_rocprim7__merge17predicate_wrapperIjjNSC_4lessIjEEEEEE10hipError_tPvRmT0_T1_T2_T3_T4_T5_mmT6_P12ihipStream_tbEUlT_E_NS1_11comp_targetILNS1_3genE5ELNS1_11target_archE942ELNS1_3gpuE9ELNS1_3repE0EEENS1_30default_config_static_selectorELNS0_4arch9wavefront6targetE0EEEvS10_,comdat
	.protected	_ZN7rocprim17ROCPRIM_400000_NS6detail17trampoline_kernelINS0_14default_configENS1_21merge_config_selectorINS0_5tupleIJjjEEENS0_10empty_typeEEEZNS1_10merge_implIS3_NS0_12zip_iteratorINS5_IJN6thrust23THRUST_200600_302600_NS6detail15normal_iteratorINSC_10device_ptrIKjEEEESI_EEEEESK_NSA_INS5_IJNSE_INSF_IjEEEESM_EEEEEPS7_SP_SP_NSC_11hip_rocprim7__merge17predicate_wrapperIjjNSC_4lessIjEEEEEE10hipError_tPvRmT0_T1_T2_T3_T4_T5_mmT6_P12ihipStream_tbEUlT_E_NS1_11comp_targetILNS1_3genE5ELNS1_11target_archE942ELNS1_3gpuE9ELNS1_3repE0EEENS1_30default_config_static_selectorELNS0_4arch9wavefront6targetE0EEEvS10_ ; -- Begin function _ZN7rocprim17ROCPRIM_400000_NS6detail17trampoline_kernelINS0_14default_configENS1_21merge_config_selectorINS0_5tupleIJjjEEENS0_10empty_typeEEEZNS1_10merge_implIS3_NS0_12zip_iteratorINS5_IJN6thrust23THRUST_200600_302600_NS6detail15normal_iteratorINSC_10device_ptrIKjEEEESI_EEEEESK_NSA_INS5_IJNSE_INSF_IjEEEESM_EEEEEPS7_SP_SP_NSC_11hip_rocprim7__merge17predicate_wrapperIjjNSC_4lessIjEEEEEE10hipError_tPvRmT0_T1_T2_T3_T4_T5_mmT6_P12ihipStream_tbEUlT_E_NS1_11comp_targetILNS1_3genE5ELNS1_11target_archE942ELNS1_3gpuE9ELNS1_3repE0EEENS1_30default_config_static_selectorELNS0_4arch9wavefront6targetE0EEEvS10_
	.globl	_ZN7rocprim17ROCPRIM_400000_NS6detail17trampoline_kernelINS0_14default_configENS1_21merge_config_selectorINS0_5tupleIJjjEEENS0_10empty_typeEEEZNS1_10merge_implIS3_NS0_12zip_iteratorINS5_IJN6thrust23THRUST_200600_302600_NS6detail15normal_iteratorINSC_10device_ptrIKjEEEESI_EEEEESK_NSA_INS5_IJNSE_INSF_IjEEEESM_EEEEEPS7_SP_SP_NSC_11hip_rocprim7__merge17predicate_wrapperIjjNSC_4lessIjEEEEEE10hipError_tPvRmT0_T1_T2_T3_T4_T5_mmT6_P12ihipStream_tbEUlT_E_NS1_11comp_targetILNS1_3genE5ELNS1_11target_archE942ELNS1_3gpuE9ELNS1_3repE0EEENS1_30default_config_static_selectorELNS0_4arch9wavefront6targetE0EEEvS10_
	.p2align	8
	.type	_ZN7rocprim17ROCPRIM_400000_NS6detail17trampoline_kernelINS0_14default_configENS1_21merge_config_selectorINS0_5tupleIJjjEEENS0_10empty_typeEEEZNS1_10merge_implIS3_NS0_12zip_iteratorINS5_IJN6thrust23THRUST_200600_302600_NS6detail15normal_iteratorINSC_10device_ptrIKjEEEESI_EEEEESK_NSA_INS5_IJNSE_INSF_IjEEEESM_EEEEEPS7_SP_SP_NSC_11hip_rocprim7__merge17predicate_wrapperIjjNSC_4lessIjEEEEEE10hipError_tPvRmT0_T1_T2_T3_T4_T5_mmT6_P12ihipStream_tbEUlT_E_NS1_11comp_targetILNS1_3genE5ELNS1_11target_archE942ELNS1_3gpuE9ELNS1_3repE0EEENS1_30default_config_static_selectorELNS0_4arch9wavefront6targetE0EEEvS10_,@function
_ZN7rocprim17ROCPRIM_400000_NS6detail17trampoline_kernelINS0_14default_configENS1_21merge_config_selectorINS0_5tupleIJjjEEENS0_10empty_typeEEEZNS1_10merge_implIS3_NS0_12zip_iteratorINS5_IJN6thrust23THRUST_200600_302600_NS6detail15normal_iteratorINSC_10device_ptrIKjEEEESI_EEEEESK_NSA_INS5_IJNSE_INSF_IjEEEESM_EEEEEPS7_SP_SP_NSC_11hip_rocprim7__merge17predicate_wrapperIjjNSC_4lessIjEEEEEE10hipError_tPvRmT0_T1_T2_T3_T4_T5_mmT6_P12ihipStream_tbEUlT_E_NS1_11comp_targetILNS1_3genE5ELNS1_11target_archE942ELNS1_3gpuE9ELNS1_3repE0EEENS1_30default_config_static_selectorELNS0_4arch9wavefront6targetE0EEEvS10_: ; @_ZN7rocprim17ROCPRIM_400000_NS6detail17trampoline_kernelINS0_14default_configENS1_21merge_config_selectorINS0_5tupleIJjjEEENS0_10empty_typeEEEZNS1_10merge_implIS3_NS0_12zip_iteratorINS5_IJN6thrust23THRUST_200600_302600_NS6detail15normal_iteratorINSC_10device_ptrIKjEEEESI_EEEEESK_NSA_INS5_IJNSE_INSF_IjEEEESM_EEEEEPS7_SP_SP_NSC_11hip_rocprim7__merge17predicate_wrapperIjjNSC_4lessIjEEEEEE10hipError_tPvRmT0_T1_T2_T3_T4_T5_mmT6_P12ihipStream_tbEUlT_E_NS1_11comp_targetILNS1_3genE5ELNS1_11target_archE942ELNS1_3gpuE9ELNS1_3repE0EEENS1_30default_config_static_selectorELNS0_4arch9wavefront6targetE0EEEvS10_
; %bb.0:
	.section	.rodata,"a",@progbits
	.p2align	6, 0x0
	.amdhsa_kernel _ZN7rocprim17ROCPRIM_400000_NS6detail17trampoline_kernelINS0_14default_configENS1_21merge_config_selectorINS0_5tupleIJjjEEENS0_10empty_typeEEEZNS1_10merge_implIS3_NS0_12zip_iteratorINS5_IJN6thrust23THRUST_200600_302600_NS6detail15normal_iteratorINSC_10device_ptrIKjEEEESI_EEEEESK_NSA_INS5_IJNSE_INSF_IjEEEESM_EEEEEPS7_SP_SP_NSC_11hip_rocprim7__merge17predicate_wrapperIjjNSC_4lessIjEEEEEE10hipError_tPvRmT0_T1_T2_T3_T4_T5_mmT6_P12ihipStream_tbEUlT_E_NS1_11comp_targetILNS1_3genE5ELNS1_11target_archE942ELNS1_3gpuE9ELNS1_3repE0EEENS1_30default_config_static_selectorELNS0_4arch9wavefront6targetE0EEEvS10_
		.amdhsa_group_segment_fixed_size 0
		.amdhsa_private_segment_fixed_size 0
		.amdhsa_kernarg_size 64
		.amdhsa_user_sgpr_count 2
		.amdhsa_user_sgpr_dispatch_ptr 0
		.amdhsa_user_sgpr_queue_ptr 0
		.amdhsa_user_sgpr_kernarg_segment_ptr 1
		.amdhsa_user_sgpr_dispatch_id 0
		.amdhsa_user_sgpr_kernarg_preload_length 0
		.amdhsa_user_sgpr_kernarg_preload_offset 0
		.amdhsa_user_sgpr_private_segment_size 0
		.amdhsa_wavefront_size32 1
		.amdhsa_uses_dynamic_stack 0
		.amdhsa_enable_private_segment 0
		.amdhsa_system_sgpr_workgroup_id_x 1
		.amdhsa_system_sgpr_workgroup_id_y 0
		.amdhsa_system_sgpr_workgroup_id_z 0
		.amdhsa_system_sgpr_workgroup_info 0
		.amdhsa_system_vgpr_workitem_id 0
		.amdhsa_next_free_vgpr 1
		.amdhsa_next_free_sgpr 1
		.amdhsa_named_barrier_count 0
		.amdhsa_reserve_vcc 0
		.amdhsa_float_round_mode_32 0
		.amdhsa_float_round_mode_16_64 0
		.amdhsa_float_denorm_mode_32 3
		.amdhsa_float_denorm_mode_16_64 3
		.amdhsa_fp16_overflow 0
		.amdhsa_memory_ordered 1
		.amdhsa_forward_progress 1
		.amdhsa_inst_pref_size 0
		.amdhsa_round_robin_scheduling 0
		.amdhsa_exception_fp_ieee_invalid_op 0
		.amdhsa_exception_fp_denorm_src 0
		.amdhsa_exception_fp_ieee_div_zero 0
		.amdhsa_exception_fp_ieee_overflow 0
		.amdhsa_exception_fp_ieee_underflow 0
		.amdhsa_exception_fp_ieee_inexact 0
		.amdhsa_exception_int_div_zero 0
	.end_amdhsa_kernel
	.section	.text._ZN7rocprim17ROCPRIM_400000_NS6detail17trampoline_kernelINS0_14default_configENS1_21merge_config_selectorINS0_5tupleIJjjEEENS0_10empty_typeEEEZNS1_10merge_implIS3_NS0_12zip_iteratorINS5_IJN6thrust23THRUST_200600_302600_NS6detail15normal_iteratorINSC_10device_ptrIKjEEEESI_EEEEESK_NSA_INS5_IJNSE_INSF_IjEEEESM_EEEEEPS7_SP_SP_NSC_11hip_rocprim7__merge17predicate_wrapperIjjNSC_4lessIjEEEEEE10hipError_tPvRmT0_T1_T2_T3_T4_T5_mmT6_P12ihipStream_tbEUlT_E_NS1_11comp_targetILNS1_3genE5ELNS1_11target_archE942ELNS1_3gpuE9ELNS1_3repE0EEENS1_30default_config_static_selectorELNS0_4arch9wavefront6targetE0EEEvS10_,"axG",@progbits,_ZN7rocprim17ROCPRIM_400000_NS6detail17trampoline_kernelINS0_14default_configENS1_21merge_config_selectorINS0_5tupleIJjjEEENS0_10empty_typeEEEZNS1_10merge_implIS3_NS0_12zip_iteratorINS5_IJN6thrust23THRUST_200600_302600_NS6detail15normal_iteratorINSC_10device_ptrIKjEEEESI_EEEEESK_NSA_INS5_IJNSE_INSF_IjEEEESM_EEEEEPS7_SP_SP_NSC_11hip_rocprim7__merge17predicate_wrapperIjjNSC_4lessIjEEEEEE10hipError_tPvRmT0_T1_T2_T3_T4_T5_mmT6_P12ihipStream_tbEUlT_E_NS1_11comp_targetILNS1_3genE5ELNS1_11target_archE942ELNS1_3gpuE9ELNS1_3repE0EEENS1_30default_config_static_selectorELNS0_4arch9wavefront6targetE0EEEvS10_,comdat
.Lfunc_end134:
	.size	_ZN7rocprim17ROCPRIM_400000_NS6detail17trampoline_kernelINS0_14default_configENS1_21merge_config_selectorINS0_5tupleIJjjEEENS0_10empty_typeEEEZNS1_10merge_implIS3_NS0_12zip_iteratorINS5_IJN6thrust23THRUST_200600_302600_NS6detail15normal_iteratorINSC_10device_ptrIKjEEEESI_EEEEESK_NSA_INS5_IJNSE_INSF_IjEEEESM_EEEEEPS7_SP_SP_NSC_11hip_rocprim7__merge17predicate_wrapperIjjNSC_4lessIjEEEEEE10hipError_tPvRmT0_T1_T2_T3_T4_T5_mmT6_P12ihipStream_tbEUlT_E_NS1_11comp_targetILNS1_3genE5ELNS1_11target_archE942ELNS1_3gpuE9ELNS1_3repE0EEENS1_30default_config_static_selectorELNS0_4arch9wavefront6targetE0EEEvS10_, .Lfunc_end134-_ZN7rocprim17ROCPRIM_400000_NS6detail17trampoline_kernelINS0_14default_configENS1_21merge_config_selectorINS0_5tupleIJjjEEENS0_10empty_typeEEEZNS1_10merge_implIS3_NS0_12zip_iteratorINS5_IJN6thrust23THRUST_200600_302600_NS6detail15normal_iteratorINSC_10device_ptrIKjEEEESI_EEEEESK_NSA_INS5_IJNSE_INSF_IjEEEESM_EEEEEPS7_SP_SP_NSC_11hip_rocprim7__merge17predicate_wrapperIjjNSC_4lessIjEEEEEE10hipError_tPvRmT0_T1_T2_T3_T4_T5_mmT6_P12ihipStream_tbEUlT_E_NS1_11comp_targetILNS1_3genE5ELNS1_11target_archE942ELNS1_3gpuE9ELNS1_3repE0EEENS1_30default_config_static_selectorELNS0_4arch9wavefront6targetE0EEEvS10_
                                        ; -- End function
	.set _ZN7rocprim17ROCPRIM_400000_NS6detail17trampoline_kernelINS0_14default_configENS1_21merge_config_selectorINS0_5tupleIJjjEEENS0_10empty_typeEEEZNS1_10merge_implIS3_NS0_12zip_iteratorINS5_IJN6thrust23THRUST_200600_302600_NS6detail15normal_iteratorINSC_10device_ptrIKjEEEESI_EEEEESK_NSA_INS5_IJNSE_INSF_IjEEEESM_EEEEEPS7_SP_SP_NSC_11hip_rocprim7__merge17predicate_wrapperIjjNSC_4lessIjEEEEEE10hipError_tPvRmT0_T1_T2_T3_T4_T5_mmT6_P12ihipStream_tbEUlT_E_NS1_11comp_targetILNS1_3genE5ELNS1_11target_archE942ELNS1_3gpuE9ELNS1_3repE0EEENS1_30default_config_static_selectorELNS0_4arch9wavefront6targetE0EEEvS10_.num_vgpr, 0
	.set _ZN7rocprim17ROCPRIM_400000_NS6detail17trampoline_kernelINS0_14default_configENS1_21merge_config_selectorINS0_5tupleIJjjEEENS0_10empty_typeEEEZNS1_10merge_implIS3_NS0_12zip_iteratorINS5_IJN6thrust23THRUST_200600_302600_NS6detail15normal_iteratorINSC_10device_ptrIKjEEEESI_EEEEESK_NSA_INS5_IJNSE_INSF_IjEEEESM_EEEEEPS7_SP_SP_NSC_11hip_rocprim7__merge17predicate_wrapperIjjNSC_4lessIjEEEEEE10hipError_tPvRmT0_T1_T2_T3_T4_T5_mmT6_P12ihipStream_tbEUlT_E_NS1_11comp_targetILNS1_3genE5ELNS1_11target_archE942ELNS1_3gpuE9ELNS1_3repE0EEENS1_30default_config_static_selectorELNS0_4arch9wavefront6targetE0EEEvS10_.num_agpr, 0
	.set _ZN7rocprim17ROCPRIM_400000_NS6detail17trampoline_kernelINS0_14default_configENS1_21merge_config_selectorINS0_5tupleIJjjEEENS0_10empty_typeEEEZNS1_10merge_implIS3_NS0_12zip_iteratorINS5_IJN6thrust23THRUST_200600_302600_NS6detail15normal_iteratorINSC_10device_ptrIKjEEEESI_EEEEESK_NSA_INS5_IJNSE_INSF_IjEEEESM_EEEEEPS7_SP_SP_NSC_11hip_rocprim7__merge17predicate_wrapperIjjNSC_4lessIjEEEEEE10hipError_tPvRmT0_T1_T2_T3_T4_T5_mmT6_P12ihipStream_tbEUlT_E_NS1_11comp_targetILNS1_3genE5ELNS1_11target_archE942ELNS1_3gpuE9ELNS1_3repE0EEENS1_30default_config_static_selectorELNS0_4arch9wavefront6targetE0EEEvS10_.numbered_sgpr, 0
	.set _ZN7rocprim17ROCPRIM_400000_NS6detail17trampoline_kernelINS0_14default_configENS1_21merge_config_selectorINS0_5tupleIJjjEEENS0_10empty_typeEEEZNS1_10merge_implIS3_NS0_12zip_iteratorINS5_IJN6thrust23THRUST_200600_302600_NS6detail15normal_iteratorINSC_10device_ptrIKjEEEESI_EEEEESK_NSA_INS5_IJNSE_INSF_IjEEEESM_EEEEEPS7_SP_SP_NSC_11hip_rocprim7__merge17predicate_wrapperIjjNSC_4lessIjEEEEEE10hipError_tPvRmT0_T1_T2_T3_T4_T5_mmT6_P12ihipStream_tbEUlT_E_NS1_11comp_targetILNS1_3genE5ELNS1_11target_archE942ELNS1_3gpuE9ELNS1_3repE0EEENS1_30default_config_static_selectorELNS0_4arch9wavefront6targetE0EEEvS10_.num_named_barrier, 0
	.set _ZN7rocprim17ROCPRIM_400000_NS6detail17trampoline_kernelINS0_14default_configENS1_21merge_config_selectorINS0_5tupleIJjjEEENS0_10empty_typeEEEZNS1_10merge_implIS3_NS0_12zip_iteratorINS5_IJN6thrust23THRUST_200600_302600_NS6detail15normal_iteratorINSC_10device_ptrIKjEEEESI_EEEEESK_NSA_INS5_IJNSE_INSF_IjEEEESM_EEEEEPS7_SP_SP_NSC_11hip_rocprim7__merge17predicate_wrapperIjjNSC_4lessIjEEEEEE10hipError_tPvRmT0_T1_T2_T3_T4_T5_mmT6_P12ihipStream_tbEUlT_E_NS1_11comp_targetILNS1_3genE5ELNS1_11target_archE942ELNS1_3gpuE9ELNS1_3repE0EEENS1_30default_config_static_selectorELNS0_4arch9wavefront6targetE0EEEvS10_.private_seg_size, 0
	.set _ZN7rocprim17ROCPRIM_400000_NS6detail17trampoline_kernelINS0_14default_configENS1_21merge_config_selectorINS0_5tupleIJjjEEENS0_10empty_typeEEEZNS1_10merge_implIS3_NS0_12zip_iteratorINS5_IJN6thrust23THRUST_200600_302600_NS6detail15normal_iteratorINSC_10device_ptrIKjEEEESI_EEEEESK_NSA_INS5_IJNSE_INSF_IjEEEESM_EEEEEPS7_SP_SP_NSC_11hip_rocprim7__merge17predicate_wrapperIjjNSC_4lessIjEEEEEE10hipError_tPvRmT0_T1_T2_T3_T4_T5_mmT6_P12ihipStream_tbEUlT_E_NS1_11comp_targetILNS1_3genE5ELNS1_11target_archE942ELNS1_3gpuE9ELNS1_3repE0EEENS1_30default_config_static_selectorELNS0_4arch9wavefront6targetE0EEEvS10_.uses_vcc, 0
	.set _ZN7rocprim17ROCPRIM_400000_NS6detail17trampoline_kernelINS0_14default_configENS1_21merge_config_selectorINS0_5tupleIJjjEEENS0_10empty_typeEEEZNS1_10merge_implIS3_NS0_12zip_iteratorINS5_IJN6thrust23THRUST_200600_302600_NS6detail15normal_iteratorINSC_10device_ptrIKjEEEESI_EEEEESK_NSA_INS5_IJNSE_INSF_IjEEEESM_EEEEEPS7_SP_SP_NSC_11hip_rocprim7__merge17predicate_wrapperIjjNSC_4lessIjEEEEEE10hipError_tPvRmT0_T1_T2_T3_T4_T5_mmT6_P12ihipStream_tbEUlT_E_NS1_11comp_targetILNS1_3genE5ELNS1_11target_archE942ELNS1_3gpuE9ELNS1_3repE0EEENS1_30default_config_static_selectorELNS0_4arch9wavefront6targetE0EEEvS10_.uses_flat_scratch, 0
	.set _ZN7rocprim17ROCPRIM_400000_NS6detail17trampoline_kernelINS0_14default_configENS1_21merge_config_selectorINS0_5tupleIJjjEEENS0_10empty_typeEEEZNS1_10merge_implIS3_NS0_12zip_iteratorINS5_IJN6thrust23THRUST_200600_302600_NS6detail15normal_iteratorINSC_10device_ptrIKjEEEESI_EEEEESK_NSA_INS5_IJNSE_INSF_IjEEEESM_EEEEEPS7_SP_SP_NSC_11hip_rocprim7__merge17predicate_wrapperIjjNSC_4lessIjEEEEEE10hipError_tPvRmT0_T1_T2_T3_T4_T5_mmT6_P12ihipStream_tbEUlT_E_NS1_11comp_targetILNS1_3genE5ELNS1_11target_archE942ELNS1_3gpuE9ELNS1_3repE0EEENS1_30default_config_static_selectorELNS0_4arch9wavefront6targetE0EEEvS10_.has_dyn_sized_stack, 0
	.set _ZN7rocprim17ROCPRIM_400000_NS6detail17trampoline_kernelINS0_14default_configENS1_21merge_config_selectorINS0_5tupleIJjjEEENS0_10empty_typeEEEZNS1_10merge_implIS3_NS0_12zip_iteratorINS5_IJN6thrust23THRUST_200600_302600_NS6detail15normal_iteratorINSC_10device_ptrIKjEEEESI_EEEEESK_NSA_INS5_IJNSE_INSF_IjEEEESM_EEEEEPS7_SP_SP_NSC_11hip_rocprim7__merge17predicate_wrapperIjjNSC_4lessIjEEEEEE10hipError_tPvRmT0_T1_T2_T3_T4_T5_mmT6_P12ihipStream_tbEUlT_E_NS1_11comp_targetILNS1_3genE5ELNS1_11target_archE942ELNS1_3gpuE9ELNS1_3repE0EEENS1_30default_config_static_selectorELNS0_4arch9wavefront6targetE0EEEvS10_.has_recursion, 0
	.set _ZN7rocprim17ROCPRIM_400000_NS6detail17trampoline_kernelINS0_14default_configENS1_21merge_config_selectorINS0_5tupleIJjjEEENS0_10empty_typeEEEZNS1_10merge_implIS3_NS0_12zip_iteratorINS5_IJN6thrust23THRUST_200600_302600_NS6detail15normal_iteratorINSC_10device_ptrIKjEEEESI_EEEEESK_NSA_INS5_IJNSE_INSF_IjEEEESM_EEEEEPS7_SP_SP_NSC_11hip_rocprim7__merge17predicate_wrapperIjjNSC_4lessIjEEEEEE10hipError_tPvRmT0_T1_T2_T3_T4_T5_mmT6_P12ihipStream_tbEUlT_E_NS1_11comp_targetILNS1_3genE5ELNS1_11target_archE942ELNS1_3gpuE9ELNS1_3repE0EEENS1_30default_config_static_selectorELNS0_4arch9wavefront6targetE0EEEvS10_.has_indirect_call, 0
	.section	.AMDGPU.csdata,"",@progbits
; Kernel info:
; codeLenInByte = 0
; TotalNumSgprs: 0
; NumVgprs: 0
; ScratchSize: 0
; MemoryBound: 0
; FloatMode: 240
; IeeeMode: 1
; LDSByteSize: 0 bytes/workgroup (compile time only)
; SGPRBlocks: 0
; VGPRBlocks: 0
; NumSGPRsForWavesPerEU: 1
; NumVGPRsForWavesPerEU: 1
; NamedBarCnt: 0
; Occupancy: 16
; WaveLimiterHint : 0
; COMPUTE_PGM_RSRC2:SCRATCH_EN: 0
; COMPUTE_PGM_RSRC2:USER_SGPR: 2
; COMPUTE_PGM_RSRC2:TRAP_HANDLER: 0
; COMPUTE_PGM_RSRC2:TGID_X_EN: 1
; COMPUTE_PGM_RSRC2:TGID_Y_EN: 0
; COMPUTE_PGM_RSRC2:TGID_Z_EN: 0
; COMPUTE_PGM_RSRC2:TIDIG_COMP_CNT: 0
	.section	.text._ZN7rocprim17ROCPRIM_400000_NS6detail17trampoline_kernelINS0_14default_configENS1_21merge_config_selectorINS0_5tupleIJjjEEENS0_10empty_typeEEEZNS1_10merge_implIS3_NS0_12zip_iteratorINS5_IJN6thrust23THRUST_200600_302600_NS6detail15normal_iteratorINSC_10device_ptrIKjEEEESI_EEEEESK_NSA_INS5_IJNSE_INSF_IjEEEESM_EEEEEPS7_SP_SP_NSC_11hip_rocprim7__merge17predicate_wrapperIjjNSC_4lessIjEEEEEE10hipError_tPvRmT0_T1_T2_T3_T4_T5_mmT6_P12ihipStream_tbEUlT_E_NS1_11comp_targetILNS1_3genE4ELNS1_11target_archE910ELNS1_3gpuE8ELNS1_3repE0EEENS1_30default_config_static_selectorELNS0_4arch9wavefront6targetE0EEEvS10_,"axG",@progbits,_ZN7rocprim17ROCPRIM_400000_NS6detail17trampoline_kernelINS0_14default_configENS1_21merge_config_selectorINS0_5tupleIJjjEEENS0_10empty_typeEEEZNS1_10merge_implIS3_NS0_12zip_iteratorINS5_IJN6thrust23THRUST_200600_302600_NS6detail15normal_iteratorINSC_10device_ptrIKjEEEESI_EEEEESK_NSA_INS5_IJNSE_INSF_IjEEEESM_EEEEEPS7_SP_SP_NSC_11hip_rocprim7__merge17predicate_wrapperIjjNSC_4lessIjEEEEEE10hipError_tPvRmT0_T1_T2_T3_T4_T5_mmT6_P12ihipStream_tbEUlT_E_NS1_11comp_targetILNS1_3genE4ELNS1_11target_archE910ELNS1_3gpuE8ELNS1_3repE0EEENS1_30default_config_static_selectorELNS0_4arch9wavefront6targetE0EEEvS10_,comdat
	.protected	_ZN7rocprim17ROCPRIM_400000_NS6detail17trampoline_kernelINS0_14default_configENS1_21merge_config_selectorINS0_5tupleIJjjEEENS0_10empty_typeEEEZNS1_10merge_implIS3_NS0_12zip_iteratorINS5_IJN6thrust23THRUST_200600_302600_NS6detail15normal_iteratorINSC_10device_ptrIKjEEEESI_EEEEESK_NSA_INS5_IJNSE_INSF_IjEEEESM_EEEEEPS7_SP_SP_NSC_11hip_rocprim7__merge17predicate_wrapperIjjNSC_4lessIjEEEEEE10hipError_tPvRmT0_T1_T2_T3_T4_T5_mmT6_P12ihipStream_tbEUlT_E_NS1_11comp_targetILNS1_3genE4ELNS1_11target_archE910ELNS1_3gpuE8ELNS1_3repE0EEENS1_30default_config_static_selectorELNS0_4arch9wavefront6targetE0EEEvS10_ ; -- Begin function _ZN7rocprim17ROCPRIM_400000_NS6detail17trampoline_kernelINS0_14default_configENS1_21merge_config_selectorINS0_5tupleIJjjEEENS0_10empty_typeEEEZNS1_10merge_implIS3_NS0_12zip_iteratorINS5_IJN6thrust23THRUST_200600_302600_NS6detail15normal_iteratorINSC_10device_ptrIKjEEEESI_EEEEESK_NSA_INS5_IJNSE_INSF_IjEEEESM_EEEEEPS7_SP_SP_NSC_11hip_rocprim7__merge17predicate_wrapperIjjNSC_4lessIjEEEEEE10hipError_tPvRmT0_T1_T2_T3_T4_T5_mmT6_P12ihipStream_tbEUlT_E_NS1_11comp_targetILNS1_3genE4ELNS1_11target_archE910ELNS1_3gpuE8ELNS1_3repE0EEENS1_30default_config_static_selectorELNS0_4arch9wavefront6targetE0EEEvS10_
	.globl	_ZN7rocprim17ROCPRIM_400000_NS6detail17trampoline_kernelINS0_14default_configENS1_21merge_config_selectorINS0_5tupleIJjjEEENS0_10empty_typeEEEZNS1_10merge_implIS3_NS0_12zip_iteratorINS5_IJN6thrust23THRUST_200600_302600_NS6detail15normal_iteratorINSC_10device_ptrIKjEEEESI_EEEEESK_NSA_INS5_IJNSE_INSF_IjEEEESM_EEEEEPS7_SP_SP_NSC_11hip_rocprim7__merge17predicate_wrapperIjjNSC_4lessIjEEEEEE10hipError_tPvRmT0_T1_T2_T3_T4_T5_mmT6_P12ihipStream_tbEUlT_E_NS1_11comp_targetILNS1_3genE4ELNS1_11target_archE910ELNS1_3gpuE8ELNS1_3repE0EEENS1_30default_config_static_selectorELNS0_4arch9wavefront6targetE0EEEvS10_
	.p2align	8
	.type	_ZN7rocprim17ROCPRIM_400000_NS6detail17trampoline_kernelINS0_14default_configENS1_21merge_config_selectorINS0_5tupleIJjjEEENS0_10empty_typeEEEZNS1_10merge_implIS3_NS0_12zip_iteratorINS5_IJN6thrust23THRUST_200600_302600_NS6detail15normal_iteratorINSC_10device_ptrIKjEEEESI_EEEEESK_NSA_INS5_IJNSE_INSF_IjEEEESM_EEEEEPS7_SP_SP_NSC_11hip_rocprim7__merge17predicate_wrapperIjjNSC_4lessIjEEEEEE10hipError_tPvRmT0_T1_T2_T3_T4_T5_mmT6_P12ihipStream_tbEUlT_E_NS1_11comp_targetILNS1_3genE4ELNS1_11target_archE910ELNS1_3gpuE8ELNS1_3repE0EEENS1_30default_config_static_selectorELNS0_4arch9wavefront6targetE0EEEvS10_,@function
_ZN7rocprim17ROCPRIM_400000_NS6detail17trampoline_kernelINS0_14default_configENS1_21merge_config_selectorINS0_5tupleIJjjEEENS0_10empty_typeEEEZNS1_10merge_implIS3_NS0_12zip_iteratorINS5_IJN6thrust23THRUST_200600_302600_NS6detail15normal_iteratorINSC_10device_ptrIKjEEEESI_EEEEESK_NSA_INS5_IJNSE_INSF_IjEEEESM_EEEEEPS7_SP_SP_NSC_11hip_rocprim7__merge17predicate_wrapperIjjNSC_4lessIjEEEEEE10hipError_tPvRmT0_T1_T2_T3_T4_T5_mmT6_P12ihipStream_tbEUlT_E_NS1_11comp_targetILNS1_3genE4ELNS1_11target_archE910ELNS1_3gpuE8ELNS1_3repE0EEENS1_30default_config_static_selectorELNS0_4arch9wavefront6targetE0EEEvS10_: ; @_ZN7rocprim17ROCPRIM_400000_NS6detail17trampoline_kernelINS0_14default_configENS1_21merge_config_selectorINS0_5tupleIJjjEEENS0_10empty_typeEEEZNS1_10merge_implIS3_NS0_12zip_iteratorINS5_IJN6thrust23THRUST_200600_302600_NS6detail15normal_iteratorINSC_10device_ptrIKjEEEESI_EEEEESK_NSA_INS5_IJNSE_INSF_IjEEEESM_EEEEEPS7_SP_SP_NSC_11hip_rocprim7__merge17predicate_wrapperIjjNSC_4lessIjEEEEEE10hipError_tPvRmT0_T1_T2_T3_T4_T5_mmT6_P12ihipStream_tbEUlT_E_NS1_11comp_targetILNS1_3genE4ELNS1_11target_archE910ELNS1_3gpuE8ELNS1_3repE0EEENS1_30default_config_static_selectorELNS0_4arch9wavefront6targetE0EEEvS10_
; %bb.0:
	.section	.rodata,"a",@progbits
	.p2align	6, 0x0
	.amdhsa_kernel _ZN7rocprim17ROCPRIM_400000_NS6detail17trampoline_kernelINS0_14default_configENS1_21merge_config_selectorINS0_5tupleIJjjEEENS0_10empty_typeEEEZNS1_10merge_implIS3_NS0_12zip_iteratorINS5_IJN6thrust23THRUST_200600_302600_NS6detail15normal_iteratorINSC_10device_ptrIKjEEEESI_EEEEESK_NSA_INS5_IJNSE_INSF_IjEEEESM_EEEEEPS7_SP_SP_NSC_11hip_rocprim7__merge17predicate_wrapperIjjNSC_4lessIjEEEEEE10hipError_tPvRmT0_T1_T2_T3_T4_T5_mmT6_P12ihipStream_tbEUlT_E_NS1_11comp_targetILNS1_3genE4ELNS1_11target_archE910ELNS1_3gpuE8ELNS1_3repE0EEENS1_30default_config_static_selectorELNS0_4arch9wavefront6targetE0EEEvS10_
		.amdhsa_group_segment_fixed_size 0
		.amdhsa_private_segment_fixed_size 0
		.amdhsa_kernarg_size 64
		.amdhsa_user_sgpr_count 2
		.amdhsa_user_sgpr_dispatch_ptr 0
		.amdhsa_user_sgpr_queue_ptr 0
		.amdhsa_user_sgpr_kernarg_segment_ptr 1
		.amdhsa_user_sgpr_dispatch_id 0
		.amdhsa_user_sgpr_kernarg_preload_length 0
		.amdhsa_user_sgpr_kernarg_preload_offset 0
		.amdhsa_user_sgpr_private_segment_size 0
		.amdhsa_wavefront_size32 1
		.amdhsa_uses_dynamic_stack 0
		.amdhsa_enable_private_segment 0
		.amdhsa_system_sgpr_workgroup_id_x 1
		.amdhsa_system_sgpr_workgroup_id_y 0
		.amdhsa_system_sgpr_workgroup_id_z 0
		.amdhsa_system_sgpr_workgroup_info 0
		.amdhsa_system_vgpr_workitem_id 0
		.amdhsa_next_free_vgpr 1
		.amdhsa_next_free_sgpr 1
		.amdhsa_named_barrier_count 0
		.amdhsa_reserve_vcc 0
		.amdhsa_float_round_mode_32 0
		.amdhsa_float_round_mode_16_64 0
		.amdhsa_float_denorm_mode_32 3
		.amdhsa_float_denorm_mode_16_64 3
		.amdhsa_fp16_overflow 0
		.amdhsa_memory_ordered 1
		.amdhsa_forward_progress 1
		.amdhsa_inst_pref_size 0
		.amdhsa_round_robin_scheduling 0
		.amdhsa_exception_fp_ieee_invalid_op 0
		.amdhsa_exception_fp_denorm_src 0
		.amdhsa_exception_fp_ieee_div_zero 0
		.amdhsa_exception_fp_ieee_overflow 0
		.amdhsa_exception_fp_ieee_underflow 0
		.amdhsa_exception_fp_ieee_inexact 0
		.amdhsa_exception_int_div_zero 0
	.end_amdhsa_kernel
	.section	.text._ZN7rocprim17ROCPRIM_400000_NS6detail17trampoline_kernelINS0_14default_configENS1_21merge_config_selectorINS0_5tupleIJjjEEENS0_10empty_typeEEEZNS1_10merge_implIS3_NS0_12zip_iteratorINS5_IJN6thrust23THRUST_200600_302600_NS6detail15normal_iteratorINSC_10device_ptrIKjEEEESI_EEEEESK_NSA_INS5_IJNSE_INSF_IjEEEESM_EEEEEPS7_SP_SP_NSC_11hip_rocprim7__merge17predicate_wrapperIjjNSC_4lessIjEEEEEE10hipError_tPvRmT0_T1_T2_T3_T4_T5_mmT6_P12ihipStream_tbEUlT_E_NS1_11comp_targetILNS1_3genE4ELNS1_11target_archE910ELNS1_3gpuE8ELNS1_3repE0EEENS1_30default_config_static_selectorELNS0_4arch9wavefront6targetE0EEEvS10_,"axG",@progbits,_ZN7rocprim17ROCPRIM_400000_NS6detail17trampoline_kernelINS0_14default_configENS1_21merge_config_selectorINS0_5tupleIJjjEEENS0_10empty_typeEEEZNS1_10merge_implIS3_NS0_12zip_iteratorINS5_IJN6thrust23THRUST_200600_302600_NS6detail15normal_iteratorINSC_10device_ptrIKjEEEESI_EEEEESK_NSA_INS5_IJNSE_INSF_IjEEEESM_EEEEEPS7_SP_SP_NSC_11hip_rocprim7__merge17predicate_wrapperIjjNSC_4lessIjEEEEEE10hipError_tPvRmT0_T1_T2_T3_T4_T5_mmT6_P12ihipStream_tbEUlT_E_NS1_11comp_targetILNS1_3genE4ELNS1_11target_archE910ELNS1_3gpuE8ELNS1_3repE0EEENS1_30default_config_static_selectorELNS0_4arch9wavefront6targetE0EEEvS10_,comdat
.Lfunc_end135:
	.size	_ZN7rocprim17ROCPRIM_400000_NS6detail17trampoline_kernelINS0_14default_configENS1_21merge_config_selectorINS0_5tupleIJjjEEENS0_10empty_typeEEEZNS1_10merge_implIS3_NS0_12zip_iteratorINS5_IJN6thrust23THRUST_200600_302600_NS6detail15normal_iteratorINSC_10device_ptrIKjEEEESI_EEEEESK_NSA_INS5_IJNSE_INSF_IjEEEESM_EEEEEPS7_SP_SP_NSC_11hip_rocprim7__merge17predicate_wrapperIjjNSC_4lessIjEEEEEE10hipError_tPvRmT0_T1_T2_T3_T4_T5_mmT6_P12ihipStream_tbEUlT_E_NS1_11comp_targetILNS1_3genE4ELNS1_11target_archE910ELNS1_3gpuE8ELNS1_3repE0EEENS1_30default_config_static_selectorELNS0_4arch9wavefront6targetE0EEEvS10_, .Lfunc_end135-_ZN7rocprim17ROCPRIM_400000_NS6detail17trampoline_kernelINS0_14default_configENS1_21merge_config_selectorINS0_5tupleIJjjEEENS0_10empty_typeEEEZNS1_10merge_implIS3_NS0_12zip_iteratorINS5_IJN6thrust23THRUST_200600_302600_NS6detail15normal_iteratorINSC_10device_ptrIKjEEEESI_EEEEESK_NSA_INS5_IJNSE_INSF_IjEEEESM_EEEEEPS7_SP_SP_NSC_11hip_rocprim7__merge17predicate_wrapperIjjNSC_4lessIjEEEEEE10hipError_tPvRmT0_T1_T2_T3_T4_T5_mmT6_P12ihipStream_tbEUlT_E_NS1_11comp_targetILNS1_3genE4ELNS1_11target_archE910ELNS1_3gpuE8ELNS1_3repE0EEENS1_30default_config_static_selectorELNS0_4arch9wavefront6targetE0EEEvS10_
                                        ; -- End function
	.set _ZN7rocprim17ROCPRIM_400000_NS6detail17trampoline_kernelINS0_14default_configENS1_21merge_config_selectorINS0_5tupleIJjjEEENS0_10empty_typeEEEZNS1_10merge_implIS3_NS0_12zip_iteratorINS5_IJN6thrust23THRUST_200600_302600_NS6detail15normal_iteratorINSC_10device_ptrIKjEEEESI_EEEEESK_NSA_INS5_IJNSE_INSF_IjEEEESM_EEEEEPS7_SP_SP_NSC_11hip_rocprim7__merge17predicate_wrapperIjjNSC_4lessIjEEEEEE10hipError_tPvRmT0_T1_T2_T3_T4_T5_mmT6_P12ihipStream_tbEUlT_E_NS1_11comp_targetILNS1_3genE4ELNS1_11target_archE910ELNS1_3gpuE8ELNS1_3repE0EEENS1_30default_config_static_selectorELNS0_4arch9wavefront6targetE0EEEvS10_.num_vgpr, 0
	.set _ZN7rocprim17ROCPRIM_400000_NS6detail17trampoline_kernelINS0_14default_configENS1_21merge_config_selectorINS0_5tupleIJjjEEENS0_10empty_typeEEEZNS1_10merge_implIS3_NS0_12zip_iteratorINS5_IJN6thrust23THRUST_200600_302600_NS6detail15normal_iteratorINSC_10device_ptrIKjEEEESI_EEEEESK_NSA_INS5_IJNSE_INSF_IjEEEESM_EEEEEPS7_SP_SP_NSC_11hip_rocprim7__merge17predicate_wrapperIjjNSC_4lessIjEEEEEE10hipError_tPvRmT0_T1_T2_T3_T4_T5_mmT6_P12ihipStream_tbEUlT_E_NS1_11comp_targetILNS1_3genE4ELNS1_11target_archE910ELNS1_3gpuE8ELNS1_3repE0EEENS1_30default_config_static_selectorELNS0_4arch9wavefront6targetE0EEEvS10_.num_agpr, 0
	.set _ZN7rocprim17ROCPRIM_400000_NS6detail17trampoline_kernelINS0_14default_configENS1_21merge_config_selectorINS0_5tupleIJjjEEENS0_10empty_typeEEEZNS1_10merge_implIS3_NS0_12zip_iteratorINS5_IJN6thrust23THRUST_200600_302600_NS6detail15normal_iteratorINSC_10device_ptrIKjEEEESI_EEEEESK_NSA_INS5_IJNSE_INSF_IjEEEESM_EEEEEPS7_SP_SP_NSC_11hip_rocprim7__merge17predicate_wrapperIjjNSC_4lessIjEEEEEE10hipError_tPvRmT0_T1_T2_T3_T4_T5_mmT6_P12ihipStream_tbEUlT_E_NS1_11comp_targetILNS1_3genE4ELNS1_11target_archE910ELNS1_3gpuE8ELNS1_3repE0EEENS1_30default_config_static_selectorELNS0_4arch9wavefront6targetE0EEEvS10_.numbered_sgpr, 0
	.set _ZN7rocprim17ROCPRIM_400000_NS6detail17trampoline_kernelINS0_14default_configENS1_21merge_config_selectorINS0_5tupleIJjjEEENS0_10empty_typeEEEZNS1_10merge_implIS3_NS0_12zip_iteratorINS5_IJN6thrust23THRUST_200600_302600_NS6detail15normal_iteratorINSC_10device_ptrIKjEEEESI_EEEEESK_NSA_INS5_IJNSE_INSF_IjEEEESM_EEEEEPS7_SP_SP_NSC_11hip_rocprim7__merge17predicate_wrapperIjjNSC_4lessIjEEEEEE10hipError_tPvRmT0_T1_T2_T3_T4_T5_mmT6_P12ihipStream_tbEUlT_E_NS1_11comp_targetILNS1_3genE4ELNS1_11target_archE910ELNS1_3gpuE8ELNS1_3repE0EEENS1_30default_config_static_selectorELNS0_4arch9wavefront6targetE0EEEvS10_.num_named_barrier, 0
	.set _ZN7rocprim17ROCPRIM_400000_NS6detail17trampoline_kernelINS0_14default_configENS1_21merge_config_selectorINS0_5tupleIJjjEEENS0_10empty_typeEEEZNS1_10merge_implIS3_NS0_12zip_iteratorINS5_IJN6thrust23THRUST_200600_302600_NS6detail15normal_iteratorINSC_10device_ptrIKjEEEESI_EEEEESK_NSA_INS5_IJNSE_INSF_IjEEEESM_EEEEEPS7_SP_SP_NSC_11hip_rocprim7__merge17predicate_wrapperIjjNSC_4lessIjEEEEEE10hipError_tPvRmT0_T1_T2_T3_T4_T5_mmT6_P12ihipStream_tbEUlT_E_NS1_11comp_targetILNS1_3genE4ELNS1_11target_archE910ELNS1_3gpuE8ELNS1_3repE0EEENS1_30default_config_static_selectorELNS0_4arch9wavefront6targetE0EEEvS10_.private_seg_size, 0
	.set _ZN7rocprim17ROCPRIM_400000_NS6detail17trampoline_kernelINS0_14default_configENS1_21merge_config_selectorINS0_5tupleIJjjEEENS0_10empty_typeEEEZNS1_10merge_implIS3_NS0_12zip_iteratorINS5_IJN6thrust23THRUST_200600_302600_NS6detail15normal_iteratorINSC_10device_ptrIKjEEEESI_EEEEESK_NSA_INS5_IJNSE_INSF_IjEEEESM_EEEEEPS7_SP_SP_NSC_11hip_rocprim7__merge17predicate_wrapperIjjNSC_4lessIjEEEEEE10hipError_tPvRmT0_T1_T2_T3_T4_T5_mmT6_P12ihipStream_tbEUlT_E_NS1_11comp_targetILNS1_3genE4ELNS1_11target_archE910ELNS1_3gpuE8ELNS1_3repE0EEENS1_30default_config_static_selectorELNS0_4arch9wavefront6targetE0EEEvS10_.uses_vcc, 0
	.set _ZN7rocprim17ROCPRIM_400000_NS6detail17trampoline_kernelINS0_14default_configENS1_21merge_config_selectorINS0_5tupleIJjjEEENS0_10empty_typeEEEZNS1_10merge_implIS3_NS0_12zip_iteratorINS5_IJN6thrust23THRUST_200600_302600_NS6detail15normal_iteratorINSC_10device_ptrIKjEEEESI_EEEEESK_NSA_INS5_IJNSE_INSF_IjEEEESM_EEEEEPS7_SP_SP_NSC_11hip_rocprim7__merge17predicate_wrapperIjjNSC_4lessIjEEEEEE10hipError_tPvRmT0_T1_T2_T3_T4_T5_mmT6_P12ihipStream_tbEUlT_E_NS1_11comp_targetILNS1_3genE4ELNS1_11target_archE910ELNS1_3gpuE8ELNS1_3repE0EEENS1_30default_config_static_selectorELNS0_4arch9wavefront6targetE0EEEvS10_.uses_flat_scratch, 0
	.set _ZN7rocprim17ROCPRIM_400000_NS6detail17trampoline_kernelINS0_14default_configENS1_21merge_config_selectorINS0_5tupleIJjjEEENS0_10empty_typeEEEZNS1_10merge_implIS3_NS0_12zip_iteratorINS5_IJN6thrust23THRUST_200600_302600_NS6detail15normal_iteratorINSC_10device_ptrIKjEEEESI_EEEEESK_NSA_INS5_IJNSE_INSF_IjEEEESM_EEEEEPS7_SP_SP_NSC_11hip_rocprim7__merge17predicate_wrapperIjjNSC_4lessIjEEEEEE10hipError_tPvRmT0_T1_T2_T3_T4_T5_mmT6_P12ihipStream_tbEUlT_E_NS1_11comp_targetILNS1_3genE4ELNS1_11target_archE910ELNS1_3gpuE8ELNS1_3repE0EEENS1_30default_config_static_selectorELNS0_4arch9wavefront6targetE0EEEvS10_.has_dyn_sized_stack, 0
	.set _ZN7rocprim17ROCPRIM_400000_NS6detail17trampoline_kernelINS0_14default_configENS1_21merge_config_selectorINS0_5tupleIJjjEEENS0_10empty_typeEEEZNS1_10merge_implIS3_NS0_12zip_iteratorINS5_IJN6thrust23THRUST_200600_302600_NS6detail15normal_iteratorINSC_10device_ptrIKjEEEESI_EEEEESK_NSA_INS5_IJNSE_INSF_IjEEEESM_EEEEEPS7_SP_SP_NSC_11hip_rocprim7__merge17predicate_wrapperIjjNSC_4lessIjEEEEEE10hipError_tPvRmT0_T1_T2_T3_T4_T5_mmT6_P12ihipStream_tbEUlT_E_NS1_11comp_targetILNS1_3genE4ELNS1_11target_archE910ELNS1_3gpuE8ELNS1_3repE0EEENS1_30default_config_static_selectorELNS0_4arch9wavefront6targetE0EEEvS10_.has_recursion, 0
	.set _ZN7rocprim17ROCPRIM_400000_NS6detail17trampoline_kernelINS0_14default_configENS1_21merge_config_selectorINS0_5tupleIJjjEEENS0_10empty_typeEEEZNS1_10merge_implIS3_NS0_12zip_iteratorINS5_IJN6thrust23THRUST_200600_302600_NS6detail15normal_iteratorINSC_10device_ptrIKjEEEESI_EEEEESK_NSA_INS5_IJNSE_INSF_IjEEEESM_EEEEEPS7_SP_SP_NSC_11hip_rocprim7__merge17predicate_wrapperIjjNSC_4lessIjEEEEEE10hipError_tPvRmT0_T1_T2_T3_T4_T5_mmT6_P12ihipStream_tbEUlT_E_NS1_11comp_targetILNS1_3genE4ELNS1_11target_archE910ELNS1_3gpuE8ELNS1_3repE0EEENS1_30default_config_static_selectorELNS0_4arch9wavefront6targetE0EEEvS10_.has_indirect_call, 0
	.section	.AMDGPU.csdata,"",@progbits
; Kernel info:
; codeLenInByte = 0
; TotalNumSgprs: 0
; NumVgprs: 0
; ScratchSize: 0
; MemoryBound: 0
; FloatMode: 240
; IeeeMode: 1
; LDSByteSize: 0 bytes/workgroup (compile time only)
; SGPRBlocks: 0
; VGPRBlocks: 0
; NumSGPRsForWavesPerEU: 1
; NumVGPRsForWavesPerEU: 1
; NamedBarCnt: 0
; Occupancy: 16
; WaveLimiterHint : 0
; COMPUTE_PGM_RSRC2:SCRATCH_EN: 0
; COMPUTE_PGM_RSRC2:USER_SGPR: 2
; COMPUTE_PGM_RSRC2:TRAP_HANDLER: 0
; COMPUTE_PGM_RSRC2:TGID_X_EN: 1
; COMPUTE_PGM_RSRC2:TGID_Y_EN: 0
; COMPUTE_PGM_RSRC2:TGID_Z_EN: 0
; COMPUTE_PGM_RSRC2:TIDIG_COMP_CNT: 0
	.section	.text._ZN7rocprim17ROCPRIM_400000_NS6detail17trampoline_kernelINS0_14default_configENS1_21merge_config_selectorINS0_5tupleIJjjEEENS0_10empty_typeEEEZNS1_10merge_implIS3_NS0_12zip_iteratorINS5_IJN6thrust23THRUST_200600_302600_NS6detail15normal_iteratorINSC_10device_ptrIKjEEEESI_EEEEESK_NSA_INS5_IJNSE_INSF_IjEEEESM_EEEEEPS7_SP_SP_NSC_11hip_rocprim7__merge17predicate_wrapperIjjNSC_4lessIjEEEEEE10hipError_tPvRmT0_T1_T2_T3_T4_T5_mmT6_P12ihipStream_tbEUlT_E_NS1_11comp_targetILNS1_3genE3ELNS1_11target_archE908ELNS1_3gpuE7ELNS1_3repE0EEENS1_30default_config_static_selectorELNS0_4arch9wavefront6targetE0EEEvS10_,"axG",@progbits,_ZN7rocprim17ROCPRIM_400000_NS6detail17trampoline_kernelINS0_14default_configENS1_21merge_config_selectorINS0_5tupleIJjjEEENS0_10empty_typeEEEZNS1_10merge_implIS3_NS0_12zip_iteratorINS5_IJN6thrust23THRUST_200600_302600_NS6detail15normal_iteratorINSC_10device_ptrIKjEEEESI_EEEEESK_NSA_INS5_IJNSE_INSF_IjEEEESM_EEEEEPS7_SP_SP_NSC_11hip_rocprim7__merge17predicate_wrapperIjjNSC_4lessIjEEEEEE10hipError_tPvRmT0_T1_T2_T3_T4_T5_mmT6_P12ihipStream_tbEUlT_E_NS1_11comp_targetILNS1_3genE3ELNS1_11target_archE908ELNS1_3gpuE7ELNS1_3repE0EEENS1_30default_config_static_selectorELNS0_4arch9wavefront6targetE0EEEvS10_,comdat
	.protected	_ZN7rocprim17ROCPRIM_400000_NS6detail17trampoline_kernelINS0_14default_configENS1_21merge_config_selectorINS0_5tupleIJjjEEENS0_10empty_typeEEEZNS1_10merge_implIS3_NS0_12zip_iteratorINS5_IJN6thrust23THRUST_200600_302600_NS6detail15normal_iteratorINSC_10device_ptrIKjEEEESI_EEEEESK_NSA_INS5_IJNSE_INSF_IjEEEESM_EEEEEPS7_SP_SP_NSC_11hip_rocprim7__merge17predicate_wrapperIjjNSC_4lessIjEEEEEE10hipError_tPvRmT0_T1_T2_T3_T4_T5_mmT6_P12ihipStream_tbEUlT_E_NS1_11comp_targetILNS1_3genE3ELNS1_11target_archE908ELNS1_3gpuE7ELNS1_3repE0EEENS1_30default_config_static_selectorELNS0_4arch9wavefront6targetE0EEEvS10_ ; -- Begin function _ZN7rocprim17ROCPRIM_400000_NS6detail17trampoline_kernelINS0_14default_configENS1_21merge_config_selectorINS0_5tupleIJjjEEENS0_10empty_typeEEEZNS1_10merge_implIS3_NS0_12zip_iteratorINS5_IJN6thrust23THRUST_200600_302600_NS6detail15normal_iteratorINSC_10device_ptrIKjEEEESI_EEEEESK_NSA_INS5_IJNSE_INSF_IjEEEESM_EEEEEPS7_SP_SP_NSC_11hip_rocprim7__merge17predicate_wrapperIjjNSC_4lessIjEEEEEE10hipError_tPvRmT0_T1_T2_T3_T4_T5_mmT6_P12ihipStream_tbEUlT_E_NS1_11comp_targetILNS1_3genE3ELNS1_11target_archE908ELNS1_3gpuE7ELNS1_3repE0EEENS1_30default_config_static_selectorELNS0_4arch9wavefront6targetE0EEEvS10_
	.globl	_ZN7rocprim17ROCPRIM_400000_NS6detail17trampoline_kernelINS0_14default_configENS1_21merge_config_selectorINS0_5tupleIJjjEEENS0_10empty_typeEEEZNS1_10merge_implIS3_NS0_12zip_iteratorINS5_IJN6thrust23THRUST_200600_302600_NS6detail15normal_iteratorINSC_10device_ptrIKjEEEESI_EEEEESK_NSA_INS5_IJNSE_INSF_IjEEEESM_EEEEEPS7_SP_SP_NSC_11hip_rocprim7__merge17predicate_wrapperIjjNSC_4lessIjEEEEEE10hipError_tPvRmT0_T1_T2_T3_T4_T5_mmT6_P12ihipStream_tbEUlT_E_NS1_11comp_targetILNS1_3genE3ELNS1_11target_archE908ELNS1_3gpuE7ELNS1_3repE0EEENS1_30default_config_static_selectorELNS0_4arch9wavefront6targetE0EEEvS10_
	.p2align	8
	.type	_ZN7rocprim17ROCPRIM_400000_NS6detail17trampoline_kernelINS0_14default_configENS1_21merge_config_selectorINS0_5tupleIJjjEEENS0_10empty_typeEEEZNS1_10merge_implIS3_NS0_12zip_iteratorINS5_IJN6thrust23THRUST_200600_302600_NS6detail15normal_iteratorINSC_10device_ptrIKjEEEESI_EEEEESK_NSA_INS5_IJNSE_INSF_IjEEEESM_EEEEEPS7_SP_SP_NSC_11hip_rocprim7__merge17predicate_wrapperIjjNSC_4lessIjEEEEEE10hipError_tPvRmT0_T1_T2_T3_T4_T5_mmT6_P12ihipStream_tbEUlT_E_NS1_11comp_targetILNS1_3genE3ELNS1_11target_archE908ELNS1_3gpuE7ELNS1_3repE0EEENS1_30default_config_static_selectorELNS0_4arch9wavefront6targetE0EEEvS10_,@function
_ZN7rocprim17ROCPRIM_400000_NS6detail17trampoline_kernelINS0_14default_configENS1_21merge_config_selectorINS0_5tupleIJjjEEENS0_10empty_typeEEEZNS1_10merge_implIS3_NS0_12zip_iteratorINS5_IJN6thrust23THRUST_200600_302600_NS6detail15normal_iteratorINSC_10device_ptrIKjEEEESI_EEEEESK_NSA_INS5_IJNSE_INSF_IjEEEESM_EEEEEPS7_SP_SP_NSC_11hip_rocprim7__merge17predicate_wrapperIjjNSC_4lessIjEEEEEE10hipError_tPvRmT0_T1_T2_T3_T4_T5_mmT6_P12ihipStream_tbEUlT_E_NS1_11comp_targetILNS1_3genE3ELNS1_11target_archE908ELNS1_3gpuE7ELNS1_3repE0EEENS1_30default_config_static_selectorELNS0_4arch9wavefront6targetE0EEEvS10_: ; @_ZN7rocprim17ROCPRIM_400000_NS6detail17trampoline_kernelINS0_14default_configENS1_21merge_config_selectorINS0_5tupleIJjjEEENS0_10empty_typeEEEZNS1_10merge_implIS3_NS0_12zip_iteratorINS5_IJN6thrust23THRUST_200600_302600_NS6detail15normal_iteratorINSC_10device_ptrIKjEEEESI_EEEEESK_NSA_INS5_IJNSE_INSF_IjEEEESM_EEEEEPS7_SP_SP_NSC_11hip_rocprim7__merge17predicate_wrapperIjjNSC_4lessIjEEEEEE10hipError_tPvRmT0_T1_T2_T3_T4_T5_mmT6_P12ihipStream_tbEUlT_E_NS1_11comp_targetILNS1_3genE3ELNS1_11target_archE908ELNS1_3gpuE7ELNS1_3repE0EEENS1_30default_config_static_selectorELNS0_4arch9wavefront6targetE0EEEvS10_
; %bb.0:
	.section	.rodata,"a",@progbits
	.p2align	6, 0x0
	.amdhsa_kernel _ZN7rocprim17ROCPRIM_400000_NS6detail17trampoline_kernelINS0_14default_configENS1_21merge_config_selectorINS0_5tupleIJjjEEENS0_10empty_typeEEEZNS1_10merge_implIS3_NS0_12zip_iteratorINS5_IJN6thrust23THRUST_200600_302600_NS6detail15normal_iteratorINSC_10device_ptrIKjEEEESI_EEEEESK_NSA_INS5_IJNSE_INSF_IjEEEESM_EEEEEPS7_SP_SP_NSC_11hip_rocprim7__merge17predicate_wrapperIjjNSC_4lessIjEEEEEE10hipError_tPvRmT0_T1_T2_T3_T4_T5_mmT6_P12ihipStream_tbEUlT_E_NS1_11comp_targetILNS1_3genE3ELNS1_11target_archE908ELNS1_3gpuE7ELNS1_3repE0EEENS1_30default_config_static_selectorELNS0_4arch9wavefront6targetE0EEEvS10_
		.amdhsa_group_segment_fixed_size 0
		.amdhsa_private_segment_fixed_size 0
		.amdhsa_kernarg_size 64
		.amdhsa_user_sgpr_count 2
		.amdhsa_user_sgpr_dispatch_ptr 0
		.amdhsa_user_sgpr_queue_ptr 0
		.amdhsa_user_sgpr_kernarg_segment_ptr 1
		.amdhsa_user_sgpr_dispatch_id 0
		.amdhsa_user_sgpr_kernarg_preload_length 0
		.amdhsa_user_sgpr_kernarg_preload_offset 0
		.amdhsa_user_sgpr_private_segment_size 0
		.amdhsa_wavefront_size32 1
		.amdhsa_uses_dynamic_stack 0
		.amdhsa_enable_private_segment 0
		.amdhsa_system_sgpr_workgroup_id_x 1
		.amdhsa_system_sgpr_workgroup_id_y 0
		.amdhsa_system_sgpr_workgroup_id_z 0
		.amdhsa_system_sgpr_workgroup_info 0
		.amdhsa_system_vgpr_workitem_id 0
		.amdhsa_next_free_vgpr 1
		.amdhsa_next_free_sgpr 1
		.amdhsa_named_barrier_count 0
		.amdhsa_reserve_vcc 0
		.amdhsa_float_round_mode_32 0
		.amdhsa_float_round_mode_16_64 0
		.amdhsa_float_denorm_mode_32 3
		.amdhsa_float_denorm_mode_16_64 3
		.amdhsa_fp16_overflow 0
		.amdhsa_memory_ordered 1
		.amdhsa_forward_progress 1
		.amdhsa_inst_pref_size 0
		.amdhsa_round_robin_scheduling 0
		.amdhsa_exception_fp_ieee_invalid_op 0
		.amdhsa_exception_fp_denorm_src 0
		.amdhsa_exception_fp_ieee_div_zero 0
		.amdhsa_exception_fp_ieee_overflow 0
		.amdhsa_exception_fp_ieee_underflow 0
		.amdhsa_exception_fp_ieee_inexact 0
		.amdhsa_exception_int_div_zero 0
	.end_amdhsa_kernel
	.section	.text._ZN7rocprim17ROCPRIM_400000_NS6detail17trampoline_kernelINS0_14default_configENS1_21merge_config_selectorINS0_5tupleIJjjEEENS0_10empty_typeEEEZNS1_10merge_implIS3_NS0_12zip_iteratorINS5_IJN6thrust23THRUST_200600_302600_NS6detail15normal_iteratorINSC_10device_ptrIKjEEEESI_EEEEESK_NSA_INS5_IJNSE_INSF_IjEEEESM_EEEEEPS7_SP_SP_NSC_11hip_rocprim7__merge17predicate_wrapperIjjNSC_4lessIjEEEEEE10hipError_tPvRmT0_T1_T2_T3_T4_T5_mmT6_P12ihipStream_tbEUlT_E_NS1_11comp_targetILNS1_3genE3ELNS1_11target_archE908ELNS1_3gpuE7ELNS1_3repE0EEENS1_30default_config_static_selectorELNS0_4arch9wavefront6targetE0EEEvS10_,"axG",@progbits,_ZN7rocprim17ROCPRIM_400000_NS6detail17trampoline_kernelINS0_14default_configENS1_21merge_config_selectorINS0_5tupleIJjjEEENS0_10empty_typeEEEZNS1_10merge_implIS3_NS0_12zip_iteratorINS5_IJN6thrust23THRUST_200600_302600_NS6detail15normal_iteratorINSC_10device_ptrIKjEEEESI_EEEEESK_NSA_INS5_IJNSE_INSF_IjEEEESM_EEEEEPS7_SP_SP_NSC_11hip_rocprim7__merge17predicate_wrapperIjjNSC_4lessIjEEEEEE10hipError_tPvRmT0_T1_T2_T3_T4_T5_mmT6_P12ihipStream_tbEUlT_E_NS1_11comp_targetILNS1_3genE3ELNS1_11target_archE908ELNS1_3gpuE7ELNS1_3repE0EEENS1_30default_config_static_selectorELNS0_4arch9wavefront6targetE0EEEvS10_,comdat
.Lfunc_end136:
	.size	_ZN7rocprim17ROCPRIM_400000_NS6detail17trampoline_kernelINS0_14default_configENS1_21merge_config_selectorINS0_5tupleIJjjEEENS0_10empty_typeEEEZNS1_10merge_implIS3_NS0_12zip_iteratorINS5_IJN6thrust23THRUST_200600_302600_NS6detail15normal_iteratorINSC_10device_ptrIKjEEEESI_EEEEESK_NSA_INS5_IJNSE_INSF_IjEEEESM_EEEEEPS7_SP_SP_NSC_11hip_rocprim7__merge17predicate_wrapperIjjNSC_4lessIjEEEEEE10hipError_tPvRmT0_T1_T2_T3_T4_T5_mmT6_P12ihipStream_tbEUlT_E_NS1_11comp_targetILNS1_3genE3ELNS1_11target_archE908ELNS1_3gpuE7ELNS1_3repE0EEENS1_30default_config_static_selectorELNS0_4arch9wavefront6targetE0EEEvS10_, .Lfunc_end136-_ZN7rocprim17ROCPRIM_400000_NS6detail17trampoline_kernelINS0_14default_configENS1_21merge_config_selectorINS0_5tupleIJjjEEENS0_10empty_typeEEEZNS1_10merge_implIS3_NS0_12zip_iteratorINS5_IJN6thrust23THRUST_200600_302600_NS6detail15normal_iteratorINSC_10device_ptrIKjEEEESI_EEEEESK_NSA_INS5_IJNSE_INSF_IjEEEESM_EEEEEPS7_SP_SP_NSC_11hip_rocprim7__merge17predicate_wrapperIjjNSC_4lessIjEEEEEE10hipError_tPvRmT0_T1_T2_T3_T4_T5_mmT6_P12ihipStream_tbEUlT_E_NS1_11comp_targetILNS1_3genE3ELNS1_11target_archE908ELNS1_3gpuE7ELNS1_3repE0EEENS1_30default_config_static_selectorELNS0_4arch9wavefront6targetE0EEEvS10_
                                        ; -- End function
	.set _ZN7rocprim17ROCPRIM_400000_NS6detail17trampoline_kernelINS0_14default_configENS1_21merge_config_selectorINS0_5tupleIJjjEEENS0_10empty_typeEEEZNS1_10merge_implIS3_NS0_12zip_iteratorINS5_IJN6thrust23THRUST_200600_302600_NS6detail15normal_iteratorINSC_10device_ptrIKjEEEESI_EEEEESK_NSA_INS5_IJNSE_INSF_IjEEEESM_EEEEEPS7_SP_SP_NSC_11hip_rocprim7__merge17predicate_wrapperIjjNSC_4lessIjEEEEEE10hipError_tPvRmT0_T1_T2_T3_T4_T5_mmT6_P12ihipStream_tbEUlT_E_NS1_11comp_targetILNS1_3genE3ELNS1_11target_archE908ELNS1_3gpuE7ELNS1_3repE0EEENS1_30default_config_static_selectorELNS0_4arch9wavefront6targetE0EEEvS10_.num_vgpr, 0
	.set _ZN7rocprim17ROCPRIM_400000_NS6detail17trampoline_kernelINS0_14default_configENS1_21merge_config_selectorINS0_5tupleIJjjEEENS0_10empty_typeEEEZNS1_10merge_implIS3_NS0_12zip_iteratorINS5_IJN6thrust23THRUST_200600_302600_NS6detail15normal_iteratorINSC_10device_ptrIKjEEEESI_EEEEESK_NSA_INS5_IJNSE_INSF_IjEEEESM_EEEEEPS7_SP_SP_NSC_11hip_rocprim7__merge17predicate_wrapperIjjNSC_4lessIjEEEEEE10hipError_tPvRmT0_T1_T2_T3_T4_T5_mmT6_P12ihipStream_tbEUlT_E_NS1_11comp_targetILNS1_3genE3ELNS1_11target_archE908ELNS1_3gpuE7ELNS1_3repE0EEENS1_30default_config_static_selectorELNS0_4arch9wavefront6targetE0EEEvS10_.num_agpr, 0
	.set _ZN7rocprim17ROCPRIM_400000_NS6detail17trampoline_kernelINS0_14default_configENS1_21merge_config_selectorINS0_5tupleIJjjEEENS0_10empty_typeEEEZNS1_10merge_implIS3_NS0_12zip_iteratorINS5_IJN6thrust23THRUST_200600_302600_NS6detail15normal_iteratorINSC_10device_ptrIKjEEEESI_EEEEESK_NSA_INS5_IJNSE_INSF_IjEEEESM_EEEEEPS7_SP_SP_NSC_11hip_rocprim7__merge17predicate_wrapperIjjNSC_4lessIjEEEEEE10hipError_tPvRmT0_T1_T2_T3_T4_T5_mmT6_P12ihipStream_tbEUlT_E_NS1_11comp_targetILNS1_3genE3ELNS1_11target_archE908ELNS1_3gpuE7ELNS1_3repE0EEENS1_30default_config_static_selectorELNS0_4arch9wavefront6targetE0EEEvS10_.numbered_sgpr, 0
	.set _ZN7rocprim17ROCPRIM_400000_NS6detail17trampoline_kernelINS0_14default_configENS1_21merge_config_selectorINS0_5tupleIJjjEEENS0_10empty_typeEEEZNS1_10merge_implIS3_NS0_12zip_iteratorINS5_IJN6thrust23THRUST_200600_302600_NS6detail15normal_iteratorINSC_10device_ptrIKjEEEESI_EEEEESK_NSA_INS5_IJNSE_INSF_IjEEEESM_EEEEEPS7_SP_SP_NSC_11hip_rocprim7__merge17predicate_wrapperIjjNSC_4lessIjEEEEEE10hipError_tPvRmT0_T1_T2_T3_T4_T5_mmT6_P12ihipStream_tbEUlT_E_NS1_11comp_targetILNS1_3genE3ELNS1_11target_archE908ELNS1_3gpuE7ELNS1_3repE0EEENS1_30default_config_static_selectorELNS0_4arch9wavefront6targetE0EEEvS10_.num_named_barrier, 0
	.set _ZN7rocprim17ROCPRIM_400000_NS6detail17trampoline_kernelINS0_14default_configENS1_21merge_config_selectorINS0_5tupleIJjjEEENS0_10empty_typeEEEZNS1_10merge_implIS3_NS0_12zip_iteratorINS5_IJN6thrust23THRUST_200600_302600_NS6detail15normal_iteratorINSC_10device_ptrIKjEEEESI_EEEEESK_NSA_INS5_IJNSE_INSF_IjEEEESM_EEEEEPS7_SP_SP_NSC_11hip_rocprim7__merge17predicate_wrapperIjjNSC_4lessIjEEEEEE10hipError_tPvRmT0_T1_T2_T3_T4_T5_mmT6_P12ihipStream_tbEUlT_E_NS1_11comp_targetILNS1_3genE3ELNS1_11target_archE908ELNS1_3gpuE7ELNS1_3repE0EEENS1_30default_config_static_selectorELNS0_4arch9wavefront6targetE0EEEvS10_.private_seg_size, 0
	.set _ZN7rocprim17ROCPRIM_400000_NS6detail17trampoline_kernelINS0_14default_configENS1_21merge_config_selectorINS0_5tupleIJjjEEENS0_10empty_typeEEEZNS1_10merge_implIS3_NS0_12zip_iteratorINS5_IJN6thrust23THRUST_200600_302600_NS6detail15normal_iteratorINSC_10device_ptrIKjEEEESI_EEEEESK_NSA_INS5_IJNSE_INSF_IjEEEESM_EEEEEPS7_SP_SP_NSC_11hip_rocprim7__merge17predicate_wrapperIjjNSC_4lessIjEEEEEE10hipError_tPvRmT0_T1_T2_T3_T4_T5_mmT6_P12ihipStream_tbEUlT_E_NS1_11comp_targetILNS1_3genE3ELNS1_11target_archE908ELNS1_3gpuE7ELNS1_3repE0EEENS1_30default_config_static_selectorELNS0_4arch9wavefront6targetE0EEEvS10_.uses_vcc, 0
	.set _ZN7rocprim17ROCPRIM_400000_NS6detail17trampoline_kernelINS0_14default_configENS1_21merge_config_selectorINS0_5tupleIJjjEEENS0_10empty_typeEEEZNS1_10merge_implIS3_NS0_12zip_iteratorINS5_IJN6thrust23THRUST_200600_302600_NS6detail15normal_iteratorINSC_10device_ptrIKjEEEESI_EEEEESK_NSA_INS5_IJNSE_INSF_IjEEEESM_EEEEEPS7_SP_SP_NSC_11hip_rocprim7__merge17predicate_wrapperIjjNSC_4lessIjEEEEEE10hipError_tPvRmT0_T1_T2_T3_T4_T5_mmT6_P12ihipStream_tbEUlT_E_NS1_11comp_targetILNS1_3genE3ELNS1_11target_archE908ELNS1_3gpuE7ELNS1_3repE0EEENS1_30default_config_static_selectorELNS0_4arch9wavefront6targetE0EEEvS10_.uses_flat_scratch, 0
	.set _ZN7rocprim17ROCPRIM_400000_NS6detail17trampoline_kernelINS0_14default_configENS1_21merge_config_selectorINS0_5tupleIJjjEEENS0_10empty_typeEEEZNS1_10merge_implIS3_NS0_12zip_iteratorINS5_IJN6thrust23THRUST_200600_302600_NS6detail15normal_iteratorINSC_10device_ptrIKjEEEESI_EEEEESK_NSA_INS5_IJNSE_INSF_IjEEEESM_EEEEEPS7_SP_SP_NSC_11hip_rocprim7__merge17predicate_wrapperIjjNSC_4lessIjEEEEEE10hipError_tPvRmT0_T1_T2_T3_T4_T5_mmT6_P12ihipStream_tbEUlT_E_NS1_11comp_targetILNS1_3genE3ELNS1_11target_archE908ELNS1_3gpuE7ELNS1_3repE0EEENS1_30default_config_static_selectorELNS0_4arch9wavefront6targetE0EEEvS10_.has_dyn_sized_stack, 0
	.set _ZN7rocprim17ROCPRIM_400000_NS6detail17trampoline_kernelINS0_14default_configENS1_21merge_config_selectorINS0_5tupleIJjjEEENS0_10empty_typeEEEZNS1_10merge_implIS3_NS0_12zip_iteratorINS5_IJN6thrust23THRUST_200600_302600_NS6detail15normal_iteratorINSC_10device_ptrIKjEEEESI_EEEEESK_NSA_INS5_IJNSE_INSF_IjEEEESM_EEEEEPS7_SP_SP_NSC_11hip_rocprim7__merge17predicate_wrapperIjjNSC_4lessIjEEEEEE10hipError_tPvRmT0_T1_T2_T3_T4_T5_mmT6_P12ihipStream_tbEUlT_E_NS1_11comp_targetILNS1_3genE3ELNS1_11target_archE908ELNS1_3gpuE7ELNS1_3repE0EEENS1_30default_config_static_selectorELNS0_4arch9wavefront6targetE0EEEvS10_.has_recursion, 0
	.set _ZN7rocprim17ROCPRIM_400000_NS6detail17trampoline_kernelINS0_14default_configENS1_21merge_config_selectorINS0_5tupleIJjjEEENS0_10empty_typeEEEZNS1_10merge_implIS3_NS0_12zip_iteratorINS5_IJN6thrust23THRUST_200600_302600_NS6detail15normal_iteratorINSC_10device_ptrIKjEEEESI_EEEEESK_NSA_INS5_IJNSE_INSF_IjEEEESM_EEEEEPS7_SP_SP_NSC_11hip_rocprim7__merge17predicate_wrapperIjjNSC_4lessIjEEEEEE10hipError_tPvRmT0_T1_T2_T3_T4_T5_mmT6_P12ihipStream_tbEUlT_E_NS1_11comp_targetILNS1_3genE3ELNS1_11target_archE908ELNS1_3gpuE7ELNS1_3repE0EEENS1_30default_config_static_selectorELNS0_4arch9wavefront6targetE0EEEvS10_.has_indirect_call, 0
	.section	.AMDGPU.csdata,"",@progbits
; Kernel info:
; codeLenInByte = 0
; TotalNumSgprs: 0
; NumVgprs: 0
; ScratchSize: 0
; MemoryBound: 0
; FloatMode: 240
; IeeeMode: 1
; LDSByteSize: 0 bytes/workgroup (compile time only)
; SGPRBlocks: 0
; VGPRBlocks: 0
; NumSGPRsForWavesPerEU: 1
; NumVGPRsForWavesPerEU: 1
; NamedBarCnt: 0
; Occupancy: 16
; WaveLimiterHint : 0
; COMPUTE_PGM_RSRC2:SCRATCH_EN: 0
; COMPUTE_PGM_RSRC2:USER_SGPR: 2
; COMPUTE_PGM_RSRC2:TRAP_HANDLER: 0
; COMPUTE_PGM_RSRC2:TGID_X_EN: 1
; COMPUTE_PGM_RSRC2:TGID_Y_EN: 0
; COMPUTE_PGM_RSRC2:TGID_Z_EN: 0
; COMPUTE_PGM_RSRC2:TIDIG_COMP_CNT: 0
	.section	.text._ZN7rocprim17ROCPRIM_400000_NS6detail17trampoline_kernelINS0_14default_configENS1_21merge_config_selectorINS0_5tupleIJjjEEENS0_10empty_typeEEEZNS1_10merge_implIS3_NS0_12zip_iteratorINS5_IJN6thrust23THRUST_200600_302600_NS6detail15normal_iteratorINSC_10device_ptrIKjEEEESI_EEEEESK_NSA_INS5_IJNSE_INSF_IjEEEESM_EEEEEPS7_SP_SP_NSC_11hip_rocprim7__merge17predicate_wrapperIjjNSC_4lessIjEEEEEE10hipError_tPvRmT0_T1_T2_T3_T4_T5_mmT6_P12ihipStream_tbEUlT_E_NS1_11comp_targetILNS1_3genE2ELNS1_11target_archE906ELNS1_3gpuE6ELNS1_3repE0EEENS1_30default_config_static_selectorELNS0_4arch9wavefront6targetE0EEEvS10_,"axG",@progbits,_ZN7rocprim17ROCPRIM_400000_NS6detail17trampoline_kernelINS0_14default_configENS1_21merge_config_selectorINS0_5tupleIJjjEEENS0_10empty_typeEEEZNS1_10merge_implIS3_NS0_12zip_iteratorINS5_IJN6thrust23THRUST_200600_302600_NS6detail15normal_iteratorINSC_10device_ptrIKjEEEESI_EEEEESK_NSA_INS5_IJNSE_INSF_IjEEEESM_EEEEEPS7_SP_SP_NSC_11hip_rocprim7__merge17predicate_wrapperIjjNSC_4lessIjEEEEEE10hipError_tPvRmT0_T1_T2_T3_T4_T5_mmT6_P12ihipStream_tbEUlT_E_NS1_11comp_targetILNS1_3genE2ELNS1_11target_archE906ELNS1_3gpuE6ELNS1_3repE0EEENS1_30default_config_static_selectorELNS0_4arch9wavefront6targetE0EEEvS10_,comdat
	.protected	_ZN7rocprim17ROCPRIM_400000_NS6detail17trampoline_kernelINS0_14default_configENS1_21merge_config_selectorINS0_5tupleIJjjEEENS0_10empty_typeEEEZNS1_10merge_implIS3_NS0_12zip_iteratorINS5_IJN6thrust23THRUST_200600_302600_NS6detail15normal_iteratorINSC_10device_ptrIKjEEEESI_EEEEESK_NSA_INS5_IJNSE_INSF_IjEEEESM_EEEEEPS7_SP_SP_NSC_11hip_rocprim7__merge17predicate_wrapperIjjNSC_4lessIjEEEEEE10hipError_tPvRmT0_T1_T2_T3_T4_T5_mmT6_P12ihipStream_tbEUlT_E_NS1_11comp_targetILNS1_3genE2ELNS1_11target_archE906ELNS1_3gpuE6ELNS1_3repE0EEENS1_30default_config_static_selectorELNS0_4arch9wavefront6targetE0EEEvS10_ ; -- Begin function _ZN7rocprim17ROCPRIM_400000_NS6detail17trampoline_kernelINS0_14default_configENS1_21merge_config_selectorINS0_5tupleIJjjEEENS0_10empty_typeEEEZNS1_10merge_implIS3_NS0_12zip_iteratorINS5_IJN6thrust23THRUST_200600_302600_NS6detail15normal_iteratorINSC_10device_ptrIKjEEEESI_EEEEESK_NSA_INS5_IJNSE_INSF_IjEEEESM_EEEEEPS7_SP_SP_NSC_11hip_rocprim7__merge17predicate_wrapperIjjNSC_4lessIjEEEEEE10hipError_tPvRmT0_T1_T2_T3_T4_T5_mmT6_P12ihipStream_tbEUlT_E_NS1_11comp_targetILNS1_3genE2ELNS1_11target_archE906ELNS1_3gpuE6ELNS1_3repE0EEENS1_30default_config_static_selectorELNS0_4arch9wavefront6targetE0EEEvS10_
	.globl	_ZN7rocprim17ROCPRIM_400000_NS6detail17trampoline_kernelINS0_14default_configENS1_21merge_config_selectorINS0_5tupleIJjjEEENS0_10empty_typeEEEZNS1_10merge_implIS3_NS0_12zip_iteratorINS5_IJN6thrust23THRUST_200600_302600_NS6detail15normal_iteratorINSC_10device_ptrIKjEEEESI_EEEEESK_NSA_INS5_IJNSE_INSF_IjEEEESM_EEEEEPS7_SP_SP_NSC_11hip_rocprim7__merge17predicate_wrapperIjjNSC_4lessIjEEEEEE10hipError_tPvRmT0_T1_T2_T3_T4_T5_mmT6_P12ihipStream_tbEUlT_E_NS1_11comp_targetILNS1_3genE2ELNS1_11target_archE906ELNS1_3gpuE6ELNS1_3repE0EEENS1_30default_config_static_selectorELNS0_4arch9wavefront6targetE0EEEvS10_
	.p2align	8
	.type	_ZN7rocprim17ROCPRIM_400000_NS6detail17trampoline_kernelINS0_14default_configENS1_21merge_config_selectorINS0_5tupleIJjjEEENS0_10empty_typeEEEZNS1_10merge_implIS3_NS0_12zip_iteratorINS5_IJN6thrust23THRUST_200600_302600_NS6detail15normal_iteratorINSC_10device_ptrIKjEEEESI_EEEEESK_NSA_INS5_IJNSE_INSF_IjEEEESM_EEEEEPS7_SP_SP_NSC_11hip_rocprim7__merge17predicate_wrapperIjjNSC_4lessIjEEEEEE10hipError_tPvRmT0_T1_T2_T3_T4_T5_mmT6_P12ihipStream_tbEUlT_E_NS1_11comp_targetILNS1_3genE2ELNS1_11target_archE906ELNS1_3gpuE6ELNS1_3repE0EEENS1_30default_config_static_selectorELNS0_4arch9wavefront6targetE0EEEvS10_,@function
_ZN7rocprim17ROCPRIM_400000_NS6detail17trampoline_kernelINS0_14default_configENS1_21merge_config_selectorINS0_5tupleIJjjEEENS0_10empty_typeEEEZNS1_10merge_implIS3_NS0_12zip_iteratorINS5_IJN6thrust23THRUST_200600_302600_NS6detail15normal_iteratorINSC_10device_ptrIKjEEEESI_EEEEESK_NSA_INS5_IJNSE_INSF_IjEEEESM_EEEEEPS7_SP_SP_NSC_11hip_rocprim7__merge17predicate_wrapperIjjNSC_4lessIjEEEEEE10hipError_tPvRmT0_T1_T2_T3_T4_T5_mmT6_P12ihipStream_tbEUlT_E_NS1_11comp_targetILNS1_3genE2ELNS1_11target_archE906ELNS1_3gpuE6ELNS1_3repE0EEENS1_30default_config_static_selectorELNS0_4arch9wavefront6targetE0EEEvS10_: ; @_ZN7rocprim17ROCPRIM_400000_NS6detail17trampoline_kernelINS0_14default_configENS1_21merge_config_selectorINS0_5tupleIJjjEEENS0_10empty_typeEEEZNS1_10merge_implIS3_NS0_12zip_iteratorINS5_IJN6thrust23THRUST_200600_302600_NS6detail15normal_iteratorINSC_10device_ptrIKjEEEESI_EEEEESK_NSA_INS5_IJNSE_INSF_IjEEEESM_EEEEEPS7_SP_SP_NSC_11hip_rocprim7__merge17predicate_wrapperIjjNSC_4lessIjEEEEEE10hipError_tPvRmT0_T1_T2_T3_T4_T5_mmT6_P12ihipStream_tbEUlT_E_NS1_11comp_targetILNS1_3genE2ELNS1_11target_archE906ELNS1_3gpuE6ELNS1_3repE0EEENS1_30default_config_static_selectorELNS0_4arch9wavefront6targetE0EEEvS10_
; %bb.0:
	.section	.rodata,"a",@progbits
	.p2align	6, 0x0
	.amdhsa_kernel _ZN7rocprim17ROCPRIM_400000_NS6detail17trampoline_kernelINS0_14default_configENS1_21merge_config_selectorINS0_5tupleIJjjEEENS0_10empty_typeEEEZNS1_10merge_implIS3_NS0_12zip_iteratorINS5_IJN6thrust23THRUST_200600_302600_NS6detail15normal_iteratorINSC_10device_ptrIKjEEEESI_EEEEESK_NSA_INS5_IJNSE_INSF_IjEEEESM_EEEEEPS7_SP_SP_NSC_11hip_rocprim7__merge17predicate_wrapperIjjNSC_4lessIjEEEEEE10hipError_tPvRmT0_T1_T2_T3_T4_T5_mmT6_P12ihipStream_tbEUlT_E_NS1_11comp_targetILNS1_3genE2ELNS1_11target_archE906ELNS1_3gpuE6ELNS1_3repE0EEENS1_30default_config_static_selectorELNS0_4arch9wavefront6targetE0EEEvS10_
		.amdhsa_group_segment_fixed_size 0
		.amdhsa_private_segment_fixed_size 0
		.amdhsa_kernarg_size 64
		.amdhsa_user_sgpr_count 2
		.amdhsa_user_sgpr_dispatch_ptr 0
		.amdhsa_user_sgpr_queue_ptr 0
		.amdhsa_user_sgpr_kernarg_segment_ptr 1
		.amdhsa_user_sgpr_dispatch_id 0
		.amdhsa_user_sgpr_kernarg_preload_length 0
		.amdhsa_user_sgpr_kernarg_preload_offset 0
		.amdhsa_user_sgpr_private_segment_size 0
		.amdhsa_wavefront_size32 1
		.amdhsa_uses_dynamic_stack 0
		.amdhsa_enable_private_segment 0
		.amdhsa_system_sgpr_workgroup_id_x 1
		.amdhsa_system_sgpr_workgroup_id_y 0
		.amdhsa_system_sgpr_workgroup_id_z 0
		.amdhsa_system_sgpr_workgroup_info 0
		.amdhsa_system_vgpr_workitem_id 0
		.amdhsa_next_free_vgpr 1
		.amdhsa_next_free_sgpr 1
		.amdhsa_named_barrier_count 0
		.amdhsa_reserve_vcc 0
		.amdhsa_float_round_mode_32 0
		.amdhsa_float_round_mode_16_64 0
		.amdhsa_float_denorm_mode_32 3
		.amdhsa_float_denorm_mode_16_64 3
		.amdhsa_fp16_overflow 0
		.amdhsa_memory_ordered 1
		.amdhsa_forward_progress 1
		.amdhsa_inst_pref_size 0
		.amdhsa_round_robin_scheduling 0
		.amdhsa_exception_fp_ieee_invalid_op 0
		.amdhsa_exception_fp_denorm_src 0
		.amdhsa_exception_fp_ieee_div_zero 0
		.amdhsa_exception_fp_ieee_overflow 0
		.amdhsa_exception_fp_ieee_underflow 0
		.amdhsa_exception_fp_ieee_inexact 0
		.amdhsa_exception_int_div_zero 0
	.end_amdhsa_kernel
	.section	.text._ZN7rocprim17ROCPRIM_400000_NS6detail17trampoline_kernelINS0_14default_configENS1_21merge_config_selectorINS0_5tupleIJjjEEENS0_10empty_typeEEEZNS1_10merge_implIS3_NS0_12zip_iteratorINS5_IJN6thrust23THRUST_200600_302600_NS6detail15normal_iteratorINSC_10device_ptrIKjEEEESI_EEEEESK_NSA_INS5_IJNSE_INSF_IjEEEESM_EEEEEPS7_SP_SP_NSC_11hip_rocprim7__merge17predicate_wrapperIjjNSC_4lessIjEEEEEE10hipError_tPvRmT0_T1_T2_T3_T4_T5_mmT6_P12ihipStream_tbEUlT_E_NS1_11comp_targetILNS1_3genE2ELNS1_11target_archE906ELNS1_3gpuE6ELNS1_3repE0EEENS1_30default_config_static_selectorELNS0_4arch9wavefront6targetE0EEEvS10_,"axG",@progbits,_ZN7rocprim17ROCPRIM_400000_NS6detail17trampoline_kernelINS0_14default_configENS1_21merge_config_selectorINS0_5tupleIJjjEEENS0_10empty_typeEEEZNS1_10merge_implIS3_NS0_12zip_iteratorINS5_IJN6thrust23THRUST_200600_302600_NS6detail15normal_iteratorINSC_10device_ptrIKjEEEESI_EEEEESK_NSA_INS5_IJNSE_INSF_IjEEEESM_EEEEEPS7_SP_SP_NSC_11hip_rocprim7__merge17predicate_wrapperIjjNSC_4lessIjEEEEEE10hipError_tPvRmT0_T1_T2_T3_T4_T5_mmT6_P12ihipStream_tbEUlT_E_NS1_11comp_targetILNS1_3genE2ELNS1_11target_archE906ELNS1_3gpuE6ELNS1_3repE0EEENS1_30default_config_static_selectorELNS0_4arch9wavefront6targetE0EEEvS10_,comdat
.Lfunc_end137:
	.size	_ZN7rocprim17ROCPRIM_400000_NS6detail17trampoline_kernelINS0_14default_configENS1_21merge_config_selectorINS0_5tupleIJjjEEENS0_10empty_typeEEEZNS1_10merge_implIS3_NS0_12zip_iteratorINS5_IJN6thrust23THRUST_200600_302600_NS6detail15normal_iteratorINSC_10device_ptrIKjEEEESI_EEEEESK_NSA_INS5_IJNSE_INSF_IjEEEESM_EEEEEPS7_SP_SP_NSC_11hip_rocprim7__merge17predicate_wrapperIjjNSC_4lessIjEEEEEE10hipError_tPvRmT0_T1_T2_T3_T4_T5_mmT6_P12ihipStream_tbEUlT_E_NS1_11comp_targetILNS1_3genE2ELNS1_11target_archE906ELNS1_3gpuE6ELNS1_3repE0EEENS1_30default_config_static_selectorELNS0_4arch9wavefront6targetE0EEEvS10_, .Lfunc_end137-_ZN7rocprim17ROCPRIM_400000_NS6detail17trampoline_kernelINS0_14default_configENS1_21merge_config_selectorINS0_5tupleIJjjEEENS0_10empty_typeEEEZNS1_10merge_implIS3_NS0_12zip_iteratorINS5_IJN6thrust23THRUST_200600_302600_NS6detail15normal_iteratorINSC_10device_ptrIKjEEEESI_EEEEESK_NSA_INS5_IJNSE_INSF_IjEEEESM_EEEEEPS7_SP_SP_NSC_11hip_rocprim7__merge17predicate_wrapperIjjNSC_4lessIjEEEEEE10hipError_tPvRmT0_T1_T2_T3_T4_T5_mmT6_P12ihipStream_tbEUlT_E_NS1_11comp_targetILNS1_3genE2ELNS1_11target_archE906ELNS1_3gpuE6ELNS1_3repE0EEENS1_30default_config_static_selectorELNS0_4arch9wavefront6targetE0EEEvS10_
                                        ; -- End function
	.set _ZN7rocprim17ROCPRIM_400000_NS6detail17trampoline_kernelINS0_14default_configENS1_21merge_config_selectorINS0_5tupleIJjjEEENS0_10empty_typeEEEZNS1_10merge_implIS3_NS0_12zip_iteratorINS5_IJN6thrust23THRUST_200600_302600_NS6detail15normal_iteratorINSC_10device_ptrIKjEEEESI_EEEEESK_NSA_INS5_IJNSE_INSF_IjEEEESM_EEEEEPS7_SP_SP_NSC_11hip_rocprim7__merge17predicate_wrapperIjjNSC_4lessIjEEEEEE10hipError_tPvRmT0_T1_T2_T3_T4_T5_mmT6_P12ihipStream_tbEUlT_E_NS1_11comp_targetILNS1_3genE2ELNS1_11target_archE906ELNS1_3gpuE6ELNS1_3repE0EEENS1_30default_config_static_selectorELNS0_4arch9wavefront6targetE0EEEvS10_.num_vgpr, 0
	.set _ZN7rocprim17ROCPRIM_400000_NS6detail17trampoline_kernelINS0_14default_configENS1_21merge_config_selectorINS0_5tupleIJjjEEENS0_10empty_typeEEEZNS1_10merge_implIS3_NS0_12zip_iteratorINS5_IJN6thrust23THRUST_200600_302600_NS6detail15normal_iteratorINSC_10device_ptrIKjEEEESI_EEEEESK_NSA_INS5_IJNSE_INSF_IjEEEESM_EEEEEPS7_SP_SP_NSC_11hip_rocprim7__merge17predicate_wrapperIjjNSC_4lessIjEEEEEE10hipError_tPvRmT0_T1_T2_T3_T4_T5_mmT6_P12ihipStream_tbEUlT_E_NS1_11comp_targetILNS1_3genE2ELNS1_11target_archE906ELNS1_3gpuE6ELNS1_3repE0EEENS1_30default_config_static_selectorELNS0_4arch9wavefront6targetE0EEEvS10_.num_agpr, 0
	.set _ZN7rocprim17ROCPRIM_400000_NS6detail17trampoline_kernelINS0_14default_configENS1_21merge_config_selectorINS0_5tupleIJjjEEENS0_10empty_typeEEEZNS1_10merge_implIS3_NS0_12zip_iteratorINS5_IJN6thrust23THRUST_200600_302600_NS6detail15normal_iteratorINSC_10device_ptrIKjEEEESI_EEEEESK_NSA_INS5_IJNSE_INSF_IjEEEESM_EEEEEPS7_SP_SP_NSC_11hip_rocprim7__merge17predicate_wrapperIjjNSC_4lessIjEEEEEE10hipError_tPvRmT0_T1_T2_T3_T4_T5_mmT6_P12ihipStream_tbEUlT_E_NS1_11comp_targetILNS1_3genE2ELNS1_11target_archE906ELNS1_3gpuE6ELNS1_3repE0EEENS1_30default_config_static_selectorELNS0_4arch9wavefront6targetE0EEEvS10_.numbered_sgpr, 0
	.set _ZN7rocprim17ROCPRIM_400000_NS6detail17trampoline_kernelINS0_14default_configENS1_21merge_config_selectorINS0_5tupleIJjjEEENS0_10empty_typeEEEZNS1_10merge_implIS3_NS0_12zip_iteratorINS5_IJN6thrust23THRUST_200600_302600_NS6detail15normal_iteratorINSC_10device_ptrIKjEEEESI_EEEEESK_NSA_INS5_IJNSE_INSF_IjEEEESM_EEEEEPS7_SP_SP_NSC_11hip_rocprim7__merge17predicate_wrapperIjjNSC_4lessIjEEEEEE10hipError_tPvRmT0_T1_T2_T3_T4_T5_mmT6_P12ihipStream_tbEUlT_E_NS1_11comp_targetILNS1_3genE2ELNS1_11target_archE906ELNS1_3gpuE6ELNS1_3repE0EEENS1_30default_config_static_selectorELNS0_4arch9wavefront6targetE0EEEvS10_.num_named_barrier, 0
	.set _ZN7rocprim17ROCPRIM_400000_NS6detail17trampoline_kernelINS0_14default_configENS1_21merge_config_selectorINS0_5tupleIJjjEEENS0_10empty_typeEEEZNS1_10merge_implIS3_NS0_12zip_iteratorINS5_IJN6thrust23THRUST_200600_302600_NS6detail15normal_iteratorINSC_10device_ptrIKjEEEESI_EEEEESK_NSA_INS5_IJNSE_INSF_IjEEEESM_EEEEEPS7_SP_SP_NSC_11hip_rocprim7__merge17predicate_wrapperIjjNSC_4lessIjEEEEEE10hipError_tPvRmT0_T1_T2_T3_T4_T5_mmT6_P12ihipStream_tbEUlT_E_NS1_11comp_targetILNS1_3genE2ELNS1_11target_archE906ELNS1_3gpuE6ELNS1_3repE0EEENS1_30default_config_static_selectorELNS0_4arch9wavefront6targetE0EEEvS10_.private_seg_size, 0
	.set _ZN7rocprim17ROCPRIM_400000_NS6detail17trampoline_kernelINS0_14default_configENS1_21merge_config_selectorINS0_5tupleIJjjEEENS0_10empty_typeEEEZNS1_10merge_implIS3_NS0_12zip_iteratorINS5_IJN6thrust23THRUST_200600_302600_NS6detail15normal_iteratorINSC_10device_ptrIKjEEEESI_EEEEESK_NSA_INS5_IJNSE_INSF_IjEEEESM_EEEEEPS7_SP_SP_NSC_11hip_rocprim7__merge17predicate_wrapperIjjNSC_4lessIjEEEEEE10hipError_tPvRmT0_T1_T2_T3_T4_T5_mmT6_P12ihipStream_tbEUlT_E_NS1_11comp_targetILNS1_3genE2ELNS1_11target_archE906ELNS1_3gpuE6ELNS1_3repE0EEENS1_30default_config_static_selectorELNS0_4arch9wavefront6targetE0EEEvS10_.uses_vcc, 0
	.set _ZN7rocprim17ROCPRIM_400000_NS6detail17trampoline_kernelINS0_14default_configENS1_21merge_config_selectorINS0_5tupleIJjjEEENS0_10empty_typeEEEZNS1_10merge_implIS3_NS0_12zip_iteratorINS5_IJN6thrust23THRUST_200600_302600_NS6detail15normal_iteratorINSC_10device_ptrIKjEEEESI_EEEEESK_NSA_INS5_IJNSE_INSF_IjEEEESM_EEEEEPS7_SP_SP_NSC_11hip_rocprim7__merge17predicate_wrapperIjjNSC_4lessIjEEEEEE10hipError_tPvRmT0_T1_T2_T3_T4_T5_mmT6_P12ihipStream_tbEUlT_E_NS1_11comp_targetILNS1_3genE2ELNS1_11target_archE906ELNS1_3gpuE6ELNS1_3repE0EEENS1_30default_config_static_selectorELNS0_4arch9wavefront6targetE0EEEvS10_.uses_flat_scratch, 0
	.set _ZN7rocprim17ROCPRIM_400000_NS6detail17trampoline_kernelINS0_14default_configENS1_21merge_config_selectorINS0_5tupleIJjjEEENS0_10empty_typeEEEZNS1_10merge_implIS3_NS0_12zip_iteratorINS5_IJN6thrust23THRUST_200600_302600_NS6detail15normal_iteratorINSC_10device_ptrIKjEEEESI_EEEEESK_NSA_INS5_IJNSE_INSF_IjEEEESM_EEEEEPS7_SP_SP_NSC_11hip_rocprim7__merge17predicate_wrapperIjjNSC_4lessIjEEEEEE10hipError_tPvRmT0_T1_T2_T3_T4_T5_mmT6_P12ihipStream_tbEUlT_E_NS1_11comp_targetILNS1_3genE2ELNS1_11target_archE906ELNS1_3gpuE6ELNS1_3repE0EEENS1_30default_config_static_selectorELNS0_4arch9wavefront6targetE0EEEvS10_.has_dyn_sized_stack, 0
	.set _ZN7rocprim17ROCPRIM_400000_NS6detail17trampoline_kernelINS0_14default_configENS1_21merge_config_selectorINS0_5tupleIJjjEEENS0_10empty_typeEEEZNS1_10merge_implIS3_NS0_12zip_iteratorINS5_IJN6thrust23THRUST_200600_302600_NS6detail15normal_iteratorINSC_10device_ptrIKjEEEESI_EEEEESK_NSA_INS5_IJNSE_INSF_IjEEEESM_EEEEEPS7_SP_SP_NSC_11hip_rocprim7__merge17predicate_wrapperIjjNSC_4lessIjEEEEEE10hipError_tPvRmT0_T1_T2_T3_T4_T5_mmT6_P12ihipStream_tbEUlT_E_NS1_11comp_targetILNS1_3genE2ELNS1_11target_archE906ELNS1_3gpuE6ELNS1_3repE0EEENS1_30default_config_static_selectorELNS0_4arch9wavefront6targetE0EEEvS10_.has_recursion, 0
	.set _ZN7rocprim17ROCPRIM_400000_NS6detail17trampoline_kernelINS0_14default_configENS1_21merge_config_selectorINS0_5tupleIJjjEEENS0_10empty_typeEEEZNS1_10merge_implIS3_NS0_12zip_iteratorINS5_IJN6thrust23THRUST_200600_302600_NS6detail15normal_iteratorINSC_10device_ptrIKjEEEESI_EEEEESK_NSA_INS5_IJNSE_INSF_IjEEEESM_EEEEEPS7_SP_SP_NSC_11hip_rocprim7__merge17predicate_wrapperIjjNSC_4lessIjEEEEEE10hipError_tPvRmT0_T1_T2_T3_T4_T5_mmT6_P12ihipStream_tbEUlT_E_NS1_11comp_targetILNS1_3genE2ELNS1_11target_archE906ELNS1_3gpuE6ELNS1_3repE0EEENS1_30default_config_static_selectorELNS0_4arch9wavefront6targetE0EEEvS10_.has_indirect_call, 0
	.section	.AMDGPU.csdata,"",@progbits
; Kernel info:
; codeLenInByte = 0
; TotalNumSgprs: 0
; NumVgprs: 0
; ScratchSize: 0
; MemoryBound: 0
; FloatMode: 240
; IeeeMode: 1
; LDSByteSize: 0 bytes/workgroup (compile time only)
; SGPRBlocks: 0
; VGPRBlocks: 0
; NumSGPRsForWavesPerEU: 1
; NumVGPRsForWavesPerEU: 1
; NamedBarCnt: 0
; Occupancy: 16
; WaveLimiterHint : 0
; COMPUTE_PGM_RSRC2:SCRATCH_EN: 0
; COMPUTE_PGM_RSRC2:USER_SGPR: 2
; COMPUTE_PGM_RSRC2:TRAP_HANDLER: 0
; COMPUTE_PGM_RSRC2:TGID_X_EN: 1
; COMPUTE_PGM_RSRC2:TGID_Y_EN: 0
; COMPUTE_PGM_RSRC2:TGID_Z_EN: 0
; COMPUTE_PGM_RSRC2:TIDIG_COMP_CNT: 0
	.section	.text._ZN7rocprim17ROCPRIM_400000_NS6detail17trampoline_kernelINS0_14default_configENS1_21merge_config_selectorINS0_5tupleIJjjEEENS0_10empty_typeEEEZNS1_10merge_implIS3_NS0_12zip_iteratorINS5_IJN6thrust23THRUST_200600_302600_NS6detail15normal_iteratorINSC_10device_ptrIKjEEEESI_EEEEESK_NSA_INS5_IJNSE_INSF_IjEEEESM_EEEEEPS7_SP_SP_NSC_11hip_rocprim7__merge17predicate_wrapperIjjNSC_4lessIjEEEEEE10hipError_tPvRmT0_T1_T2_T3_T4_T5_mmT6_P12ihipStream_tbEUlT_E_NS1_11comp_targetILNS1_3genE10ELNS1_11target_archE1201ELNS1_3gpuE5ELNS1_3repE0EEENS1_30default_config_static_selectorELNS0_4arch9wavefront6targetE0EEEvS10_,"axG",@progbits,_ZN7rocprim17ROCPRIM_400000_NS6detail17trampoline_kernelINS0_14default_configENS1_21merge_config_selectorINS0_5tupleIJjjEEENS0_10empty_typeEEEZNS1_10merge_implIS3_NS0_12zip_iteratorINS5_IJN6thrust23THRUST_200600_302600_NS6detail15normal_iteratorINSC_10device_ptrIKjEEEESI_EEEEESK_NSA_INS5_IJNSE_INSF_IjEEEESM_EEEEEPS7_SP_SP_NSC_11hip_rocprim7__merge17predicate_wrapperIjjNSC_4lessIjEEEEEE10hipError_tPvRmT0_T1_T2_T3_T4_T5_mmT6_P12ihipStream_tbEUlT_E_NS1_11comp_targetILNS1_3genE10ELNS1_11target_archE1201ELNS1_3gpuE5ELNS1_3repE0EEENS1_30default_config_static_selectorELNS0_4arch9wavefront6targetE0EEEvS10_,comdat
	.protected	_ZN7rocprim17ROCPRIM_400000_NS6detail17trampoline_kernelINS0_14default_configENS1_21merge_config_selectorINS0_5tupleIJjjEEENS0_10empty_typeEEEZNS1_10merge_implIS3_NS0_12zip_iteratorINS5_IJN6thrust23THRUST_200600_302600_NS6detail15normal_iteratorINSC_10device_ptrIKjEEEESI_EEEEESK_NSA_INS5_IJNSE_INSF_IjEEEESM_EEEEEPS7_SP_SP_NSC_11hip_rocprim7__merge17predicate_wrapperIjjNSC_4lessIjEEEEEE10hipError_tPvRmT0_T1_T2_T3_T4_T5_mmT6_P12ihipStream_tbEUlT_E_NS1_11comp_targetILNS1_3genE10ELNS1_11target_archE1201ELNS1_3gpuE5ELNS1_3repE0EEENS1_30default_config_static_selectorELNS0_4arch9wavefront6targetE0EEEvS10_ ; -- Begin function _ZN7rocprim17ROCPRIM_400000_NS6detail17trampoline_kernelINS0_14default_configENS1_21merge_config_selectorINS0_5tupleIJjjEEENS0_10empty_typeEEEZNS1_10merge_implIS3_NS0_12zip_iteratorINS5_IJN6thrust23THRUST_200600_302600_NS6detail15normal_iteratorINSC_10device_ptrIKjEEEESI_EEEEESK_NSA_INS5_IJNSE_INSF_IjEEEESM_EEEEEPS7_SP_SP_NSC_11hip_rocprim7__merge17predicate_wrapperIjjNSC_4lessIjEEEEEE10hipError_tPvRmT0_T1_T2_T3_T4_T5_mmT6_P12ihipStream_tbEUlT_E_NS1_11comp_targetILNS1_3genE10ELNS1_11target_archE1201ELNS1_3gpuE5ELNS1_3repE0EEENS1_30default_config_static_selectorELNS0_4arch9wavefront6targetE0EEEvS10_
	.globl	_ZN7rocprim17ROCPRIM_400000_NS6detail17trampoline_kernelINS0_14default_configENS1_21merge_config_selectorINS0_5tupleIJjjEEENS0_10empty_typeEEEZNS1_10merge_implIS3_NS0_12zip_iteratorINS5_IJN6thrust23THRUST_200600_302600_NS6detail15normal_iteratorINSC_10device_ptrIKjEEEESI_EEEEESK_NSA_INS5_IJNSE_INSF_IjEEEESM_EEEEEPS7_SP_SP_NSC_11hip_rocprim7__merge17predicate_wrapperIjjNSC_4lessIjEEEEEE10hipError_tPvRmT0_T1_T2_T3_T4_T5_mmT6_P12ihipStream_tbEUlT_E_NS1_11comp_targetILNS1_3genE10ELNS1_11target_archE1201ELNS1_3gpuE5ELNS1_3repE0EEENS1_30default_config_static_selectorELNS0_4arch9wavefront6targetE0EEEvS10_
	.p2align	8
	.type	_ZN7rocprim17ROCPRIM_400000_NS6detail17trampoline_kernelINS0_14default_configENS1_21merge_config_selectorINS0_5tupleIJjjEEENS0_10empty_typeEEEZNS1_10merge_implIS3_NS0_12zip_iteratorINS5_IJN6thrust23THRUST_200600_302600_NS6detail15normal_iteratorINSC_10device_ptrIKjEEEESI_EEEEESK_NSA_INS5_IJNSE_INSF_IjEEEESM_EEEEEPS7_SP_SP_NSC_11hip_rocprim7__merge17predicate_wrapperIjjNSC_4lessIjEEEEEE10hipError_tPvRmT0_T1_T2_T3_T4_T5_mmT6_P12ihipStream_tbEUlT_E_NS1_11comp_targetILNS1_3genE10ELNS1_11target_archE1201ELNS1_3gpuE5ELNS1_3repE0EEENS1_30default_config_static_selectorELNS0_4arch9wavefront6targetE0EEEvS10_,@function
_ZN7rocprim17ROCPRIM_400000_NS6detail17trampoline_kernelINS0_14default_configENS1_21merge_config_selectorINS0_5tupleIJjjEEENS0_10empty_typeEEEZNS1_10merge_implIS3_NS0_12zip_iteratorINS5_IJN6thrust23THRUST_200600_302600_NS6detail15normal_iteratorINSC_10device_ptrIKjEEEESI_EEEEESK_NSA_INS5_IJNSE_INSF_IjEEEESM_EEEEEPS7_SP_SP_NSC_11hip_rocprim7__merge17predicate_wrapperIjjNSC_4lessIjEEEEEE10hipError_tPvRmT0_T1_T2_T3_T4_T5_mmT6_P12ihipStream_tbEUlT_E_NS1_11comp_targetILNS1_3genE10ELNS1_11target_archE1201ELNS1_3gpuE5ELNS1_3repE0EEENS1_30default_config_static_selectorELNS0_4arch9wavefront6targetE0EEEvS10_: ; @_ZN7rocprim17ROCPRIM_400000_NS6detail17trampoline_kernelINS0_14default_configENS1_21merge_config_selectorINS0_5tupleIJjjEEENS0_10empty_typeEEEZNS1_10merge_implIS3_NS0_12zip_iteratorINS5_IJN6thrust23THRUST_200600_302600_NS6detail15normal_iteratorINSC_10device_ptrIKjEEEESI_EEEEESK_NSA_INS5_IJNSE_INSF_IjEEEESM_EEEEEPS7_SP_SP_NSC_11hip_rocprim7__merge17predicate_wrapperIjjNSC_4lessIjEEEEEE10hipError_tPvRmT0_T1_T2_T3_T4_T5_mmT6_P12ihipStream_tbEUlT_E_NS1_11comp_targetILNS1_3genE10ELNS1_11target_archE1201ELNS1_3gpuE5ELNS1_3repE0EEENS1_30default_config_static_selectorELNS0_4arch9wavefront6targetE0EEEvS10_
; %bb.0:
	.section	.rodata,"a",@progbits
	.p2align	6, 0x0
	.amdhsa_kernel _ZN7rocprim17ROCPRIM_400000_NS6detail17trampoline_kernelINS0_14default_configENS1_21merge_config_selectorINS0_5tupleIJjjEEENS0_10empty_typeEEEZNS1_10merge_implIS3_NS0_12zip_iteratorINS5_IJN6thrust23THRUST_200600_302600_NS6detail15normal_iteratorINSC_10device_ptrIKjEEEESI_EEEEESK_NSA_INS5_IJNSE_INSF_IjEEEESM_EEEEEPS7_SP_SP_NSC_11hip_rocprim7__merge17predicate_wrapperIjjNSC_4lessIjEEEEEE10hipError_tPvRmT0_T1_T2_T3_T4_T5_mmT6_P12ihipStream_tbEUlT_E_NS1_11comp_targetILNS1_3genE10ELNS1_11target_archE1201ELNS1_3gpuE5ELNS1_3repE0EEENS1_30default_config_static_selectorELNS0_4arch9wavefront6targetE0EEEvS10_
		.amdhsa_group_segment_fixed_size 0
		.amdhsa_private_segment_fixed_size 0
		.amdhsa_kernarg_size 64
		.amdhsa_user_sgpr_count 2
		.amdhsa_user_sgpr_dispatch_ptr 0
		.amdhsa_user_sgpr_queue_ptr 0
		.amdhsa_user_sgpr_kernarg_segment_ptr 1
		.amdhsa_user_sgpr_dispatch_id 0
		.amdhsa_user_sgpr_kernarg_preload_length 0
		.amdhsa_user_sgpr_kernarg_preload_offset 0
		.amdhsa_user_sgpr_private_segment_size 0
		.amdhsa_wavefront_size32 1
		.amdhsa_uses_dynamic_stack 0
		.amdhsa_enable_private_segment 0
		.amdhsa_system_sgpr_workgroup_id_x 1
		.amdhsa_system_sgpr_workgroup_id_y 0
		.amdhsa_system_sgpr_workgroup_id_z 0
		.amdhsa_system_sgpr_workgroup_info 0
		.amdhsa_system_vgpr_workitem_id 0
		.amdhsa_next_free_vgpr 1
		.amdhsa_next_free_sgpr 1
		.amdhsa_named_barrier_count 0
		.amdhsa_reserve_vcc 0
		.amdhsa_float_round_mode_32 0
		.amdhsa_float_round_mode_16_64 0
		.amdhsa_float_denorm_mode_32 3
		.amdhsa_float_denorm_mode_16_64 3
		.amdhsa_fp16_overflow 0
		.amdhsa_memory_ordered 1
		.amdhsa_forward_progress 1
		.amdhsa_inst_pref_size 0
		.amdhsa_round_robin_scheduling 0
		.amdhsa_exception_fp_ieee_invalid_op 0
		.amdhsa_exception_fp_denorm_src 0
		.amdhsa_exception_fp_ieee_div_zero 0
		.amdhsa_exception_fp_ieee_overflow 0
		.amdhsa_exception_fp_ieee_underflow 0
		.amdhsa_exception_fp_ieee_inexact 0
		.amdhsa_exception_int_div_zero 0
	.end_amdhsa_kernel
	.section	.text._ZN7rocprim17ROCPRIM_400000_NS6detail17trampoline_kernelINS0_14default_configENS1_21merge_config_selectorINS0_5tupleIJjjEEENS0_10empty_typeEEEZNS1_10merge_implIS3_NS0_12zip_iteratorINS5_IJN6thrust23THRUST_200600_302600_NS6detail15normal_iteratorINSC_10device_ptrIKjEEEESI_EEEEESK_NSA_INS5_IJNSE_INSF_IjEEEESM_EEEEEPS7_SP_SP_NSC_11hip_rocprim7__merge17predicate_wrapperIjjNSC_4lessIjEEEEEE10hipError_tPvRmT0_T1_T2_T3_T4_T5_mmT6_P12ihipStream_tbEUlT_E_NS1_11comp_targetILNS1_3genE10ELNS1_11target_archE1201ELNS1_3gpuE5ELNS1_3repE0EEENS1_30default_config_static_selectorELNS0_4arch9wavefront6targetE0EEEvS10_,"axG",@progbits,_ZN7rocprim17ROCPRIM_400000_NS6detail17trampoline_kernelINS0_14default_configENS1_21merge_config_selectorINS0_5tupleIJjjEEENS0_10empty_typeEEEZNS1_10merge_implIS3_NS0_12zip_iteratorINS5_IJN6thrust23THRUST_200600_302600_NS6detail15normal_iteratorINSC_10device_ptrIKjEEEESI_EEEEESK_NSA_INS5_IJNSE_INSF_IjEEEESM_EEEEEPS7_SP_SP_NSC_11hip_rocprim7__merge17predicate_wrapperIjjNSC_4lessIjEEEEEE10hipError_tPvRmT0_T1_T2_T3_T4_T5_mmT6_P12ihipStream_tbEUlT_E_NS1_11comp_targetILNS1_3genE10ELNS1_11target_archE1201ELNS1_3gpuE5ELNS1_3repE0EEENS1_30default_config_static_selectorELNS0_4arch9wavefront6targetE0EEEvS10_,comdat
.Lfunc_end138:
	.size	_ZN7rocprim17ROCPRIM_400000_NS6detail17trampoline_kernelINS0_14default_configENS1_21merge_config_selectorINS0_5tupleIJjjEEENS0_10empty_typeEEEZNS1_10merge_implIS3_NS0_12zip_iteratorINS5_IJN6thrust23THRUST_200600_302600_NS6detail15normal_iteratorINSC_10device_ptrIKjEEEESI_EEEEESK_NSA_INS5_IJNSE_INSF_IjEEEESM_EEEEEPS7_SP_SP_NSC_11hip_rocprim7__merge17predicate_wrapperIjjNSC_4lessIjEEEEEE10hipError_tPvRmT0_T1_T2_T3_T4_T5_mmT6_P12ihipStream_tbEUlT_E_NS1_11comp_targetILNS1_3genE10ELNS1_11target_archE1201ELNS1_3gpuE5ELNS1_3repE0EEENS1_30default_config_static_selectorELNS0_4arch9wavefront6targetE0EEEvS10_, .Lfunc_end138-_ZN7rocprim17ROCPRIM_400000_NS6detail17trampoline_kernelINS0_14default_configENS1_21merge_config_selectorINS0_5tupleIJjjEEENS0_10empty_typeEEEZNS1_10merge_implIS3_NS0_12zip_iteratorINS5_IJN6thrust23THRUST_200600_302600_NS6detail15normal_iteratorINSC_10device_ptrIKjEEEESI_EEEEESK_NSA_INS5_IJNSE_INSF_IjEEEESM_EEEEEPS7_SP_SP_NSC_11hip_rocprim7__merge17predicate_wrapperIjjNSC_4lessIjEEEEEE10hipError_tPvRmT0_T1_T2_T3_T4_T5_mmT6_P12ihipStream_tbEUlT_E_NS1_11comp_targetILNS1_3genE10ELNS1_11target_archE1201ELNS1_3gpuE5ELNS1_3repE0EEENS1_30default_config_static_selectorELNS0_4arch9wavefront6targetE0EEEvS10_
                                        ; -- End function
	.set _ZN7rocprim17ROCPRIM_400000_NS6detail17trampoline_kernelINS0_14default_configENS1_21merge_config_selectorINS0_5tupleIJjjEEENS0_10empty_typeEEEZNS1_10merge_implIS3_NS0_12zip_iteratorINS5_IJN6thrust23THRUST_200600_302600_NS6detail15normal_iteratorINSC_10device_ptrIKjEEEESI_EEEEESK_NSA_INS5_IJNSE_INSF_IjEEEESM_EEEEEPS7_SP_SP_NSC_11hip_rocprim7__merge17predicate_wrapperIjjNSC_4lessIjEEEEEE10hipError_tPvRmT0_T1_T2_T3_T4_T5_mmT6_P12ihipStream_tbEUlT_E_NS1_11comp_targetILNS1_3genE10ELNS1_11target_archE1201ELNS1_3gpuE5ELNS1_3repE0EEENS1_30default_config_static_selectorELNS0_4arch9wavefront6targetE0EEEvS10_.num_vgpr, 0
	.set _ZN7rocprim17ROCPRIM_400000_NS6detail17trampoline_kernelINS0_14default_configENS1_21merge_config_selectorINS0_5tupleIJjjEEENS0_10empty_typeEEEZNS1_10merge_implIS3_NS0_12zip_iteratorINS5_IJN6thrust23THRUST_200600_302600_NS6detail15normal_iteratorINSC_10device_ptrIKjEEEESI_EEEEESK_NSA_INS5_IJNSE_INSF_IjEEEESM_EEEEEPS7_SP_SP_NSC_11hip_rocprim7__merge17predicate_wrapperIjjNSC_4lessIjEEEEEE10hipError_tPvRmT0_T1_T2_T3_T4_T5_mmT6_P12ihipStream_tbEUlT_E_NS1_11comp_targetILNS1_3genE10ELNS1_11target_archE1201ELNS1_3gpuE5ELNS1_3repE0EEENS1_30default_config_static_selectorELNS0_4arch9wavefront6targetE0EEEvS10_.num_agpr, 0
	.set _ZN7rocprim17ROCPRIM_400000_NS6detail17trampoline_kernelINS0_14default_configENS1_21merge_config_selectorINS0_5tupleIJjjEEENS0_10empty_typeEEEZNS1_10merge_implIS3_NS0_12zip_iteratorINS5_IJN6thrust23THRUST_200600_302600_NS6detail15normal_iteratorINSC_10device_ptrIKjEEEESI_EEEEESK_NSA_INS5_IJNSE_INSF_IjEEEESM_EEEEEPS7_SP_SP_NSC_11hip_rocprim7__merge17predicate_wrapperIjjNSC_4lessIjEEEEEE10hipError_tPvRmT0_T1_T2_T3_T4_T5_mmT6_P12ihipStream_tbEUlT_E_NS1_11comp_targetILNS1_3genE10ELNS1_11target_archE1201ELNS1_3gpuE5ELNS1_3repE0EEENS1_30default_config_static_selectorELNS0_4arch9wavefront6targetE0EEEvS10_.numbered_sgpr, 0
	.set _ZN7rocprim17ROCPRIM_400000_NS6detail17trampoline_kernelINS0_14default_configENS1_21merge_config_selectorINS0_5tupleIJjjEEENS0_10empty_typeEEEZNS1_10merge_implIS3_NS0_12zip_iteratorINS5_IJN6thrust23THRUST_200600_302600_NS6detail15normal_iteratorINSC_10device_ptrIKjEEEESI_EEEEESK_NSA_INS5_IJNSE_INSF_IjEEEESM_EEEEEPS7_SP_SP_NSC_11hip_rocprim7__merge17predicate_wrapperIjjNSC_4lessIjEEEEEE10hipError_tPvRmT0_T1_T2_T3_T4_T5_mmT6_P12ihipStream_tbEUlT_E_NS1_11comp_targetILNS1_3genE10ELNS1_11target_archE1201ELNS1_3gpuE5ELNS1_3repE0EEENS1_30default_config_static_selectorELNS0_4arch9wavefront6targetE0EEEvS10_.num_named_barrier, 0
	.set _ZN7rocprim17ROCPRIM_400000_NS6detail17trampoline_kernelINS0_14default_configENS1_21merge_config_selectorINS0_5tupleIJjjEEENS0_10empty_typeEEEZNS1_10merge_implIS3_NS0_12zip_iteratorINS5_IJN6thrust23THRUST_200600_302600_NS6detail15normal_iteratorINSC_10device_ptrIKjEEEESI_EEEEESK_NSA_INS5_IJNSE_INSF_IjEEEESM_EEEEEPS7_SP_SP_NSC_11hip_rocprim7__merge17predicate_wrapperIjjNSC_4lessIjEEEEEE10hipError_tPvRmT0_T1_T2_T3_T4_T5_mmT6_P12ihipStream_tbEUlT_E_NS1_11comp_targetILNS1_3genE10ELNS1_11target_archE1201ELNS1_3gpuE5ELNS1_3repE0EEENS1_30default_config_static_selectorELNS0_4arch9wavefront6targetE0EEEvS10_.private_seg_size, 0
	.set _ZN7rocprim17ROCPRIM_400000_NS6detail17trampoline_kernelINS0_14default_configENS1_21merge_config_selectorINS0_5tupleIJjjEEENS0_10empty_typeEEEZNS1_10merge_implIS3_NS0_12zip_iteratorINS5_IJN6thrust23THRUST_200600_302600_NS6detail15normal_iteratorINSC_10device_ptrIKjEEEESI_EEEEESK_NSA_INS5_IJNSE_INSF_IjEEEESM_EEEEEPS7_SP_SP_NSC_11hip_rocprim7__merge17predicate_wrapperIjjNSC_4lessIjEEEEEE10hipError_tPvRmT0_T1_T2_T3_T4_T5_mmT6_P12ihipStream_tbEUlT_E_NS1_11comp_targetILNS1_3genE10ELNS1_11target_archE1201ELNS1_3gpuE5ELNS1_3repE0EEENS1_30default_config_static_selectorELNS0_4arch9wavefront6targetE0EEEvS10_.uses_vcc, 0
	.set _ZN7rocprim17ROCPRIM_400000_NS6detail17trampoline_kernelINS0_14default_configENS1_21merge_config_selectorINS0_5tupleIJjjEEENS0_10empty_typeEEEZNS1_10merge_implIS3_NS0_12zip_iteratorINS5_IJN6thrust23THRUST_200600_302600_NS6detail15normal_iteratorINSC_10device_ptrIKjEEEESI_EEEEESK_NSA_INS5_IJNSE_INSF_IjEEEESM_EEEEEPS7_SP_SP_NSC_11hip_rocprim7__merge17predicate_wrapperIjjNSC_4lessIjEEEEEE10hipError_tPvRmT0_T1_T2_T3_T4_T5_mmT6_P12ihipStream_tbEUlT_E_NS1_11comp_targetILNS1_3genE10ELNS1_11target_archE1201ELNS1_3gpuE5ELNS1_3repE0EEENS1_30default_config_static_selectorELNS0_4arch9wavefront6targetE0EEEvS10_.uses_flat_scratch, 0
	.set _ZN7rocprim17ROCPRIM_400000_NS6detail17trampoline_kernelINS0_14default_configENS1_21merge_config_selectorINS0_5tupleIJjjEEENS0_10empty_typeEEEZNS1_10merge_implIS3_NS0_12zip_iteratorINS5_IJN6thrust23THRUST_200600_302600_NS6detail15normal_iteratorINSC_10device_ptrIKjEEEESI_EEEEESK_NSA_INS5_IJNSE_INSF_IjEEEESM_EEEEEPS7_SP_SP_NSC_11hip_rocprim7__merge17predicate_wrapperIjjNSC_4lessIjEEEEEE10hipError_tPvRmT0_T1_T2_T3_T4_T5_mmT6_P12ihipStream_tbEUlT_E_NS1_11comp_targetILNS1_3genE10ELNS1_11target_archE1201ELNS1_3gpuE5ELNS1_3repE0EEENS1_30default_config_static_selectorELNS0_4arch9wavefront6targetE0EEEvS10_.has_dyn_sized_stack, 0
	.set _ZN7rocprim17ROCPRIM_400000_NS6detail17trampoline_kernelINS0_14default_configENS1_21merge_config_selectorINS0_5tupleIJjjEEENS0_10empty_typeEEEZNS1_10merge_implIS3_NS0_12zip_iteratorINS5_IJN6thrust23THRUST_200600_302600_NS6detail15normal_iteratorINSC_10device_ptrIKjEEEESI_EEEEESK_NSA_INS5_IJNSE_INSF_IjEEEESM_EEEEEPS7_SP_SP_NSC_11hip_rocprim7__merge17predicate_wrapperIjjNSC_4lessIjEEEEEE10hipError_tPvRmT0_T1_T2_T3_T4_T5_mmT6_P12ihipStream_tbEUlT_E_NS1_11comp_targetILNS1_3genE10ELNS1_11target_archE1201ELNS1_3gpuE5ELNS1_3repE0EEENS1_30default_config_static_selectorELNS0_4arch9wavefront6targetE0EEEvS10_.has_recursion, 0
	.set _ZN7rocprim17ROCPRIM_400000_NS6detail17trampoline_kernelINS0_14default_configENS1_21merge_config_selectorINS0_5tupleIJjjEEENS0_10empty_typeEEEZNS1_10merge_implIS3_NS0_12zip_iteratorINS5_IJN6thrust23THRUST_200600_302600_NS6detail15normal_iteratorINSC_10device_ptrIKjEEEESI_EEEEESK_NSA_INS5_IJNSE_INSF_IjEEEESM_EEEEEPS7_SP_SP_NSC_11hip_rocprim7__merge17predicate_wrapperIjjNSC_4lessIjEEEEEE10hipError_tPvRmT0_T1_T2_T3_T4_T5_mmT6_P12ihipStream_tbEUlT_E_NS1_11comp_targetILNS1_3genE10ELNS1_11target_archE1201ELNS1_3gpuE5ELNS1_3repE0EEENS1_30default_config_static_selectorELNS0_4arch9wavefront6targetE0EEEvS10_.has_indirect_call, 0
	.section	.AMDGPU.csdata,"",@progbits
; Kernel info:
; codeLenInByte = 0
; TotalNumSgprs: 0
; NumVgprs: 0
; ScratchSize: 0
; MemoryBound: 0
; FloatMode: 240
; IeeeMode: 1
; LDSByteSize: 0 bytes/workgroup (compile time only)
; SGPRBlocks: 0
; VGPRBlocks: 0
; NumSGPRsForWavesPerEU: 1
; NumVGPRsForWavesPerEU: 1
; NamedBarCnt: 0
; Occupancy: 16
; WaveLimiterHint : 0
; COMPUTE_PGM_RSRC2:SCRATCH_EN: 0
; COMPUTE_PGM_RSRC2:USER_SGPR: 2
; COMPUTE_PGM_RSRC2:TRAP_HANDLER: 0
; COMPUTE_PGM_RSRC2:TGID_X_EN: 1
; COMPUTE_PGM_RSRC2:TGID_Y_EN: 0
; COMPUTE_PGM_RSRC2:TGID_Z_EN: 0
; COMPUTE_PGM_RSRC2:TIDIG_COMP_CNT: 0
	.section	.text._ZN7rocprim17ROCPRIM_400000_NS6detail17trampoline_kernelINS0_14default_configENS1_21merge_config_selectorINS0_5tupleIJjjEEENS0_10empty_typeEEEZNS1_10merge_implIS3_NS0_12zip_iteratorINS5_IJN6thrust23THRUST_200600_302600_NS6detail15normal_iteratorINSC_10device_ptrIKjEEEESI_EEEEESK_NSA_INS5_IJNSE_INSF_IjEEEESM_EEEEEPS7_SP_SP_NSC_11hip_rocprim7__merge17predicate_wrapperIjjNSC_4lessIjEEEEEE10hipError_tPvRmT0_T1_T2_T3_T4_T5_mmT6_P12ihipStream_tbEUlT_E_NS1_11comp_targetILNS1_3genE10ELNS1_11target_archE1200ELNS1_3gpuE4ELNS1_3repE0EEENS1_30default_config_static_selectorELNS0_4arch9wavefront6targetE0EEEvS10_,"axG",@progbits,_ZN7rocprim17ROCPRIM_400000_NS6detail17trampoline_kernelINS0_14default_configENS1_21merge_config_selectorINS0_5tupleIJjjEEENS0_10empty_typeEEEZNS1_10merge_implIS3_NS0_12zip_iteratorINS5_IJN6thrust23THRUST_200600_302600_NS6detail15normal_iteratorINSC_10device_ptrIKjEEEESI_EEEEESK_NSA_INS5_IJNSE_INSF_IjEEEESM_EEEEEPS7_SP_SP_NSC_11hip_rocprim7__merge17predicate_wrapperIjjNSC_4lessIjEEEEEE10hipError_tPvRmT0_T1_T2_T3_T4_T5_mmT6_P12ihipStream_tbEUlT_E_NS1_11comp_targetILNS1_3genE10ELNS1_11target_archE1200ELNS1_3gpuE4ELNS1_3repE0EEENS1_30default_config_static_selectorELNS0_4arch9wavefront6targetE0EEEvS10_,comdat
	.protected	_ZN7rocprim17ROCPRIM_400000_NS6detail17trampoline_kernelINS0_14default_configENS1_21merge_config_selectorINS0_5tupleIJjjEEENS0_10empty_typeEEEZNS1_10merge_implIS3_NS0_12zip_iteratorINS5_IJN6thrust23THRUST_200600_302600_NS6detail15normal_iteratorINSC_10device_ptrIKjEEEESI_EEEEESK_NSA_INS5_IJNSE_INSF_IjEEEESM_EEEEEPS7_SP_SP_NSC_11hip_rocprim7__merge17predicate_wrapperIjjNSC_4lessIjEEEEEE10hipError_tPvRmT0_T1_T2_T3_T4_T5_mmT6_P12ihipStream_tbEUlT_E_NS1_11comp_targetILNS1_3genE10ELNS1_11target_archE1200ELNS1_3gpuE4ELNS1_3repE0EEENS1_30default_config_static_selectorELNS0_4arch9wavefront6targetE0EEEvS10_ ; -- Begin function _ZN7rocprim17ROCPRIM_400000_NS6detail17trampoline_kernelINS0_14default_configENS1_21merge_config_selectorINS0_5tupleIJjjEEENS0_10empty_typeEEEZNS1_10merge_implIS3_NS0_12zip_iteratorINS5_IJN6thrust23THRUST_200600_302600_NS6detail15normal_iteratorINSC_10device_ptrIKjEEEESI_EEEEESK_NSA_INS5_IJNSE_INSF_IjEEEESM_EEEEEPS7_SP_SP_NSC_11hip_rocprim7__merge17predicate_wrapperIjjNSC_4lessIjEEEEEE10hipError_tPvRmT0_T1_T2_T3_T4_T5_mmT6_P12ihipStream_tbEUlT_E_NS1_11comp_targetILNS1_3genE10ELNS1_11target_archE1200ELNS1_3gpuE4ELNS1_3repE0EEENS1_30default_config_static_selectorELNS0_4arch9wavefront6targetE0EEEvS10_
	.globl	_ZN7rocprim17ROCPRIM_400000_NS6detail17trampoline_kernelINS0_14default_configENS1_21merge_config_selectorINS0_5tupleIJjjEEENS0_10empty_typeEEEZNS1_10merge_implIS3_NS0_12zip_iteratorINS5_IJN6thrust23THRUST_200600_302600_NS6detail15normal_iteratorINSC_10device_ptrIKjEEEESI_EEEEESK_NSA_INS5_IJNSE_INSF_IjEEEESM_EEEEEPS7_SP_SP_NSC_11hip_rocprim7__merge17predicate_wrapperIjjNSC_4lessIjEEEEEE10hipError_tPvRmT0_T1_T2_T3_T4_T5_mmT6_P12ihipStream_tbEUlT_E_NS1_11comp_targetILNS1_3genE10ELNS1_11target_archE1200ELNS1_3gpuE4ELNS1_3repE0EEENS1_30default_config_static_selectorELNS0_4arch9wavefront6targetE0EEEvS10_
	.p2align	8
	.type	_ZN7rocprim17ROCPRIM_400000_NS6detail17trampoline_kernelINS0_14default_configENS1_21merge_config_selectorINS0_5tupleIJjjEEENS0_10empty_typeEEEZNS1_10merge_implIS3_NS0_12zip_iteratorINS5_IJN6thrust23THRUST_200600_302600_NS6detail15normal_iteratorINSC_10device_ptrIKjEEEESI_EEEEESK_NSA_INS5_IJNSE_INSF_IjEEEESM_EEEEEPS7_SP_SP_NSC_11hip_rocprim7__merge17predicate_wrapperIjjNSC_4lessIjEEEEEE10hipError_tPvRmT0_T1_T2_T3_T4_T5_mmT6_P12ihipStream_tbEUlT_E_NS1_11comp_targetILNS1_3genE10ELNS1_11target_archE1200ELNS1_3gpuE4ELNS1_3repE0EEENS1_30default_config_static_selectorELNS0_4arch9wavefront6targetE0EEEvS10_,@function
_ZN7rocprim17ROCPRIM_400000_NS6detail17trampoline_kernelINS0_14default_configENS1_21merge_config_selectorINS0_5tupleIJjjEEENS0_10empty_typeEEEZNS1_10merge_implIS3_NS0_12zip_iteratorINS5_IJN6thrust23THRUST_200600_302600_NS6detail15normal_iteratorINSC_10device_ptrIKjEEEESI_EEEEESK_NSA_INS5_IJNSE_INSF_IjEEEESM_EEEEEPS7_SP_SP_NSC_11hip_rocprim7__merge17predicate_wrapperIjjNSC_4lessIjEEEEEE10hipError_tPvRmT0_T1_T2_T3_T4_T5_mmT6_P12ihipStream_tbEUlT_E_NS1_11comp_targetILNS1_3genE10ELNS1_11target_archE1200ELNS1_3gpuE4ELNS1_3repE0EEENS1_30default_config_static_selectorELNS0_4arch9wavefront6targetE0EEEvS10_: ; @_ZN7rocprim17ROCPRIM_400000_NS6detail17trampoline_kernelINS0_14default_configENS1_21merge_config_selectorINS0_5tupleIJjjEEENS0_10empty_typeEEEZNS1_10merge_implIS3_NS0_12zip_iteratorINS5_IJN6thrust23THRUST_200600_302600_NS6detail15normal_iteratorINSC_10device_ptrIKjEEEESI_EEEEESK_NSA_INS5_IJNSE_INSF_IjEEEESM_EEEEEPS7_SP_SP_NSC_11hip_rocprim7__merge17predicate_wrapperIjjNSC_4lessIjEEEEEE10hipError_tPvRmT0_T1_T2_T3_T4_T5_mmT6_P12ihipStream_tbEUlT_E_NS1_11comp_targetILNS1_3genE10ELNS1_11target_archE1200ELNS1_3gpuE4ELNS1_3repE0EEENS1_30default_config_static_selectorELNS0_4arch9wavefront6targetE0EEEvS10_
; %bb.0:
	.section	.rodata,"a",@progbits
	.p2align	6, 0x0
	.amdhsa_kernel _ZN7rocprim17ROCPRIM_400000_NS6detail17trampoline_kernelINS0_14default_configENS1_21merge_config_selectorINS0_5tupleIJjjEEENS0_10empty_typeEEEZNS1_10merge_implIS3_NS0_12zip_iteratorINS5_IJN6thrust23THRUST_200600_302600_NS6detail15normal_iteratorINSC_10device_ptrIKjEEEESI_EEEEESK_NSA_INS5_IJNSE_INSF_IjEEEESM_EEEEEPS7_SP_SP_NSC_11hip_rocprim7__merge17predicate_wrapperIjjNSC_4lessIjEEEEEE10hipError_tPvRmT0_T1_T2_T3_T4_T5_mmT6_P12ihipStream_tbEUlT_E_NS1_11comp_targetILNS1_3genE10ELNS1_11target_archE1200ELNS1_3gpuE4ELNS1_3repE0EEENS1_30default_config_static_selectorELNS0_4arch9wavefront6targetE0EEEvS10_
		.amdhsa_group_segment_fixed_size 0
		.amdhsa_private_segment_fixed_size 0
		.amdhsa_kernarg_size 64
		.amdhsa_user_sgpr_count 2
		.amdhsa_user_sgpr_dispatch_ptr 0
		.amdhsa_user_sgpr_queue_ptr 0
		.amdhsa_user_sgpr_kernarg_segment_ptr 1
		.amdhsa_user_sgpr_dispatch_id 0
		.amdhsa_user_sgpr_kernarg_preload_length 0
		.amdhsa_user_sgpr_kernarg_preload_offset 0
		.amdhsa_user_sgpr_private_segment_size 0
		.amdhsa_wavefront_size32 1
		.amdhsa_uses_dynamic_stack 0
		.amdhsa_enable_private_segment 0
		.amdhsa_system_sgpr_workgroup_id_x 1
		.amdhsa_system_sgpr_workgroup_id_y 0
		.amdhsa_system_sgpr_workgroup_id_z 0
		.amdhsa_system_sgpr_workgroup_info 0
		.amdhsa_system_vgpr_workitem_id 0
		.amdhsa_next_free_vgpr 1
		.amdhsa_next_free_sgpr 1
		.amdhsa_named_barrier_count 0
		.amdhsa_reserve_vcc 0
		.amdhsa_float_round_mode_32 0
		.amdhsa_float_round_mode_16_64 0
		.amdhsa_float_denorm_mode_32 3
		.amdhsa_float_denorm_mode_16_64 3
		.amdhsa_fp16_overflow 0
		.amdhsa_memory_ordered 1
		.amdhsa_forward_progress 1
		.amdhsa_inst_pref_size 0
		.amdhsa_round_robin_scheduling 0
		.amdhsa_exception_fp_ieee_invalid_op 0
		.amdhsa_exception_fp_denorm_src 0
		.amdhsa_exception_fp_ieee_div_zero 0
		.amdhsa_exception_fp_ieee_overflow 0
		.amdhsa_exception_fp_ieee_underflow 0
		.amdhsa_exception_fp_ieee_inexact 0
		.amdhsa_exception_int_div_zero 0
	.end_amdhsa_kernel
	.section	.text._ZN7rocprim17ROCPRIM_400000_NS6detail17trampoline_kernelINS0_14default_configENS1_21merge_config_selectorINS0_5tupleIJjjEEENS0_10empty_typeEEEZNS1_10merge_implIS3_NS0_12zip_iteratorINS5_IJN6thrust23THRUST_200600_302600_NS6detail15normal_iteratorINSC_10device_ptrIKjEEEESI_EEEEESK_NSA_INS5_IJNSE_INSF_IjEEEESM_EEEEEPS7_SP_SP_NSC_11hip_rocprim7__merge17predicate_wrapperIjjNSC_4lessIjEEEEEE10hipError_tPvRmT0_T1_T2_T3_T4_T5_mmT6_P12ihipStream_tbEUlT_E_NS1_11comp_targetILNS1_3genE10ELNS1_11target_archE1200ELNS1_3gpuE4ELNS1_3repE0EEENS1_30default_config_static_selectorELNS0_4arch9wavefront6targetE0EEEvS10_,"axG",@progbits,_ZN7rocprim17ROCPRIM_400000_NS6detail17trampoline_kernelINS0_14default_configENS1_21merge_config_selectorINS0_5tupleIJjjEEENS0_10empty_typeEEEZNS1_10merge_implIS3_NS0_12zip_iteratorINS5_IJN6thrust23THRUST_200600_302600_NS6detail15normal_iteratorINSC_10device_ptrIKjEEEESI_EEEEESK_NSA_INS5_IJNSE_INSF_IjEEEESM_EEEEEPS7_SP_SP_NSC_11hip_rocprim7__merge17predicate_wrapperIjjNSC_4lessIjEEEEEE10hipError_tPvRmT0_T1_T2_T3_T4_T5_mmT6_P12ihipStream_tbEUlT_E_NS1_11comp_targetILNS1_3genE10ELNS1_11target_archE1200ELNS1_3gpuE4ELNS1_3repE0EEENS1_30default_config_static_selectorELNS0_4arch9wavefront6targetE0EEEvS10_,comdat
.Lfunc_end139:
	.size	_ZN7rocprim17ROCPRIM_400000_NS6detail17trampoline_kernelINS0_14default_configENS1_21merge_config_selectorINS0_5tupleIJjjEEENS0_10empty_typeEEEZNS1_10merge_implIS3_NS0_12zip_iteratorINS5_IJN6thrust23THRUST_200600_302600_NS6detail15normal_iteratorINSC_10device_ptrIKjEEEESI_EEEEESK_NSA_INS5_IJNSE_INSF_IjEEEESM_EEEEEPS7_SP_SP_NSC_11hip_rocprim7__merge17predicate_wrapperIjjNSC_4lessIjEEEEEE10hipError_tPvRmT0_T1_T2_T3_T4_T5_mmT6_P12ihipStream_tbEUlT_E_NS1_11comp_targetILNS1_3genE10ELNS1_11target_archE1200ELNS1_3gpuE4ELNS1_3repE0EEENS1_30default_config_static_selectorELNS0_4arch9wavefront6targetE0EEEvS10_, .Lfunc_end139-_ZN7rocprim17ROCPRIM_400000_NS6detail17trampoline_kernelINS0_14default_configENS1_21merge_config_selectorINS0_5tupleIJjjEEENS0_10empty_typeEEEZNS1_10merge_implIS3_NS0_12zip_iteratorINS5_IJN6thrust23THRUST_200600_302600_NS6detail15normal_iteratorINSC_10device_ptrIKjEEEESI_EEEEESK_NSA_INS5_IJNSE_INSF_IjEEEESM_EEEEEPS7_SP_SP_NSC_11hip_rocprim7__merge17predicate_wrapperIjjNSC_4lessIjEEEEEE10hipError_tPvRmT0_T1_T2_T3_T4_T5_mmT6_P12ihipStream_tbEUlT_E_NS1_11comp_targetILNS1_3genE10ELNS1_11target_archE1200ELNS1_3gpuE4ELNS1_3repE0EEENS1_30default_config_static_selectorELNS0_4arch9wavefront6targetE0EEEvS10_
                                        ; -- End function
	.set _ZN7rocprim17ROCPRIM_400000_NS6detail17trampoline_kernelINS0_14default_configENS1_21merge_config_selectorINS0_5tupleIJjjEEENS0_10empty_typeEEEZNS1_10merge_implIS3_NS0_12zip_iteratorINS5_IJN6thrust23THRUST_200600_302600_NS6detail15normal_iteratorINSC_10device_ptrIKjEEEESI_EEEEESK_NSA_INS5_IJNSE_INSF_IjEEEESM_EEEEEPS7_SP_SP_NSC_11hip_rocprim7__merge17predicate_wrapperIjjNSC_4lessIjEEEEEE10hipError_tPvRmT0_T1_T2_T3_T4_T5_mmT6_P12ihipStream_tbEUlT_E_NS1_11comp_targetILNS1_3genE10ELNS1_11target_archE1200ELNS1_3gpuE4ELNS1_3repE0EEENS1_30default_config_static_selectorELNS0_4arch9wavefront6targetE0EEEvS10_.num_vgpr, 0
	.set _ZN7rocprim17ROCPRIM_400000_NS6detail17trampoline_kernelINS0_14default_configENS1_21merge_config_selectorINS0_5tupleIJjjEEENS0_10empty_typeEEEZNS1_10merge_implIS3_NS0_12zip_iteratorINS5_IJN6thrust23THRUST_200600_302600_NS6detail15normal_iteratorINSC_10device_ptrIKjEEEESI_EEEEESK_NSA_INS5_IJNSE_INSF_IjEEEESM_EEEEEPS7_SP_SP_NSC_11hip_rocprim7__merge17predicate_wrapperIjjNSC_4lessIjEEEEEE10hipError_tPvRmT0_T1_T2_T3_T4_T5_mmT6_P12ihipStream_tbEUlT_E_NS1_11comp_targetILNS1_3genE10ELNS1_11target_archE1200ELNS1_3gpuE4ELNS1_3repE0EEENS1_30default_config_static_selectorELNS0_4arch9wavefront6targetE0EEEvS10_.num_agpr, 0
	.set _ZN7rocprim17ROCPRIM_400000_NS6detail17trampoline_kernelINS0_14default_configENS1_21merge_config_selectorINS0_5tupleIJjjEEENS0_10empty_typeEEEZNS1_10merge_implIS3_NS0_12zip_iteratorINS5_IJN6thrust23THRUST_200600_302600_NS6detail15normal_iteratorINSC_10device_ptrIKjEEEESI_EEEEESK_NSA_INS5_IJNSE_INSF_IjEEEESM_EEEEEPS7_SP_SP_NSC_11hip_rocprim7__merge17predicate_wrapperIjjNSC_4lessIjEEEEEE10hipError_tPvRmT0_T1_T2_T3_T4_T5_mmT6_P12ihipStream_tbEUlT_E_NS1_11comp_targetILNS1_3genE10ELNS1_11target_archE1200ELNS1_3gpuE4ELNS1_3repE0EEENS1_30default_config_static_selectorELNS0_4arch9wavefront6targetE0EEEvS10_.numbered_sgpr, 0
	.set _ZN7rocprim17ROCPRIM_400000_NS6detail17trampoline_kernelINS0_14default_configENS1_21merge_config_selectorINS0_5tupleIJjjEEENS0_10empty_typeEEEZNS1_10merge_implIS3_NS0_12zip_iteratorINS5_IJN6thrust23THRUST_200600_302600_NS6detail15normal_iteratorINSC_10device_ptrIKjEEEESI_EEEEESK_NSA_INS5_IJNSE_INSF_IjEEEESM_EEEEEPS7_SP_SP_NSC_11hip_rocprim7__merge17predicate_wrapperIjjNSC_4lessIjEEEEEE10hipError_tPvRmT0_T1_T2_T3_T4_T5_mmT6_P12ihipStream_tbEUlT_E_NS1_11comp_targetILNS1_3genE10ELNS1_11target_archE1200ELNS1_3gpuE4ELNS1_3repE0EEENS1_30default_config_static_selectorELNS0_4arch9wavefront6targetE0EEEvS10_.num_named_barrier, 0
	.set _ZN7rocprim17ROCPRIM_400000_NS6detail17trampoline_kernelINS0_14default_configENS1_21merge_config_selectorINS0_5tupleIJjjEEENS0_10empty_typeEEEZNS1_10merge_implIS3_NS0_12zip_iteratorINS5_IJN6thrust23THRUST_200600_302600_NS6detail15normal_iteratorINSC_10device_ptrIKjEEEESI_EEEEESK_NSA_INS5_IJNSE_INSF_IjEEEESM_EEEEEPS7_SP_SP_NSC_11hip_rocprim7__merge17predicate_wrapperIjjNSC_4lessIjEEEEEE10hipError_tPvRmT0_T1_T2_T3_T4_T5_mmT6_P12ihipStream_tbEUlT_E_NS1_11comp_targetILNS1_3genE10ELNS1_11target_archE1200ELNS1_3gpuE4ELNS1_3repE0EEENS1_30default_config_static_selectorELNS0_4arch9wavefront6targetE0EEEvS10_.private_seg_size, 0
	.set _ZN7rocprim17ROCPRIM_400000_NS6detail17trampoline_kernelINS0_14default_configENS1_21merge_config_selectorINS0_5tupleIJjjEEENS0_10empty_typeEEEZNS1_10merge_implIS3_NS0_12zip_iteratorINS5_IJN6thrust23THRUST_200600_302600_NS6detail15normal_iteratorINSC_10device_ptrIKjEEEESI_EEEEESK_NSA_INS5_IJNSE_INSF_IjEEEESM_EEEEEPS7_SP_SP_NSC_11hip_rocprim7__merge17predicate_wrapperIjjNSC_4lessIjEEEEEE10hipError_tPvRmT0_T1_T2_T3_T4_T5_mmT6_P12ihipStream_tbEUlT_E_NS1_11comp_targetILNS1_3genE10ELNS1_11target_archE1200ELNS1_3gpuE4ELNS1_3repE0EEENS1_30default_config_static_selectorELNS0_4arch9wavefront6targetE0EEEvS10_.uses_vcc, 0
	.set _ZN7rocprim17ROCPRIM_400000_NS6detail17trampoline_kernelINS0_14default_configENS1_21merge_config_selectorINS0_5tupleIJjjEEENS0_10empty_typeEEEZNS1_10merge_implIS3_NS0_12zip_iteratorINS5_IJN6thrust23THRUST_200600_302600_NS6detail15normal_iteratorINSC_10device_ptrIKjEEEESI_EEEEESK_NSA_INS5_IJNSE_INSF_IjEEEESM_EEEEEPS7_SP_SP_NSC_11hip_rocprim7__merge17predicate_wrapperIjjNSC_4lessIjEEEEEE10hipError_tPvRmT0_T1_T2_T3_T4_T5_mmT6_P12ihipStream_tbEUlT_E_NS1_11comp_targetILNS1_3genE10ELNS1_11target_archE1200ELNS1_3gpuE4ELNS1_3repE0EEENS1_30default_config_static_selectorELNS0_4arch9wavefront6targetE0EEEvS10_.uses_flat_scratch, 0
	.set _ZN7rocprim17ROCPRIM_400000_NS6detail17trampoline_kernelINS0_14default_configENS1_21merge_config_selectorINS0_5tupleIJjjEEENS0_10empty_typeEEEZNS1_10merge_implIS3_NS0_12zip_iteratorINS5_IJN6thrust23THRUST_200600_302600_NS6detail15normal_iteratorINSC_10device_ptrIKjEEEESI_EEEEESK_NSA_INS5_IJNSE_INSF_IjEEEESM_EEEEEPS7_SP_SP_NSC_11hip_rocprim7__merge17predicate_wrapperIjjNSC_4lessIjEEEEEE10hipError_tPvRmT0_T1_T2_T3_T4_T5_mmT6_P12ihipStream_tbEUlT_E_NS1_11comp_targetILNS1_3genE10ELNS1_11target_archE1200ELNS1_3gpuE4ELNS1_3repE0EEENS1_30default_config_static_selectorELNS0_4arch9wavefront6targetE0EEEvS10_.has_dyn_sized_stack, 0
	.set _ZN7rocprim17ROCPRIM_400000_NS6detail17trampoline_kernelINS0_14default_configENS1_21merge_config_selectorINS0_5tupleIJjjEEENS0_10empty_typeEEEZNS1_10merge_implIS3_NS0_12zip_iteratorINS5_IJN6thrust23THRUST_200600_302600_NS6detail15normal_iteratorINSC_10device_ptrIKjEEEESI_EEEEESK_NSA_INS5_IJNSE_INSF_IjEEEESM_EEEEEPS7_SP_SP_NSC_11hip_rocprim7__merge17predicate_wrapperIjjNSC_4lessIjEEEEEE10hipError_tPvRmT0_T1_T2_T3_T4_T5_mmT6_P12ihipStream_tbEUlT_E_NS1_11comp_targetILNS1_3genE10ELNS1_11target_archE1200ELNS1_3gpuE4ELNS1_3repE0EEENS1_30default_config_static_selectorELNS0_4arch9wavefront6targetE0EEEvS10_.has_recursion, 0
	.set _ZN7rocprim17ROCPRIM_400000_NS6detail17trampoline_kernelINS0_14default_configENS1_21merge_config_selectorINS0_5tupleIJjjEEENS0_10empty_typeEEEZNS1_10merge_implIS3_NS0_12zip_iteratorINS5_IJN6thrust23THRUST_200600_302600_NS6detail15normal_iteratorINSC_10device_ptrIKjEEEESI_EEEEESK_NSA_INS5_IJNSE_INSF_IjEEEESM_EEEEEPS7_SP_SP_NSC_11hip_rocprim7__merge17predicate_wrapperIjjNSC_4lessIjEEEEEE10hipError_tPvRmT0_T1_T2_T3_T4_T5_mmT6_P12ihipStream_tbEUlT_E_NS1_11comp_targetILNS1_3genE10ELNS1_11target_archE1200ELNS1_3gpuE4ELNS1_3repE0EEENS1_30default_config_static_selectorELNS0_4arch9wavefront6targetE0EEEvS10_.has_indirect_call, 0
	.section	.AMDGPU.csdata,"",@progbits
; Kernel info:
; codeLenInByte = 0
; TotalNumSgprs: 0
; NumVgprs: 0
; ScratchSize: 0
; MemoryBound: 0
; FloatMode: 240
; IeeeMode: 1
; LDSByteSize: 0 bytes/workgroup (compile time only)
; SGPRBlocks: 0
; VGPRBlocks: 0
; NumSGPRsForWavesPerEU: 1
; NumVGPRsForWavesPerEU: 1
; NamedBarCnt: 0
; Occupancy: 16
; WaveLimiterHint : 0
; COMPUTE_PGM_RSRC2:SCRATCH_EN: 0
; COMPUTE_PGM_RSRC2:USER_SGPR: 2
; COMPUTE_PGM_RSRC2:TRAP_HANDLER: 0
; COMPUTE_PGM_RSRC2:TGID_X_EN: 1
; COMPUTE_PGM_RSRC2:TGID_Y_EN: 0
; COMPUTE_PGM_RSRC2:TGID_Z_EN: 0
; COMPUTE_PGM_RSRC2:TIDIG_COMP_CNT: 0
	.section	.text._ZN7rocprim17ROCPRIM_400000_NS6detail17trampoline_kernelINS0_14default_configENS1_21merge_config_selectorINS0_5tupleIJjjEEENS0_10empty_typeEEEZNS1_10merge_implIS3_NS0_12zip_iteratorINS5_IJN6thrust23THRUST_200600_302600_NS6detail15normal_iteratorINSC_10device_ptrIKjEEEESI_EEEEESK_NSA_INS5_IJNSE_INSF_IjEEEESM_EEEEEPS7_SP_SP_NSC_11hip_rocprim7__merge17predicate_wrapperIjjNSC_4lessIjEEEEEE10hipError_tPvRmT0_T1_T2_T3_T4_T5_mmT6_P12ihipStream_tbEUlT_E_NS1_11comp_targetILNS1_3genE9ELNS1_11target_archE1100ELNS1_3gpuE3ELNS1_3repE0EEENS1_30default_config_static_selectorELNS0_4arch9wavefront6targetE0EEEvS10_,"axG",@progbits,_ZN7rocprim17ROCPRIM_400000_NS6detail17trampoline_kernelINS0_14default_configENS1_21merge_config_selectorINS0_5tupleIJjjEEENS0_10empty_typeEEEZNS1_10merge_implIS3_NS0_12zip_iteratorINS5_IJN6thrust23THRUST_200600_302600_NS6detail15normal_iteratorINSC_10device_ptrIKjEEEESI_EEEEESK_NSA_INS5_IJNSE_INSF_IjEEEESM_EEEEEPS7_SP_SP_NSC_11hip_rocprim7__merge17predicate_wrapperIjjNSC_4lessIjEEEEEE10hipError_tPvRmT0_T1_T2_T3_T4_T5_mmT6_P12ihipStream_tbEUlT_E_NS1_11comp_targetILNS1_3genE9ELNS1_11target_archE1100ELNS1_3gpuE3ELNS1_3repE0EEENS1_30default_config_static_selectorELNS0_4arch9wavefront6targetE0EEEvS10_,comdat
	.protected	_ZN7rocprim17ROCPRIM_400000_NS6detail17trampoline_kernelINS0_14default_configENS1_21merge_config_selectorINS0_5tupleIJjjEEENS0_10empty_typeEEEZNS1_10merge_implIS3_NS0_12zip_iteratorINS5_IJN6thrust23THRUST_200600_302600_NS6detail15normal_iteratorINSC_10device_ptrIKjEEEESI_EEEEESK_NSA_INS5_IJNSE_INSF_IjEEEESM_EEEEEPS7_SP_SP_NSC_11hip_rocprim7__merge17predicate_wrapperIjjNSC_4lessIjEEEEEE10hipError_tPvRmT0_T1_T2_T3_T4_T5_mmT6_P12ihipStream_tbEUlT_E_NS1_11comp_targetILNS1_3genE9ELNS1_11target_archE1100ELNS1_3gpuE3ELNS1_3repE0EEENS1_30default_config_static_selectorELNS0_4arch9wavefront6targetE0EEEvS10_ ; -- Begin function _ZN7rocprim17ROCPRIM_400000_NS6detail17trampoline_kernelINS0_14default_configENS1_21merge_config_selectorINS0_5tupleIJjjEEENS0_10empty_typeEEEZNS1_10merge_implIS3_NS0_12zip_iteratorINS5_IJN6thrust23THRUST_200600_302600_NS6detail15normal_iteratorINSC_10device_ptrIKjEEEESI_EEEEESK_NSA_INS5_IJNSE_INSF_IjEEEESM_EEEEEPS7_SP_SP_NSC_11hip_rocprim7__merge17predicate_wrapperIjjNSC_4lessIjEEEEEE10hipError_tPvRmT0_T1_T2_T3_T4_T5_mmT6_P12ihipStream_tbEUlT_E_NS1_11comp_targetILNS1_3genE9ELNS1_11target_archE1100ELNS1_3gpuE3ELNS1_3repE0EEENS1_30default_config_static_selectorELNS0_4arch9wavefront6targetE0EEEvS10_
	.globl	_ZN7rocprim17ROCPRIM_400000_NS6detail17trampoline_kernelINS0_14default_configENS1_21merge_config_selectorINS0_5tupleIJjjEEENS0_10empty_typeEEEZNS1_10merge_implIS3_NS0_12zip_iteratorINS5_IJN6thrust23THRUST_200600_302600_NS6detail15normal_iteratorINSC_10device_ptrIKjEEEESI_EEEEESK_NSA_INS5_IJNSE_INSF_IjEEEESM_EEEEEPS7_SP_SP_NSC_11hip_rocprim7__merge17predicate_wrapperIjjNSC_4lessIjEEEEEE10hipError_tPvRmT0_T1_T2_T3_T4_T5_mmT6_P12ihipStream_tbEUlT_E_NS1_11comp_targetILNS1_3genE9ELNS1_11target_archE1100ELNS1_3gpuE3ELNS1_3repE0EEENS1_30default_config_static_selectorELNS0_4arch9wavefront6targetE0EEEvS10_
	.p2align	8
	.type	_ZN7rocprim17ROCPRIM_400000_NS6detail17trampoline_kernelINS0_14default_configENS1_21merge_config_selectorINS0_5tupleIJjjEEENS0_10empty_typeEEEZNS1_10merge_implIS3_NS0_12zip_iteratorINS5_IJN6thrust23THRUST_200600_302600_NS6detail15normal_iteratorINSC_10device_ptrIKjEEEESI_EEEEESK_NSA_INS5_IJNSE_INSF_IjEEEESM_EEEEEPS7_SP_SP_NSC_11hip_rocprim7__merge17predicate_wrapperIjjNSC_4lessIjEEEEEE10hipError_tPvRmT0_T1_T2_T3_T4_T5_mmT6_P12ihipStream_tbEUlT_E_NS1_11comp_targetILNS1_3genE9ELNS1_11target_archE1100ELNS1_3gpuE3ELNS1_3repE0EEENS1_30default_config_static_selectorELNS0_4arch9wavefront6targetE0EEEvS10_,@function
_ZN7rocprim17ROCPRIM_400000_NS6detail17trampoline_kernelINS0_14default_configENS1_21merge_config_selectorINS0_5tupleIJjjEEENS0_10empty_typeEEEZNS1_10merge_implIS3_NS0_12zip_iteratorINS5_IJN6thrust23THRUST_200600_302600_NS6detail15normal_iteratorINSC_10device_ptrIKjEEEESI_EEEEESK_NSA_INS5_IJNSE_INSF_IjEEEESM_EEEEEPS7_SP_SP_NSC_11hip_rocprim7__merge17predicate_wrapperIjjNSC_4lessIjEEEEEE10hipError_tPvRmT0_T1_T2_T3_T4_T5_mmT6_P12ihipStream_tbEUlT_E_NS1_11comp_targetILNS1_3genE9ELNS1_11target_archE1100ELNS1_3gpuE3ELNS1_3repE0EEENS1_30default_config_static_selectorELNS0_4arch9wavefront6targetE0EEEvS10_: ; @_ZN7rocprim17ROCPRIM_400000_NS6detail17trampoline_kernelINS0_14default_configENS1_21merge_config_selectorINS0_5tupleIJjjEEENS0_10empty_typeEEEZNS1_10merge_implIS3_NS0_12zip_iteratorINS5_IJN6thrust23THRUST_200600_302600_NS6detail15normal_iteratorINSC_10device_ptrIKjEEEESI_EEEEESK_NSA_INS5_IJNSE_INSF_IjEEEESM_EEEEEPS7_SP_SP_NSC_11hip_rocprim7__merge17predicate_wrapperIjjNSC_4lessIjEEEEEE10hipError_tPvRmT0_T1_T2_T3_T4_T5_mmT6_P12ihipStream_tbEUlT_E_NS1_11comp_targetILNS1_3genE9ELNS1_11target_archE1100ELNS1_3gpuE3ELNS1_3repE0EEENS1_30default_config_static_selectorELNS0_4arch9wavefront6targetE0EEEvS10_
; %bb.0:
	.section	.rodata,"a",@progbits
	.p2align	6, 0x0
	.amdhsa_kernel _ZN7rocprim17ROCPRIM_400000_NS6detail17trampoline_kernelINS0_14default_configENS1_21merge_config_selectorINS0_5tupleIJjjEEENS0_10empty_typeEEEZNS1_10merge_implIS3_NS0_12zip_iteratorINS5_IJN6thrust23THRUST_200600_302600_NS6detail15normal_iteratorINSC_10device_ptrIKjEEEESI_EEEEESK_NSA_INS5_IJNSE_INSF_IjEEEESM_EEEEEPS7_SP_SP_NSC_11hip_rocprim7__merge17predicate_wrapperIjjNSC_4lessIjEEEEEE10hipError_tPvRmT0_T1_T2_T3_T4_T5_mmT6_P12ihipStream_tbEUlT_E_NS1_11comp_targetILNS1_3genE9ELNS1_11target_archE1100ELNS1_3gpuE3ELNS1_3repE0EEENS1_30default_config_static_selectorELNS0_4arch9wavefront6targetE0EEEvS10_
		.amdhsa_group_segment_fixed_size 0
		.amdhsa_private_segment_fixed_size 0
		.amdhsa_kernarg_size 64
		.amdhsa_user_sgpr_count 2
		.amdhsa_user_sgpr_dispatch_ptr 0
		.amdhsa_user_sgpr_queue_ptr 0
		.amdhsa_user_sgpr_kernarg_segment_ptr 1
		.amdhsa_user_sgpr_dispatch_id 0
		.amdhsa_user_sgpr_kernarg_preload_length 0
		.amdhsa_user_sgpr_kernarg_preload_offset 0
		.amdhsa_user_sgpr_private_segment_size 0
		.amdhsa_wavefront_size32 1
		.amdhsa_uses_dynamic_stack 0
		.amdhsa_enable_private_segment 0
		.amdhsa_system_sgpr_workgroup_id_x 1
		.amdhsa_system_sgpr_workgroup_id_y 0
		.amdhsa_system_sgpr_workgroup_id_z 0
		.amdhsa_system_sgpr_workgroup_info 0
		.amdhsa_system_vgpr_workitem_id 0
		.amdhsa_next_free_vgpr 1
		.amdhsa_next_free_sgpr 1
		.amdhsa_named_barrier_count 0
		.amdhsa_reserve_vcc 0
		.amdhsa_float_round_mode_32 0
		.amdhsa_float_round_mode_16_64 0
		.amdhsa_float_denorm_mode_32 3
		.amdhsa_float_denorm_mode_16_64 3
		.amdhsa_fp16_overflow 0
		.amdhsa_memory_ordered 1
		.amdhsa_forward_progress 1
		.amdhsa_inst_pref_size 0
		.amdhsa_round_robin_scheduling 0
		.amdhsa_exception_fp_ieee_invalid_op 0
		.amdhsa_exception_fp_denorm_src 0
		.amdhsa_exception_fp_ieee_div_zero 0
		.amdhsa_exception_fp_ieee_overflow 0
		.amdhsa_exception_fp_ieee_underflow 0
		.amdhsa_exception_fp_ieee_inexact 0
		.amdhsa_exception_int_div_zero 0
	.end_amdhsa_kernel
	.section	.text._ZN7rocprim17ROCPRIM_400000_NS6detail17trampoline_kernelINS0_14default_configENS1_21merge_config_selectorINS0_5tupleIJjjEEENS0_10empty_typeEEEZNS1_10merge_implIS3_NS0_12zip_iteratorINS5_IJN6thrust23THRUST_200600_302600_NS6detail15normal_iteratorINSC_10device_ptrIKjEEEESI_EEEEESK_NSA_INS5_IJNSE_INSF_IjEEEESM_EEEEEPS7_SP_SP_NSC_11hip_rocprim7__merge17predicate_wrapperIjjNSC_4lessIjEEEEEE10hipError_tPvRmT0_T1_T2_T3_T4_T5_mmT6_P12ihipStream_tbEUlT_E_NS1_11comp_targetILNS1_3genE9ELNS1_11target_archE1100ELNS1_3gpuE3ELNS1_3repE0EEENS1_30default_config_static_selectorELNS0_4arch9wavefront6targetE0EEEvS10_,"axG",@progbits,_ZN7rocprim17ROCPRIM_400000_NS6detail17trampoline_kernelINS0_14default_configENS1_21merge_config_selectorINS0_5tupleIJjjEEENS0_10empty_typeEEEZNS1_10merge_implIS3_NS0_12zip_iteratorINS5_IJN6thrust23THRUST_200600_302600_NS6detail15normal_iteratorINSC_10device_ptrIKjEEEESI_EEEEESK_NSA_INS5_IJNSE_INSF_IjEEEESM_EEEEEPS7_SP_SP_NSC_11hip_rocprim7__merge17predicate_wrapperIjjNSC_4lessIjEEEEEE10hipError_tPvRmT0_T1_T2_T3_T4_T5_mmT6_P12ihipStream_tbEUlT_E_NS1_11comp_targetILNS1_3genE9ELNS1_11target_archE1100ELNS1_3gpuE3ELNS1_3repE0EEENS1_30default_config_static_selectorELNS0_4arch9wavefront6targetE0EEEvS10_,comdat
.Lfunc_end140:
	.size	_ZN7rocprim17ROCPRIM_400000_NS6detail17trampoline_kernelINS0_14default_configENS1_21merge_config_selectorINS0_5tupleIJjjEEENS0_10empty_typeEEEZNS1_10merge_implIS3_NS0_12zip_iteratorINS5_IJN6thrust23THRUST_200600_302600_NS6detail15normal_iteratorINSC_10device_ptrIKjEEEESI_EEEEESK_NSA_INS5_IJNSE_INSF_IjEEEESM_EEEEEPS7_SP_SP_NSC_11hip_rocprim7__merge17predicate_wrapperIjjNSC_4lessIjEEEEEE10hipError_tPvRmT0_T1_T2_T3_T4_T5_mmT6_P12ihipStream_tbEUlT_E_NS1_11comp_targetILNS1_3genE9ELNS1_11target_archE1100ELNS1_3gpuE3ELNS1_3repE0EEENS1_30default_config_static_selectorELNS0_4arch9wavefront6targetE0EEEvS10_, .Lfunc_end140-_ZN7rocprim17ROCPRIM_400000_NS6detail17trampoline_kernelINS0_14default_configENS1_21merge_config_selectorINS0_5tupleIJjjEEENS0_10empty_typeEEEZNS1_10merge_implIS3_NS0_12zip_iteratorINS5_IJN6thrust23THRUST_200600_302600_NS6detail15normal_iteratorINSC_10device_ptrIKjEEEESI_EEEEESK_NSA_INS5_IJNSE_INSF_IjEEEESM_EEEEEPS7_SP_SP_NSC_11hip_rocprim7__merge17predicate_wrapperIjjNSC_4lessIjEEEEEE10hipError_tPvRmT0_T1_T2_T3_T4_T5_mmT6_P12ihipStream_tbEUlT_E_NS1_11comp_targetILNS1_3genE9ELNS1_11target_archE1100ELNS1_3gpuE3ELNS1_3repE0EEENS1_30default_config_static_selectorELNS0_4arch9wavefront6targetE0EEEvS10_
                                        ; -- End function
	.set _ZN7rocprim17ROCPRIM_400000_NS6detail17trampoline_kernelINS0_14default_configENS1_21merge_config_selectorINS0_5tupleIJjjEEENS0_10empty_typeEEEZNS1_10merge_implIS3_NS0_12zip_iteratorINS5_IJN6thrust23THRUST_200600_302600_NS6detail15normal_iteratorINSC_10device_ptrIKjEEEESI_EEEEESK_NSA_INS5_IJNSE_INSF_IjEEEESM_EEEEEPS7_SP_SP_NSC_11hip_rocprim7__merge17predicate_wrapperIjjNSC_4lessIjEEEEEE10hipError_tPvRmT0_T1_T2_T3_T4_T5_mmT6_P12ihipStream_tbEUlT_E_NS1_11comp_targetILNS1_3genE9ELNS1_11target_archE1100ELNS1_3gpuE3ELNS1_3repE0EEENS1_30default_config_static_selectorELNS0_4arch9wavefront6targetE0EEEvS10_.num_vgpr, 0
	.set _ZN7rocprim17ROCPRIM_400000_NS6detail17trampoline_kernelINS0_14default_configENS1_21merge_config_selectorINS0_5tupleIJjjEEENS0_10empty_typeEEEZNS1_10merge_implIS3_NS0_12zip_iteratorINS5_IJN6thrust23THRUST_200600_302600_NS6detail15normal_iteratorINSC_10device_ptrIKjEEEESI_EEEEESK_NSA_INS5_IJNSE_INSF_IjEEEESM_EEEEEPS7_SP_SP_NSC_11hip_rocprim7__merge17predicate_wrapperIjjNSC_4lessIjEEEEEE10hipError_tPvRmT0_T1_T2_T3_T4_T5_mmT6_P12ihipStream_tbEUlT_E_NS1_11comp_targetILNS1_3genE9ELNS1_11target_archE1100ELNS1_3gpuE3ELNS1_3repE0EEENS1_30default_config_static_selectorELNS0_4arch9wavefront6targetE0EEEvS10_.num_agpr, 0
	.set _ZN7rocprim17ROCPRIM_400000_NS6detail17trampoline_kernelINS0_14default_configENS1_21merge_config_selectorINS0_5tupleIJjjEEENS0_10empty_typeEEEZNS1_10merge_implIS3_NS0_12zip_iteratorINS5_IJN6thrust23THRUST_200600_302600_NS6detail15normal_iteratorINSC_10device_ptrIKjEEEESI_EEEEESK_NSA_INS5_IJNSE_INSF_IjEEEESM_EEEEEPS7_SP_SP_NSC_11hip_rocprim7__merge17predicate_wrapperIjjNSC_4lessIjEEEEEE10hipError_tPvRmT0_T1_T2_T3_T4_T5_mmT6_P12ihipStream_tbEUlT_E_NS1_11comp_targetILNS1_3genE9ELNS1_11target_archE1100ELNS1_3gpuE3ELNS1_3repE0EEENS1_30default_config_static_selectorELNS0_4arch9wavefront6targetE0EEEvS10_.numbered_sgpr, 0
	.set _ZN7rocprim17ROCPRIM_400000_NS6detail17trampoline_kernelINS0_14default_configENS1_21merge_config_selectorINS0_5tupleIJjjEEENS0_10empty_typeEEEZNS1_10merge_implIS3_NS0_12zip_iteratorINS5_IJN6thrust23THRUST_200600_302600_NS6detail15normal_iteratorINSC_10device_ptrIKjEEEESI_EEEEESK_NSA_INS5_IJNSE_INSF_IjEEEESM_EEEEEPS7_SP_SP_NSC_11hip_rocprim7__merge17predicate_wrapperIjjNSC_4lessIjEEEEEE10hipError_tPvRmT0_T1_T2_T3_T4_T5_mmT6_P12ihipStream_tbEUlT_E_NS1_11comp_targetILNS1_3genE9ELNS1_11target_archE1100ELNS1_3gpuE3ELNS1_3repE0EEENS1_30default_config_static_selectorELNS0_4arch9wavefront6targetE0EEEvS10_.num_named_barrier, 0
	.set _ZN7rocprim17ROCPRIM_400000_NS6detail17trampoline_kernelINS0_14default_configENS1_21merge_config_selectorINS0_5tupleIJjjEEENS0_10empty_typeEEEZNS1_10merge_implIS3_NS0_12zip_iteratorINS5_IJN6thrust23THRUST_200600_302600_NS6detail15normal_iteratorINSC_10device_ptrIKjEEEESI_EEEEESK_NSA_INS5_IJNSE_INSF_IjEEEESM_EEEEEPS7_SP_SP_NSC_11hip_rocprim7__merge17predicate_wrapperIjjNSC_4lessIjEEEEEE10hipError_tPvRmT0_T1_T2_T3_T4_T5_mmT6_P12ihipStream_tbEUlT_E_NS1_11comp_targetILNS1_3genE9ELNS1_11target_archE1100ELNS1_3gpuE3ELNS1_3repE0EEENS1_30default_config_static_selectorELNS0_4arch9wavefront6targetE0EEEvS10_.private_seg_size, 0
	.set _ZN7rocprim17ROCPRIM_400000_NS6detail17trampoline_kernelINS0_14default_configENS1_21merge_config_selectorINS0_5tupleIJjjEEENS0_10empty_typeEEEZNS1_10merge_implIS3_NS0_12zip_iteratorINS5_IJN6thrust23THRUST_200600_302600_NS6detail15normal_iteratorINSC_10device_ptrIKjEEEESI_EEEEESK_NSA_INS5_IJNSE_INSF_IjEEEESM_EEEEEPS7_SP_SP_NSC_11hip_rocprim7__merge17predicate_wrapperIjjNSC_4lessIjEEEEEE10hipError_tPvRmT0_T1_T2_T3_T4_T5_mmT6_P12ihipStream_tbEUlT_E_NS1_11comp_targetILNS1_3genE9ELNS1_11target_archE1100ELNS1_3gpuE3ELNS1_3repE0EEENS1_30default_config_static_selectorELNS0_4arch9wavefront6targetE0EEEvS10_.uses_vcc, 0
	.set _ZN7rocprim17ROCPRIM_400000_NS6detail17trampoline_kernelINS0_14default_configENS1_21merge_config_selectorINS0_5tupleIJjjEEENS0_10empty_typeEEEZNS1_10merge_implIS3_NS0_12zip_iteratorINS5_IJN6thrust23THRUST_200600_302600_NS6detail15normal_iteratorINSC_10device_ptrIKjEEEESI_EEEEESK_NSA_INS5_IJNSE_INSF_IjEEEESM_EEEEEPS7_SP_SP_NSC_11hip_rocprim7__merge17predicate_wrapperIjjNSC_4lessIjEEEEEE10hipError_tPvRmT0_T1_T2_T3_T4_T5_mmT6_P12ihipStream_tbEUlT_E_NS1_11comp_targetILNS1_3genE9ELNS1_11target_archE1100ELNS1_3gpuE3ELNS1_3repE0EEENS1_30default_config_static_selectorELNS0_4arch9wavefront6targetE0EEEvS10_.uses_flat_scratch, 0
	.set _ZN7rocprim17ROCPRIM_400000_NS6detail17trampoline_kernelINS0_14default_configENS1_21merge_config_selectorINS0_5tupleIJjjEEENS0_10empty_typeEEEZNS1_10merge_implIS3_NS0_12zip_iteratorINS5_IJN6thrust23THRUST_200600_302600_NS6detail15normal_iteratorINSC_10device_ptrIKjEEEESI_EEEEESK_NSA_INS5_IJNSE_INSF_IjEEEESM_EEEEEPS7_SP_SP_NSC_11hip_rocprim7__merge17predicate_wrapperIjjNSC_4lessIjEEEEEE10hipError_tPvRmT0_T1_T2_T3_T4_T5_mmT6_P12ihipStream_tbEUlT_E_NS1_11comp_targetILNS1_3genE9ELNS1_11target_archE1100ELNS1_3gpuE3ELNS1_3repE0EEENS1_30default_config_static_selectorELNS0_4arch9wavefront6targetE0EEEvS10_.has_dyn_sized_stack, 0
	.set _ZN7rocprim17ROCPRIM_400000_NS6detail17trampoline_kernelINS0_14default_configENS1_21merge_config_selectorINS0_5tupleIJjjEEENS0_10empty_typeEEEZNS1_10merge_implIS3_NS0_12zip_iteratorINS5_IJN6thrust23THRUST_200600_302600_NS6detail15normal_iteratorINSC_10device_ptrIKjEEEESI_EEEEESK_NSA_INS5_IJNSE_INSF_IjEEEESM_EEEEEPS7_SP_SP_NSC_11hip_rocprim7__merge17predicate_wrapperIjjNSC_4lessIjEEEEEE10hipError_tPvRmT0_T1_T2_T3_T4_T5_mmT6_P12ihipStream_tbEUlT_E_NS1_11comp_targetILNS1_3genE9ELNS1_11target_archE1100ELNS1_3gpuE3ELNS1_3repE0EEENS1_30default_config_static_selectorELNS0_4arch9wavefront6targetE0EEEvS10_.has_recursion, 0
	.set _ZN7rocprim17ROCPRIM_400000_NS6detail17trampoline_kernelINS0_14default_configENS1_21merge_config_selectorINS0_5tupleIJjjEEENS0_10empty_typeEEEZNS1_10merge_implIS3_NS0_12zip_iteratorINS5_IJN6thrust23THRUST_200600_302600_NS6detail15normal_iteratorINSC_10device_ptrIKjEEEESI_EEEEESK_NSA_INS5_IJNSE_INSF_IjEEEESM_EEEEEPS7_SP_SP_NSC_11hip_rocprim7__merge17predicate_wrapperIjjNSC_4lessIjEEEEEE10hipError_tPvRmT0_T1_T2_T3_T4_T5_mmT6_P12ihipStream_tbEUlT_E_NS1_11comp_targetILNS1_3genE9ELNS1_11target_archE1100ELNS1_3gpuE3ELNS1_3repE0EEENS1_30default_config_static_selectorELNS0_4arch9wavefront6targetE0EEEvS10_.has_indirect_call, 0
	.section	.AMDGPU.csdata,"",@progbits
; Kernel info:
; codeLenInByte = 0
; TotalNumSgprs: 0
; NumVgprs: 0
; ScratchSize: 0
; MemoryBound: 0
; FloatMode: 240
; IeeeMode: 1
; LDSByteSize: 0 bytes/workgroup (compile time only)
; SGPRBlocks: 0
; VGPRBlocks: 0
; NumSGPRsForWavesPerEU: 1
; NumVGPRsForWavesPerEU: 1
; NamedBarCnt: 0
; Occupancy: 16
; WaveLimiterHint : 0
; COMPUTE_PGM_RSRC2:SCRATCH_EN: 0
; COMPUTE_PGM_RSRC2:USER_SGPR: 2
; COMPUTE_PGM_RSRC2:TRAP_HANDLER: 0
; COMPUTE_PGM_RSRC2:TGID_X_EN: 1
; COMPUTE_PGM_RSRC2:TGID_Y_EN: 0
; COMPUTE_PGM_RSRC2:TGID_Z_EN: 0
; COMPUTE_PGM_RSRC2:TIDIG_COMP_CNT: 0
	.section	.text._ZN7rocprim17ROCPRIM_400000_NS6detail17trampoline_kernelINS0_14default_configENS1_21merge_config_selectorINS0_5tupleIJjjEEENS0_10empty_typeEEEZNS1_10merge_implIS3_NS0_12zip_iteratorINS5_IJN6thrust23THRUST_200600_302600_NS6detail15normal_iteratorINSC_10device_ptrIKjEEEESI_EEEEESK_NSA_INS5_IJNSE_INSF_IjEEEESM_EEEEEPS7_SP_SP_NSC_11hip_rocprim7__merge17predicate_wrapperIjjNSC_4lessIjEEEEEE10hipError_tPvRmT0_T1_T2_T3_T4_T5_mmT6_P12ihipStream_tbEUlT_E_NS1_11comp_targetILNS1_3genE8ELNS1_11target_archE1030ELNS1_3gpuE2ELNS1_3repE0EEENS1_30default_config_static_selectorELNS0_4arch9wavefront6targetE0EEEvS10_,"axG",@progbits,_ZN7rocprim17ROCPRIM_400000_NS6detail17trampoline_kernelINS0_14default_configENS1_21merge_config_selectorINS0_5tupleIJjjEEENS0_10empty_typeEEEZNS1_10merge_implIS3_NS0_12zip_iteratorINS5_IJN6thrust23THRUST_200600_302600_NS6detail15normal_iteratorINSC_10device_ptrIKjEEEESI_EEEEESK_NSA_INS5_IJNSE_INSF_IjEEEESM_EEEEEPS7_SP_SP_NSC_11hip_rocprim7__merge17predicate_wrapperIjjNSC_4lessIjEEEEEE10hipError_tPvRmT0_T1_T2_T3_T4_T5_mmT6_P12ihipStream_tbEUlT_E_NS1_11comp_targetILNS1_3genE8ELNS1_11target_archE1030ELNS1_3gpuE2ELNS1_3repE0EEENS1_30default_config_static_selectorELNS0_4arch9wavefront6targetE0EEEvS10_,comdat
	.protected	_ZN7rocprim17ROCPRIM_400000_NS6detail17trampoline_kernelINS0_14default_configENS1_21merge_config_selectorINS0_5tupleIJjjEEENS0_10empty_typeEEEZNS1_10merge_implIS3_NS0_12zip_iteratorINS5_IJN6thrust23THRUST_200600_302600_NS6detail15normal_iteratorINSC_10device_ptrIKjEEEESI_EEEEESK_NSA_INS5_IJNSE_INSF_IjEEEESM_EEEEEPS7_SP_SP_NSC_11hip_rocprim7__merge17predicate_wrapperIjjNSC_4lessIjEEEEEE10hipError_tPvRmT0_T1_T2_T3_T4_T5_mmT6_P12ihipStream_tbEUlT_E_NS1_11comp_targetILNS1_3genE8ELNS1_11target_archE1030ELNS1_3gpuE2ELNS1_3repE0EEENS1_30default_config_static_selectorELNS0_4arch9wavefront6targetE0EEEvS10_ ; -- Begin function _ZN7rocprim17ROCPRIM_400000_NS6detail17trampoline_kernelINS0_14default_configENS1_21merge_config_selectorINS0_5tupleIJjjEEENS0_10empty_typeEEEZNS1_10merge_implIS3_NS0_12zip_iteratorINS5_IJN6thrust23THRUST_200600_302600_NS6detail15normal_iteratorINSC_10device_ptrIKjEEEESI_EEEEESK_NSA_INS5_IJNSE_INSF_IjEEEESM_EEEEEPS7_SP_SP_NSC_11hip_rocprim7__merge17predicate_wrapperIjjNSC_4lessIjEEEEEE10hipError_tPvRmT0_T1_T2_T3_T4_T5_mmT6_P12ihipStream_tbEUlT_E_NS1_11comp_targetILNS1_3genE8ELNS1_11target_archE1030ELNS1_3gpuE2ELNS1_3repE0EEENS1_30default_config_static_selectorELNS0_4arch9wavefront6targetE0EEEvS10_
	.globl	_ZN7rocprim17ROCPRIM_400000_NS6detail17trampoline_kernelINS0_14default_configENS1_21merge_config_selectorINS0_5tupleIJjjEEENS0_10empty_typeEEEZNS1_10merge_implIS3_NS0_12zip_iteratorINS5_IJN6thrust23THRUST_200600_302600_NS6detail15normal_iteratorINSC_10device_ptrIKjEEEESI_EEEEESK_NSA_INS5_IJNSE_INSF_IjEEEESM_EEEEEPS7_SP_SP_NSC_11hip_rocprim7__merge17predicate_wrapperIjjNSC_4lessIjEEEEEE10hipError_tPvRmT0_T1_T2_T3_T4_T5_mmT6_P12ihipStream_tbEUlT_E_NS1_11comp_targetILNS1_3genE8ELNS1_11target_archE1030ELNS1_3gpuE2ELNS1_3repE0EEENS1_30default_config_static_selectorELNS0_4arch9wavefront6targetE0EEEvS10_
	.p2align	8
	.type	_ZN7rocprim17ROCPRIM_400000_NS6detail17trampoline_kernelINS0_14default_configENS1_21merge_config_selectorINS0_5tupleIJjjEEENS0_10empty_typeEEEZNS1_10merge_implIS3_NS0_12zip_iteratorINS5_IJN6thrust23THRUST_200600_302600_NS6detail15normal_iteratorINSC_10device_ptrIKjEEEESI_EEEEESK_NSA_INS5_IJNSE_INSF_IjEEEESM_EEEEEPS7_SP_SP_NSC_11hip_rocprim7__merge17predicate_wrapperIjjNSC_4lessIjEEEEEE10hipError_tPvRmT0_T1_T2_T3_T4_T5_mmT6_P12ihipStream_tbEUlT_E_NS1_11comp_targetILNS1_3genE8ELNS1_11target_archE1030ELNS1_3gpuE2ELNS1_3repE0EEENS1_30default_config_static_selectorELNS0_4arch9wavefront6targetE0EEEvS10_,@function
_ZN7rocprim17ROCPRIM_400000_NS6detail17trampoline_kernelINS0_14default_configENS1_21merge_config_selectorINS0_5tupleIJjjEEENS0_10empty_typeEEEZNS1_10merge_implIS3_NS0_12zip_iteratorINS5_IJN6thrust23THRUST_200600_302600_NS6detail15normal_iteratorINSC_10device_ptrIKjEEEESI_EEEEESK_NSA_INS5_IJNSE_INSF_IjEEEESM_EEEEEPS7_SP_SP_NSC_11hip_rocprim7__merge17predicate_wrapperIjjNSC_4lessIjEEEEEE10hipError_tPvRmT0_T1_T2_T3_T4_T5_mmT6_P12ihipStream_tbEUlT_E_NS1_11comp_targetILNS1_3genE8ELNS1_11target_archE1030ELNS1_3gpuE2ELNS1_3repE0EEENS1_30default_config_static_selectorELNS0_4arch9wavefront6targetE0EEEvS10_: ; @_ZN7rocprim17ROCPRIM_400000_NS6detail17trampoline_kernelINS0_14default_configENS1_21merge_config_selectorINS0_5tupleIJjjEEENS0_10empty_typeEEEZNS1_10merge_implIS3_NS0_12zip_iteratorINS5_IJN6thrust23THRUST_200600_302600_NS6detail15normal_iteratorINSC_10device_ptrIKjEEEESI_EEEEESK_NSA_INS5_IJNSE_INSF_IjEEEESM_EEEEEPS7_SP_SP_NSC_11hip_rocprim7__merge17predicate_wrapperIjjNSC_4lessIjEEEEEE10hipError_tPvRmT0_T1_T2_T3_T4_T5_mmT6_P12ihipStream_tbEUlT_E_NS1_11comp_targetILNS1_3genE8ELNS1_11target_archE1030ELNS1_3gpuE2ELNS1_3repE0EEENS1_30default_config_static_selectorELNS0_4arch9wavefront6targetE0EEEvS10_
; %bb.0:
	.section	.rodata,"a",@progbits
	.p2align	6, 0x0
	.amdhsa_kernel _ZN7rocprim17ROCPRIM_400000_NS6detail17trampoline_kernelINS0_14default_configENS1_21merge_config_selectorINS0_5tupleIJjjEEENS0_10empty_typeEEEZNS1_10merge_implIS3_NS0_12zip_iteratorINS5_IJN6thrust23THRUST_200600_302600_NS6detail15normal_iteratorINSC_10device_ptrIKjEEEESI_EEEEESK_NSA_INS5_IJNSE_INSF_IjEEEESM_EEEEEPS7_SP_SP_NSC_11hip_rocprim7__merge17predicate_wrapperIjjNSC_4lessIjEEEEEE10hipError_tPvRmT0_T1_T2_T3_T4_T5_mmT6_P12ihipStream_tbEUlT_E_NS1_11comp_targetILNS1_3genE8ELNS1_11target_archE1030ELNS1_3gpuE2ELNS1_3repE0EEENS1_30default_config_static_selectorELNS0_4arch9wavefront6targetE0EEEvS10_
		.amdhsa_group_segment_fixed_size 0
		.amdhsa_private_segment_fixed_size 0
		.amdhsa_kernarg_size 64
		.amdhsa_user_sgpr_count 2
		.amdhsa_user_sgpr_dispatch_ptr 0
		.amdhsa_user_sgpr_queue_ptr 0
		.amdhsa_user_sgpr_kernarg_segment_ptr 1
		.amdhsa_user_sgpr_dispatch_id 0
		.amdhsa_user_sgpr_kernarg_preload_length 0
		.amdhsa_user_sgpr_kernarg_preload_offset 0
		.amdhsa_user_sgpr_private_segment_size 0
		.amdhsa_wavefront_size32 1
		.amdhsa_uses_dynamic_stack 0
		.amdhsa_enable_private_segment 0
		.amdhsa_system_sgpr_workgroup_id_x 1
		.amdhsa_system_sgpr_workgroup_id_y 0
		.amdhsa_system_sgpr_workgroup_id_z 0
		.amdhsa_system_sgpr_workgroup_info 0
		.amdhsa_system_vgpr_workitem_id 0
		.amdhsa_next_free_vgpr 1
		.amdhsa_next_free_sgpr 1
		.amdhsa_named_barrier_count 0
		.amdhsa_reserve_vcc 0
		.amdhsa_float_round_mode_32 0
		.amdhsa_float_round_mode_16_64 0
		.amdhsa_float_denorm_mode_32 3
		.amdhsa_float_denorm_mode_16_64 3
		.amdhsa_fp16_overflow 0
		.amdhsa_memory_ordered 1
		.amdhsa_forward_progress 1
		.amdhsa_inst_pref_size 0
		.amdhsa_round_robin_scheduling 0
		.amdhsa_exception_fp_ieee_invalid_op 0
		.amdhsa_exception_fp_denorm_src 0
		.amdhsa_exception_fp_ieee_div_zero 0
		.amdhsa_exception_fp_ieee_overflow 0
		.amdhsa_exception_fp_ieee_underflow 0
		.amdhsa_exception_fp_ieee_inexact 0
		.amdhsa_exception_int_div_zero 0
	.end_amdhsa_kernel
	.section	.text._ZN7rocprim17ROCPRIM_400000_NS6detail17trampoline_kernelINS0_14default_configENS1_21merge_config_selectorINS0_5tupleIJjjEEENS0_10empty_typeEEEZNS1_10merge_implIS3_NS0_12zip_iteratorINS5_IJN6thrust23THRUST_200600_302600_NS6detail15normal_iteratorINSC_10device_ptrIKjEEEESI_EEEEESK_NSA_INS5_IJNSE_INSF_IjEEEESM_EEEEEPS7_SP_SP_NSC_11hip_rocprim7__merge17predicate_wrapperIjjNSC_4lessIjEEEEEE10hipError_tPvRmT0_T1_T2_T3_T4_T5_mmT6_P12ihipStream_tbEUlT_E_NS1_11comp_targetILNS1_3genE8ELNS1_11target_archE1030ELNS1_3gpuE2ELNS1_3repE0EEENS1_30default_config_static_selectorELNS0_4arch9wavefront6targetE0EEEvS10_,"axG",@progbits,_ZN7rocprim17ROCPRIM_400000_NS6detail17trampoline_kernelINS0_14default_configENS1_21merge_config_selectorINS0_5tupleIJjjEEENS0_10empty_typeEEEZNS1_10merge_implIS3_NS0_12zip_iteratorINS5_IJN6thrust23THRUST_200600_302600_NS6detail15normal_iteratorINSC_10device_ptrIKjEEEESI_EEEEESK_NSA_INS5_IJNSE_INSF_IjEEEESM_EEEEEPS7_SP_SP_NSC_11hip_rocprim7__merge17predicate_wrapperIjjNSC_4lessIjEEEEEE10hipError_tPvRmT0_T1_T2_T3_T4_T5_mmT6_P12ihipStream_tbEUlT_E_NS1_11comp_targetILNS1_3genE8ELNS1_11target_archE1030ELNS1_3gpuE2ELNS1_3repE0EEENS1_30default_config_static_selectorELNS0_4arch9wavefront6targetE0EEEvS10_,comdat
.Lfunc_end141:
	.size	_ZN7rocprim17ROCPRIM_400000_NS6detail17trampoline_kernelINS0_14default_configENS1_21merge_config_selectorINS0_5tupleIJjjEEENS0_10empty_typeEEEZNS1_10merge_implIS3_NS0_12zip_iteratorINS5_IJN6thrust23THRUST_200600_302600_NS6detail15normal_iteratorINSC_10device_ptrIKjEEEESI_EEEEESK_NSA_INS5_IJNSE_INSF_IjEEEESM_EEEEEPS7_SP_SP_NSC_11hip_rocprim7__merge17predicate_wrapperIjjNSC_4lessIjEEEEEE10hipError_tPvRmT0_T1_T2_T3_T4_T5_mmT6_P12ihipStream_tbEUlT_E_NS1_11comp_targetILNS1_3genE8ELNS1_11target_archE1030ELNS1_3gpuE2ELNS1_3repE0EEENS1_30default_config_static_selectorELNS0_4arch9wavefront6targetE0EEEvS10_, .Lfunc_end141-_ZN7rocprim17ROCPRIM_400000_NS6detail17trampoline_kernelINS0_14default_configENS1_21merge_config_selectorINS0_5tupleIJjjEEENS0_10empty_typeEEEZNS1_10merge_implIS3_NS0_12zip_iteratorINS5_IJN6thrust23THRUST_200600_302600_NS6detail15normal_iteratorINSC_10device_ptrIKjEEEESI_EEEEESK_NSA_INS5_IJNSE_INSF_IjEEEESM_EEEEEPS7_SP_SP_NSC_11hip_rocprim7__merge17predicate_wrapperIjjNSC_4lessIjEEEEEE10hipError_tPvRmT0_T1_T2_T3_T4_T5_mmT6_P12ihipStream_tbEUlT_E_NS1_11comp_targetILNS1_3genE8ELNS1_11target_archE1030ELNS1_3gpuE2ELNS1_3repE0EEENS1_30default_config_static_selectorELNS0_4arch9wavefront6targetE0EEEvS10_
                                        ; -- End function
	.set _ZN7rocprim17ROCPRIM_400000_NS6detail17trampoline_kernelINS0_14default_configENS1_21merge_config_selectorINS0_5tupleIJjjEEENS0_10empty_typeEEEZNS1_10merge_implIS3_NS0_12zip_iteratorINS5_IJN6thrust23THRUST_200600_302600_NS6detail15normal_iteratorINSC_10device_ptrIKjEEEESI_EEEEESK_NSA_INS5_IJNSE_INSF_IjEEEESM_EEEEEPS7_SP_SP_NSC_11hip_rocprim7__merge17predicate_wrapperIjjNSC_4lessIjEEEEEE10hipError_tPvRmT0_T1_T2_T3_T4_T5_mmT6_P12ihipStream_tbEUlT_E_NS1_11comp_targetILNS1_3genE8ELNS1_11target_archE1030ELNS1_3gpuE2ELNS1_3repE0EEENS1_30default_config_static_selectorELNS0_4arch9wavefront6targetE0EEEvS10_.num_vgpr, 0
	.set _ZN7rocprim17ROCPRIM_400000_NS6detail17trampoline_kernelINS0_14default_configENS1_21merge_config_selectorINS0_5tupleIJjjEEENS0_10empty_typeEEEZNS1_10merge_implIS3_NS0_12zip_iteratorINS5_IJN6thrust23THRUST_200600_302600_NS6detail15normal_iteratorINSC_10device_ptrIKjEEEESI_EEEEESK_NSA_INS5_IJNSE_INSF_IjEEEESM_EEEEEPS7_SP_SP_NSC_11hip_rocprim7__merge17predicate_wrapperIjjNSC_4lessIjEEEEEE10hipError_tPvRmT0_T1_T2_T3_T4_T5_mmT6_P12ihipStream_tbEUlT_E_NS1_11comp_targetILNS1_3genE8ELNS1_11target_archE1030ELNS1_3gpuE2ELNS1_3repE0EEENS1_30default_config_static_selectorELNS0_4arch9wavefront6targetE0EEEvS10_.num_agpr, 0
	.set _ZN7rocprim17ROCPRIM_400000_NS6detail17trampoline_kernelINS0_14default_configENS1_21merge_config_selectorINS0_5tupleIJjjEEENS0_10empty_typeEEEZNS1_10merge_implIS3_NS0_12zip_iteratorINS5_IJN6thrust23THRUST_200600_302600_NS6detail15normal_iteratorINSC_10device_ptrIKjEEEESI_EEEEESK_NSA_INS5_IJNSE_INSF_IjEEEESM_EEEEEPS7_SP_SP_NSC_11hip_rocprim7__merge17predicate_wrapperIjjNSC_4lessIjEEEEEE10hipError_tPvRmT0_T1_T2_T3_T4_T5_mmT6_P12ihipStream_tbEUlT_E_NS1_11comp_targetILNS1_3genE8ELNS1_11target_archE1030ELNS1_3gpuE2ELNS1_3repE0EEENS1_30default_config_static_selectorELNS0_4arch9wavefront6targetE0EEEvS10_.numbered_sgpr, 0
	.set _ZN7rocprim17ROCPRIM_400000_NS6detail17trampoline_kernelINS0_14default_configENS1_21merge_config_selectorINS0_5tupleIJjjEEENS0_10empty_typeEEEZNS1_10merge_implIS3_NS0_12zip_iteratorINS5_IJN6thrust23THRUST_200600_302600_NS6detail15normal_iteratorINSC_10device_ptrIKjEEEESI_EEEEESK_NSA_INS5_IJNSE_INSF_IjEEEESM_EEEEEPS7_SP_SP_NSC_11hip_rocprim7__merge17predicate_wrapperIjjNSC_4lessIjEEEEEE10hipError_tPvRmT0_T1_T2_T3_T4_T5_mmT6_P12ihipStream_tbEUlT_E_NS1_11comp_targetILNS1_3genE8ELNS1_11target_archE1030ELNS1_3gpuE2ELNS1_3repE0EEENS1_30default_config_static_selectorELNS0_4arch9wavefront6targetE0EEEvS10_.num_named_barrier, 0
	.set _ZN7rocprim17ROCPRIM_400000_NS6detail17trampoline_kernelINS0_14default_configENS1_21merge_config_selectorINS0_5tupleIJjjEEENS0_10empty_typeEEEZNS1_10merge_implIS3_NS0_12zip_iteratorINS5_IJN6thrust23THRUST_200600_302600_NS6detail15normal_iteratorINSC_10device_ptrIKjEEEESI_EEEEESK_NSA_INS5_IJNSE_INSF_IjEEEESM_EEEEEPS7_SP_SP_NSC_11hip_rocprim7__merge17predicate_wrapperIjjNSC_4lessIjEEEEEE10hipError_tPvRmT0_T1_T2_T3_T4_T5_mmT6_P12ihipStream_tbEUlT_E_NS1_11comp_targetILNS1_3genE8ELNS1_11target_archE1030ELNS1_3gpuE2ELNS1_3repE0EEENS1_30default_config_static_selectorELNS0_4arch9wavefront6targetE0EEEvS10_.private_seg_size, 0
	.set _ZN7rocprim17ROCPRIM_400000_NS6detail17trampoline_kernelINS0_14default_configENS1_21merge_config_selectorINS0_5tupleIJjjEEENS0_10empty_typeEEEZNS1_10merge_implIS3_NS0_12zip_iteratorINS5_IJN6thrust23THRUST_200600_302600_NS6detail15normal_iteratorINSC_10device_ptrIKjEEEESI_EEEEESK_NSA_INS5_IJNSE_INSF_IjEEEESM_EEEEEPS7_SP_SP_NSC_11hip_rocprim7__merge17predicate_wrapperIjjNSC_4lessIjEEEEEE10hipError_tPvRmT0_T1_T2_T3_T4_T5_mmT6_P12ihipStream_tbEUlT_E_NS1_11comp_targetILNS1_3genE8ELNS1_11target_archE1030ELNS1_3gpuE2ELNS1_3repE0EEENS1_30default_config_static_selectorELNS0_4arch9wavefront6targetE0EEEvS10_.uses_vcc, 0
	.set _ZN7rocprim17ROCPRIM_400000_NS6detail17trampoline_kernelINS0_14default_configENS1_21merge_config_selectorINS0_5tupleIJjjEEENS0_10empty_typeEEEZNS1_10merge_implIS3_NS0_12zip_iteratorINS5_IJN6thrust23THRUST_200600_302600_NS6detail15normal_iteratorINSC_10device_ptrIKjEEEESI_EEEEESK_NSA_INS5_IJNSE_INSF_IjEEEESM_EEEEEPS7_SP_SP_NSC_11hip_rocprim7__merge17predicate_wrapperIjjNSC_4lessIjEEEEEE10hipError_tPvRmT0_T1_T2_T3_T4_T5_mmT6_P12ihipStream_tbEUlT_E_NS1_11comp_targetILNS1_3genE8ELNS1_11target_archE1030ELNS1_3gpuE2ELNS1_3repE0EEENS1_30default_config_static_selectorELNS0_4arch9wavefront6targetE0EEEvS10_.uses_flat_scratch, 0
	.set _ZN7rocprim17ROCPRIM_400000_NS6detail17trampoline_kernelINS0_14default_configENS1_21merge_config_selectorINS0_5tupleIJjjEEENS0_10empty_typeEEEZNS1_10merge_implIS3_NS0_12zip_iteratorINS5_IJN6thrust23THRUST_200600_302600_NS6detail15normal_iteratorINSC_10device_ptrIKjEEEESI_EEEEESK_NSA_INS5_IJNSE_INSF_IjEEEESM_EEEEEPS7_SP_SP_NSC_11hip_rocprim7__merge17predicate_wrapperIjjNSC_4lessIjEEEEEE10hipError_tPvRmT0_T1_T2_T3_T4_T5_mmT6_P12ihipStream_tbEUlT_E_NS1_11comp_targetILNS1_3genE8ELNS1_11target_archE1030ELNS1_3gpuE2ELNS1_3repE0EEENS1_30default_config_static_selectorELNS0_4arch9wavefront6targetE0EEEvS10_.has_dyn_sized_stack, 0
	.set _ZN7rocprim17ROCPRIM_400000_NS6detail17trampoline_kernelINS0_14default_configENS1_21merge_config_selectorINS0_5tupleIJjjEEENS0_10empty_typeEEEZNS1_10merge_implIS3_NS0_12zip_iteratorINS5_IJN6thrust23THRUST_200600_302600_NS6detail15normal_iteratorINSC_10device_ptrIKjEEEESI_EEEEESK_NSA_INS5_IJNSE_INSF_IjEEEESM_EEEEEPS7_SP_SP_NSC_11hip_rocprim7__merge17predicate_wrapperIjjNSC_4lessIjEEEEEE10hipError_tPvRmT0_T1_T2_T3_T4_T5_mmT6_P12ihipStream_tbEUlT_E_NS1_11comp_targetILNS1_3genE8ELNS1_11target_archE1030ELNS1_3gpuE2ELNS1_3repE0EEENS1_30default_config_static_selectorELNS0_4arch9wavefront6targetE0EEEvS10_.has_recursion, 0
	.set _ZN7rocprim17ROCPRIM_400000_NS6detail17trampoline_kernelINS0_14default_configENS1_21merge_config_selectorINS0_5tupleIJjjEEENS0_10empty_typeEEEZNS1_10merge_implIS3_NS0_12zip_iteratorINS5_IJN6thrust23THRUST_200600_302600_NS6detail15normal_iteratorINSC_10device_ptrIKjEEEESI_EEEEESK_NSA_INS5_IJNSE_INSF_IjEEEESM_EEEEEPS7_SP_SP_NSC_11hip_rocprim7__merge17predicate_wrapperIjjNSC_4lessIjEEEEEE10hipError_tPvRmT0_T1_T2_T3_T4_T5_mmT6_P12ihipStream_tbEUlT_E_NS1_11comp_targetILNS1_3genE8ELNS1_11target_archE1030ELNS1_3gpuE2ELNS1_3repE0EEENS1_30default_config_static_selectorELNS0_4arch9wavefront6targetE0EEEvS10_.has_indirect_call, 0
	.section	.AMDGPU.csdata,"",@progbits
; Kernel info:
; codeLenInByte = 0
; TotalNumSgprs: 0
; NumVgprs: 0
; ScratchSize: 0
; MemoryBound: 0
; FloatMode: 240
; IeeeMode: 1
; LDSByteSize: 0 bytes/workgroup (compile time only)
; SGPRBlocks: 0
; VGPRBlocks: 0
; NumSGPRsForWavesPerEU: 1
; NumVGPRsForWavesPerEU: 1
; NamedBarCnt: 0
; Occupancy: 16
; WaveLimiterHint : 0
; COMPUTE_PGM_RSRC2:SCRATCH_EN: 0
; COMPUTE_PGM_RSRC2:USER_SGPR: 2
; COMPUTE_PGM_RSRC2:TRAP_HANDLER: 0
; COMPUTE_PGM_RSRC2:TGID_X_EN: 1
; COMPUTE_PGM_RSRC2:TGID_Y_EN: 0
; COMPUTE_PGM_RSRC2:TGID_Z_EN: 0
; COMPUTE_PGM_RSRC2:TIDIG_COMP_CNT: 0
	.section	.text._ZN7rocprim17ROCPRIM_400000_NS6detail17trampoline_kernelINS0_14default_configENS1_21merge_config_selectorINS0_5tupleIJjjEEENS0_10empty_typeEEEZNS1_10merge_implIS3_NS0_12zip_iteratorINS5_IJN6thrust23THRUST_200600_302600_NS6detail15normal_iteratorINSC_10device_ptrIKjEEEESI_EEEEESK_NSA_INS5_IJNSE_INSF_IjEEEESM_EEEEEPS7_SP_SP_NSC_11hip_rocprim7__merge17predicate_wrapperIjjNSC_4lessIjEEEEEE10hipError_tPvRmT0_T1_T2_T3_T4_T5_mmT6_P12ihipStream_tbEUlT_E0_NS1_11comp_targetILNS1_3genE0ELNS1_11target_archE4294967295ELNS1_3gpuE0ELNS1_3repE0EEENS1_30default_config_static_selectorELNS0_4arch9wavefront6targetE0EEEvS10_,"axG",@progbits,_ZN7rocprim17ROCPRIM_400000_NS6detail17trampoline_kernelINS0_14default_configENS1_21merge_config_selectorINS0_5tupleIJjjEEENS0_10empty_typeEEEZNS1_10merge_implIS3_NS0_12zip_iteratorINS5_IJN6thrust23THRUST_200600_302600_NS6detail15normal_iteratorINSC_10device_ptrIKjEEEESI_EEEEESK_NSA_INS5_IJNSE_INSF_IjEEEESM_EEEEEPS7_SP_SP_NSC_11hip_rocprim7__merge17predicate_wrapperIjjNSC_4lessIjEEEEEE10hipError_tPvRmT0_T1_T2_T3_T4_T5_mmT6_P12ihipStream_tbEUlT_E0_NS1_11comp_targetILNS1_3genE0ELNS1_11target_archE4294967295ELNS1_3gpuE0ELNS1_3repE0EEENS1_30default_config_static_selectorELNS0_4arch9wavefront6targetE0EEEvS10_,comdat
	.protected	_ZN7rocprim17ROCPRIM_400000_NS6detail17trampoline_kernelINS0_14default_configENS1_21merge_config_selectorINS0_5tupleIJjjEEENS0_10empty_typeEEEZNS1_10merge_implIS3_NS0_12zip_iteratorINS5_IJN6thrust23THRUST_200600_302600_NS6detail15normal_iteratorINSC_10device_ptrIKjEEEESI_EEEEESK_NSA_INS5_IJNSE_INSF_IjEEEESM_EEEEEPS7_SP_SP_NSC_11hip_rocprim7__merge17predicate_wrapperIjjNSC_4lessIjEEEEEE10hipError_tPvRmT0_T1_T2_T3_T4_T5_mmT6_P12ihipStream_tbEUlT_E0_NS1_11comp_targetILNS1_3genE0ELNS1_11target_archE4294967295ELNS1_3gpuE0ELNS1_3repE0EEENS1_30default_config_static_selectorELNS0_4arch9wavefront6targetE0EEEvS10_ ; -- Begin function _ZN7rocprim17ROCPRIM_400000_NS6detail17trampoline_kernelINS0_14default_configENS1_21merge_config_selectorINS0_5tupleIJjjEEENS0_10empty_typeEEEZNS1_10merge_implIS3_NS0_12zip_iteratorINS5_IJN6thrust23THRUST_200600_302600_NS6detail15normal_iteratorINSC_10device_ptrIKjEEEESI_EEEEESK_NSA_INS5_IJNSE_INSF_IjEEEESM_EEEEEPS7_SP_SP_NSC_11hip_rocprim7__merge17predicate_wrapperIjjNSC_4lessIjEEEEEE10hipError_tPvRmT0_T1_T2_T3_T4_T5_mmT6_P12ihipStream_tbEUlT_E0_NS1_11comp_targetILNS1_3genE0ELNS1_11target_archE4294967295ELNS1_3gpuE0ELNS1_3repE0EEENS1_30default_config_static_selectorELNS0_4arch9wavefront6targetE0EEEvS10_
	.globl	_ZN7rocprim17ROCPRIM_400000_NS6detail17trampoline_kernelINS0_14default_configENS1_21merge_config_selectorINS0_5tupleIJjjEEENS0_10empty_typeEEEZNS1_10merge_implIS3_NS0_12zip_iteratorINS5_IJN6thrust23THRUST_200600_302600_NS6detail15normal_iteratorINSC_10device_ptrIKjEEEESI_EEEEESK_NSA_INS5_IJNSE_INSF_IjEEEESM_EEEEEPS7_SP_SP_NSC_11hip_rocprim7__merge17predicate_wrapperIjjNSC_4lessIjEEEEEE10hipError_tPvRmT0_T1_T2_T3_T4_T5_mmT6_P12ihipStream_tbEUlT_E0_NS1_11comp_targetILNS1_3genE0ELNS1_11target_archE4294967295ELNS1_3gpuE0ELNS1_3repE0EEENS1_30default_config_static_selectorELNS0_4arch9wavefront6targetE0EEEvS10_
	.p2align	8
	.type	_ZN7rocprim17ROCPRIM_400000_NS6detail17trampoline_kernelINS0_14default_configENS1_21merge_config_selectorINS0_5tupleIJjjEEENS0_10empty_typeEEEZNS1_10merge_implIS3_NS0_12zip_iteratorINS5_IJN6thrust23THRUST_200600_302600_NS6detail15normal_iteratorINSC_10device_ptrIKjEEEESI_EEEEESK_NSA_INS5_IJNSE_INSF_IjEEEESM_EEEEEPS7_SP_SP_NSC_11hip_rocprim7__merge17predicate_wrapperIjjNSC_4lessIjEEEEEE10hipError_tPvRmT0_T1_T2_T3_T4_T5_mmT6_P12ihipStream_tbEUlT_E0_NS1_11comp_targetILNS1_3genE0ELNS1_11target_archE4294967295ELNS1_3gpuE0ELNS1_3repE0EEENS1_30default_config_static_selectorELNS0_4arch9wavefront6targetE0EEEvS10_,@function
_ZN7rocprim17ROCPRIM_400000_NS6detail17trampoline_kernelINS0_14default_configENS1_21merge_config_selectorINS0_5tupleIJjjEEENS0_10empty_typeEEEZNS1_10merge_implIS3_NS0_12zip_iteratorINS5_IJN6thrust23THRUST_200600_302600_NS6detail15normal_iteratorINSC_10device_ptrIKjEEEESI_EEEEESK_NSA_INS5_IJNSE_INSF_IjEEEESM_EEEEEPS7_SP_SP_NSC_11hip_rocprim7__merge17predicate_wrapperIjjNSC_4lessIjEEEEEE10hipError_tPvRmT0_T1_T2_T3_T4_T5_mmT6_P12ihipStream_tbEUlT_E0_NS1_11comp_targetILNS1_3genE0ELNS1_11target_archE4294967295ELNS1_3gpuE0ELNS1_3repE0EEENS1_30default_config_static_selectorELNS0_4arch9wavefront6targetE0EEEvS10_: ; @_ZN7rocprim17ROCPRIM_400000_NS6detail17trampoline_kernelINS0_14default_configENS1_21merge_config_selectorINS0_5tupleIJjjEEENS0_10empty_typeEEEZNS1_10merge_implIS3_NS0_12zip_iteratorINS5_IJN6thrust23THRUST_200600_302600_NS6detail15normal_iteratorINSC_10device_ptrIKjEEEESI_EEEEESK_NSA_INS5_IJNSE_INSF_IjEEEESM_EEEEEPS7_SP_SP_NSC_11hip_rocprim7__merge17predicate_wrapperIjjNSC_4lessIjEEEEEE10hipError_tPvRmT0_T1_T2_T3_T4_T5_mmT6_P12ihipStream_tbEUlT_E0_NS1_11comp_targetILNS1_3genE0ELNS1_11target_archE4294967295ELNS1_3gpuE0ELNS1_3repE0EEENS1_30default_config_static_selectorELNS0_4arch9wavefront6targetE0EEEvS10_
; %bb.0:
	s_clause 0x1
	s_load_b128 s[12:15], s[0:1], 0x58
	s_load_b256 s[4:11], s[0:1], 0x8
	s_bfe_u32 s2, ttmp6, 0x4000c
	s_and_b32 s3, ttmp6, 15
	s_add_co_i32 s2, s2, 1
	s_wait_kmcnt 0x0
	s_getreg_b32 s13, hwreg(HW_REG_IB_STS2, 6, 4)
	s_mul_i32 s2, ttmp9, s2
	s_mov_b32 s19, 0
	s_add_co_i32 s3, s3, s2
	s_cmp_eq_u32 s13, 0
	v_mov_b32_e32 v1, 0
	s_cselect_b32 s2, ttmp9, s3
	s_add_co_i32 s24, s14, s12
	s_add_co_i32 s12, s2, 1
	;; [unrolled: 1-line block ×3, first 2 shown]
	s_delay_alu instid0(SALU_CYCLE_1) | instskip(NEXT) | instid1(SALU_CYCLE_1)
	s_lshr_b32 s3, s3, 8
	s_mul_hi_u32 s3, s3, 0x24924925
	s_delay_alu instid0(SALU_CYCLE_1)
	s_min_u32 s16, s2, s3
	s_min_u32 s3, s12, s3
	s_clause 0x1
	s_load_b32 s18, s[4:5], s16 offset:0x0 scale_offset
	s_load_b32 s17, s[4:5], s3 offset:0x0 scale_offset
	s_load_b128 s[12:15], s[0:1], 0x28
	s_wait_xcnt 0x0
	s_mul_i32 s16, s2, 0x700
	s_mov_b32 s3, s19
	s_add_co_i32 s2, s16, 0x700
	s_delay_alu instid0(SALU_CYCLE_1)
	s_min_u32 s25, s24, s2
	s_wait_kmcnt 0x0
	s_sub_co_i32 s2, s16, s18
	s_lshl_b64 s[22:23], s[18:19], 2
	s_lshl_b64 s[20:21], s[2:3], 2
	s_add_co_i32 s2, s2, s17
	s_sub_co_i32 s18, s17, s18
	s_sub_co_i32 s2, s25, s2
	s_add_nc_u64 s[4:5], s[10:11], s[20:21]
	s_add_nc_u64 s[10:11], s[12:13], s[20:21]
	s_add_nc_u64 s[20:21], s[2:3], s[18:19]
	s_mov_b32 s3, exec_lo
	v_cmpx_le_u32_e64 s18, v0
	s_xor_b32 s3, exec_lo, s3
	s_cbranch_execz .LBB142_4
; %bb.1:
	s_mov_b32 s12, exec_lo
	v_cmpx_gt_u64_e64 s[20:21], v[0:1]
	s_cbranch_execz .LBB142_3
; %bb.2:
	v_subrev_nc_u32_e32 v4, s18, v0
	s_clause 0x1
	global_load_b32 v2, v4, s[4:5] scale_offset
	global_load_b32 v3, v4, s[10:11] scale_offset
	s_wait_xcnt 0x0
	v_lshlrev_b32_e32 v4, 3, v0
	s_wait_loadcnt 0x0
	ds_store_b64 v4, v[2:3]
.LBB142_3:
	s_or_b32 exec_lo, exec_lo, s12
.LBB142_4:
	s_or_saveexec_b32 s3, s3
	v_lshlrev_b32_e32 v2, 3, v0
	s_add_nc_u64 s[6:7], s[6:7], s[22:23]
	s_add_nc_u64 s[12:13], s[8:9], s[22:23]
	s_xor_b32 exec_lo, exec_lo, s3
	s_cbranch_execz .LBB142_6
; %bb.5:
	s_clause 0x1
	global_load_b32 v4, v0, s[6:7] scale_offset
	global_load_b32 v5, v0, s[12:13] scale_offset
	s_wait_loadcnt 0x0
	ds_store_b64 v2, v[4:5]
.LBB142_6:
	s_or_b32 exec_lo, exec_lo, s3
	v_or_b32_e32 v14, 0x100, v0
	v_mov_b32_e32 v15, 0
	s_mov_b32 s3, exec_lo
	s_delay_alu instid0(VALU_DEP_2)
	v_cmpx_le_u32_e64 s18, v14
	s_xor_b32 s3, exec_lo, s3
	s_cbranch_execz .LBB142_10
; %bb.7:
	s_mov_b32 s8, exec_lo
	v_cmpx_gt_u64_e64 s[20:21], v[14:15]
	s_cbranch_execz .LBB142_9
; %bb.8:
	v_sub_nc_u64_e64 v[4:5], v[0:1], s[18:19]
	s_delay_alu instid0(VALU_DEP_1) | instskip(NEXT) | instid1(VALU_DEP_1)
	v_lshlrev_b64_e32 v[4:5], 2, v[4:5]
	v_add_nc_u64_e32 v[6:7], s[4:5], v[4:5]
	v_add_nc_u64_e32 v[4:5], s[10:11], v[4:5]
	global_load_b32 v8, v[6:7], off offset:1024
	global_load_b32 v9, v[4:5], off offset:1024
	s_wait_loadcnt 0x0
	ds_store_b64 v2, v[8:9] offset:2048
.LBB142_9:
	s_or_b32 exec_lo, exec_lo, s8
.LBB142_10:
	s_and_not1_saveexec_b32 s3, s3
	s_cbranch_execz .LBB142_12
; %bb.11:
	s_clause 0x1
	global_load_b32 v4, v0, s[6:7] offset:1024 scale_offset
	global_load_b32 v5, v0, s[12:13] offset:1024 scale_offset
	s_wait_loadcnt 0x0
	ds_store_b64 v2, v[4:5] offset:2048
.LBB142_12:
	s_or_b32 exec_lo, exec_lo, s3
	v_or_b32_e32 v16, 0x200, v0
	v_mov_b32_e32 v17, 0
	s_mov_b32 s3, exec_lo
	s_delay_alu instid0(VALU_DEP_2)
	v_cmpx_le_u32_e64 s18, v16
	s_xor_b32 s3, exec_lo, s3
	s_cbranch_execz .LBB142_16
; %bb.13:
	s_mov_b32 s8, exec_lo
	v_cmpx_gt_u64_e64 s[20:21], v[16:17]
	s_cbranch_execz .LBB142_15
; %bb.14:
	v_sub_nc_u64_e64 v[4:5], v[0:1], s[18:19]
	s_delay_alu instid0(VALU_DEP_1) | instskip(NEXT) | instid1(VALU_DEP_1)
	v_lshlrev_b64_e32 v[4:5], 2, v[4:5]
	v_add_nc_u64_e32 v[6:7], s[4:5], v[4:5]
	v_add_nc_u64_e32 v[4:5], s[10:11], v[4:5]
	global_load_b32 v8, v[6:7], off offset:2048
	global_load_b32 v9, v[4:5], off offset:2048
	s_wait_loadcnt 0x0
	ds_store_b64 v2, v[8:9] offset:4096
.LBB142_15:
	s_or_b32 exec_lo, exec_lo, s8
.LBB142_16:
	s_and_not1_saveexec_b32 s3, s3
	s_cbranch_execz .LBB142_18
; %bb.17:
	s_clause 0x1
	global_load_b32 v4, v0, s[6:7] offset:2048 scale_offset
	global_load_b32 v5, v0, s[12:13] offset:2048 scale_offset
	s_wait_loadcnt 0x0
	ds_store_b64 v2, v[4:5] offset:4096
.LBB142_18:
	;; [unrolled: 34-line block ×5, first 2 shown]
	s_or_b32 exec_lo, exec_lo, s3
	v_or_b32_e32 v24, 0x600, v0
	v_mov_b32_e32 v25, 0
	s_mov_b32 s3, exec_lo
	s_delay_alu instid0(VALU_DEP_2)
	v_cmpx_le_u32_e64 s18, v24
	s_xor_b32 s3, exec_lo, s3
	s_cbranch_execz .LBB142_40
; %bb.37:
	s_mov_b32 s8, exec_lo
	v_cmpx_gt_u64_e64 s[20:21], v[24:25]
	s_cbranch_execz .LBB142_39
; %bb.38:
	v_sub_nc_u64_e64 v[4:5], v[0:1], s[18:19]
	s_delay_alu instid0(VALU_DEP_1) | instskip(NEXT) | instid1(VALU_DEP_1)
	v_lshlrev_b64_e32 v[4:5], 2, v[4:5]
	v_add_nc_u64_e32 v[6:7], s[4:5], v[4:5]
	v_add_nc_u64_e32 v[4:5], s[10:11], v[4:5]
	global_load_b32 v8, v[6:7], off offset:6144
	global_load_b32 v9, v[4:5], off offset:6144
	s_wait_loadcnt 0x0
	ds_store_b64 v2, v[8:9] offset:12288
.LBB142_39:
	s_or_b32 exec_lo, exec_lo, s8
                                        ; implicit-def: $vgpr2
.LBB142_40:
	s_or_saveexec_b32 s3, s3
	s_load_b64 s[8:9], s[0:1], 0x38
	s_xor_b32 exec_lo, exec_lo, s3
	s_cbranch_execz .LBB142_42
; %bb.41:
	s_clause 0x1
	global_load_b32 v4, v0, s[6:7] offset:6144 scale_offset
	global_load_b32 v5, v0, s[12:13] offset:6144 scale_offset
	s_wait_loadcnt 0x0
	ds_store_b64 v2, v[4:5] offset:12288
.LBB142_42:
	s_or_b32 exec_lo, exec_lo, s3
	v_mul_u32_u24_e32 v2, 7, v0
	s_wait_xcnt 0x0
	s_mov_b32 s0, exec_lo
	s_wait_dscnt 0x0
	s_barrier_signal -1
	s_barrier_wait -1
	v_sub_nc_u32_e64 v15, v2, s2 clamp
	v_min_u32_e32 v3, s18, v2
	v_lshlrev_b32_e32 v1, 3, v2
	s_delay_alu instid0(VALU_DEP_2)
	v_cmpx_lt_u32_e64 v15, v3
	s_cbranch_execz .LBB142_46
; %bb.43:
	s_delay_alu instid0(VALU_DEP_2)
	v_lshl_add_u32 v4, s18, 3, v1
	s_mov_b32 s1, 0
.LBB142_44:                             ; =>This Inner Loop Header: Depth=1
	v_add_nc_u32_e32 v5, v3, v15
	s_delay_alu instid0(VALU_DEP_1) | instskip(NEXT) | instid1(VALU_DEP_1)
	v_lshrrev_b32_e32 v5, 1, v5
	v_not_b32_e32 v6, v5
	v_dual_lshlrev_b32 v7, 3, v5 :: v_dual_add_nc_u32 v8, 1, v5
	s_delay_alu instid0(VALU_DEP_2)
	v_lshl_add_u32 v6, v6, 3, v4
	ds_load_b32 v7, v7
	ds_load_b32 v6, v6
	s_wait_dscnt 0x0
	v_cmp_lt_u32_e32 vcc_lo, v6, v7
	v_dual_cndmask_b32 v3, v3, v5, vcc_lo :: v_dual_cndmask_b32 v15, v8, v15, vcc_lo
	s_delay_alu instid0(VALU_DEP_1) | instskip(SKIP_1) | instid1(SALU_CYCLE_1)
	v_cmp_ge_u32_e32 vcc_lo, v15, v3
	s_or_b32 s1, vcc_lo, s1
	s_and_not1_b32 exec_lo, exec_lo, s1
	s_cbranch_execnz .LBB142_44
; %bb.45:
	s_or_b32 exec_lo, exec_lo, s1
.LBB142_46:
	s_delay_alu instid0(SALU_CYCLE_1)
	s_or_b32 exec_lo, exec_lo, s0
	v_add_nc_u32_e32 v6, s18, v2
	s_add_co_i32 s10, s2, s18
	v_cmp_ge_u32_e32 vcc_lo, s18, v15
	v_mov_b64_e32 v[2:3], 0
	v_mov_b64_e32 v[4:5], 0
	v_sub_nc_u32_e32 v17, v6, v15
	v_mov_b64_e32 v[6:7], 0
	v_mov_b64_e32 v[8:9], 0
	;; [unrolled: 1-line block ×4, first 2 shown]
	v_cmp_ge_u32_e64 s0, s10, v17
	v_mov_b64_e32 v[26:27], 0
	s_or_b32 s0, vcc_lo, s0
	s_delay_alu instid0(SALU_CYCLE_1)
	s_and_saveexec_b32 s7, s0
	s_cbranch_execz .LBB142_52
; %bb.47:
	v_cmp_gt_u32_e32 vcc_lo, s18, v15
	v_dual_mov_b32 v2, 0 :: v_dual_mov_b32 v4, 0
	v_mov_b32_e32 v5, 0
	s_and_saveexec_b32 s0, vcc_lo
; %bb.48:
	v_lshlrev_b32_e32 v3, 3, v15
	ds_load_b64 v[4:5], v3
; %bb.49:
	s_or_b32 exec_lo, exec_lo, s0
	v_cmp_le_u32_e64 s0, s10, v17
	v_mov_b32_e32 v3, 0
	s_mov_b32 s2, exec_lo
	v_cmpx_gt_u32_e64 s10, v17
; %bb.50:
	v_lshlrev_b32_e32 v2, 3, v17
	ds_load_b64 v[2:3], v2
; %bb.51:
	s_or_b32 exec_lo, exec_lo, s2
	s_wait_dscnt 0x0
	v_cmp_ge_u32_e64 s1, v2, v4
	s_and_b32 s1, vcc_lo, s1
	s_delay_alu instid0(SALU_CYCLE_1) | instskip(SKIP_1) | instid1(VALU_DEP_1)
	s_or_b32 vcc_lo, s0, s1
	v_dual_mov_b32 v19, s18 :: v_dual_cndmask_b32 v6, v17, v15
	v_dual_cndmask_b32 v7, s10, v19 :: v_dual_add_nc_u32 v8, 1, v6
	s_delay_alu instid0(VALU_DEP_1) | instskip(SKIP_1) | instid1(VALU_DEP_2)
	v_add_min_u32_e64 v6, v7, -1, v8
	v_dual_cndmask_b32 v10, v15, v8 :: v_dual_cndmask_b32 v11, v8, v17
	v_lshlrev_b32_e32 v6, 3, v6
	s_delay_alu instid0(VALU_DEP_2) | instskip(NEXT) | instid1(VALU_DEP_3)
	v_cmp_gt_u32_e64 s0, s18, v10
	v_cmp_le_u32_e64 s2, s10, v11
	ds_load_b64 v[6:7], v6
	s_wait_dscnt 0x0
	v_cndmask_b32_e32 v15, v6, v2, vcc_lo
	v_dual_cndmask_b32 v6, v4, v6 :: v_dual_cndmask_b32 v33, v7, v3
	v_dual_cndmask_b32 v2, v2, v4 :: v_dual_cndmask_b32 v7, v5, v7
	v_cndmask_b32_e32 v3, v3, v5, vcc_lo
	s_delay_alu instid0(VALU_DEP_3) | instskip(SKIP_1) | instid1(SALU_CYCLE_1)
	v_cmp_ge_u32_e64 s1, v15, v6
	s_and_b32 s0, s0, s1
	s_or_b32 s0, s2, s0
	s_delay_alu instid0(SALU_CYCLE_1) | instskip(NEXT) | instid1(VALU_DEP_1)
	v_cndmask_b32_e64 v8, v11, v10, s0
	v_dual_cndmask_b32 v9, s10, v19, s0 :: v_dual_add_nc_u32 v12, 1, v8
	v_dual_cndmask_b32 v5, v33, v7, s0 :: v_dual_cndmask_b32 v4, v15, v6, s0
	s_delay_alu instid0(VALU_DEP_2) | instskip(SKIP_1) | instid1(VALU_DEP_2)
	v_add_min_u32_e64 v8, v9, -1, v12
	v_dual_cndmask_b32 v13, v10, v12, s0 :: v_dual_cndmask_b32 v12, v12, v11, s0
	v_lshlrev_b32_e32 v8, 3, v8
	s_delay_alu instid0(VALU_DEP_2) | instskip(NEXT) | instid1(VALU_DEP_3)
	v_cmp_gt_u32_e64 s1, s18, v13
	v_cmp_le_u32_e64 s3, s10, v12
	ds_load_b64 v[8:9], v8
	s_wait_dscnt 0x0
	v_dual_cndmask_b32 v17, v8, v15, s0 :: v_dual_cndmask_b32 v8, v6, v8, s0
	s_delay_alu instid0(VALU_DEP_1) | instskip(SKIP_1) | instid1(SALU_CYCLE_1)
	v_cmp_ge_u32_e64 s2, v17, v8
	s_and_b32 s1, s1, s2
	s_or_b32 s1, s3, s1
	s_delay_alu instid0(SALU_CYCLE_1) | instskip(NEXT) | instid1(VALU_DEP_1)
	v_cndmask_b32_e64 v10, v12, v13, s1
	v_dual_cndmask_b32 v11, s10, v19, s1 :: v_dual_add_nc_u32 v21, 1, v10
	s_delay_alu instid0(VALU_DEP_1) | instskip(NEXT) | instid1(VALU_DEP_1)
	v_add_min_u32_e64 v10, v11, -1, v21
	v_lshlrev_b32_e32 v10, 3, v10
	ds_load_b64 v[10:11], v10
	v_cndmask_b32_e64 v23, v13, v21, s1
	v_cndmask_b32_e64 v21, v21, v12, s1
	s_delay_alu instid0(VALU_DEP_1) | instskip(SKIP_3) | instid1(VALU_DEP_2)
	v_cmp_le_u32_e64 s4, s10, v21
	s_wait_dscnt 0x0
	v_dual_cndmask_b32 v25, v10, v17, s1 :: v_dual_cndmask_b32 v10, v8, v10, s1
	v_cmp_gt_u32_e64 s2, s18, v23
	v_cmp_ge_u32_e64 s3, v25, v10
	s_and_b32 s2, s2, s3
	s_delay_alu instid0(SALU_CYCLE_1) | instskip(NEXT) | instid1(SALU_CYCLE_1)
	s_or_b32 s2, s4, s2
	v_cndmask_b32_e64 v12, v21, v23, s2
	s_delay_alu instid0(VALU_DEP_1) | instskip(NEXT) | instid1(VALU_DEP_1)
	v_dual_cndmask_b32 v13, s10, v19, s2 :: v_dual_add_nc_u32 v26, 1, v12
	v_add_min_u32_e64 v12, v13, -1, v26
	v_dual_cndmask_b32 v21, v26, v21, s2 :: v_dual_cndmask_b32 v23, v23, v26, s2
	s_delay_alu instid0(VALU_DEP_2) | instskip(NEXT) | instid1(VALU_DEP_2)
	v_lshlrev_b32_e32 v12, 3, v12
	v_cmp_le_u32_e64 s5, s10, v21
	s_delay_alu instid0(VALU_DEP_3) | instskip(SKIP_3) | instid1(VALU_DEP_1)
	v_cmp_gt_u32_e64 s3, s18, v23
	ds_load_b64 v[12:13], v12
	s_wait_dscnt 0x0
	v_dual_cndmask_b32 v30, v12, v25, s2 :: v_dual_cndmask_b32 v12, v10, v12, s2
	v_cmp_ge_u32_e64 s4, v30, v12
	s_and_b32 s3, s3, s4
	s_delay_alu instid0(SALU_CYCLE_1) | instskip(NEXT) | instid1(SALU_CYCLE_1)
	s_or_b32 s3, s5, s3
	v_cndmask_b32_e64 v26, v21, v23, s3
	s_delay_alu instid0(VALU_DEP_1) | instskip(NEXT) | instid1(VALU_DEP_1)
	v_dual_cndmask_b32 v27, s10, v19, s3 :: v_dual_add_nc_u32 v28, 1, v26
	v_add_min_u32_e64 v26, v27, -1, v28
	v_dual_cndmask_b32 v23, v23, v28, s3 :: v_dual_cndmask_b32 v21, v28, v21, s3
	s_delay_alu instid0(VALU_DEP_2) | instskip(NEXT) | instid1(VALU_DEP_2)
	v_lshlrev_b32_e32 v26, 3, v26
	v_cmp_gt_u32_e64 s4, s18, v23
	s_delay_alu instid0(VALU_DEP_3) | instskip(SKIP_4) | instid1(VALU_DEP_1)
	v_cmp_le_u32_e64 s6, s10, v21
	ds_load_b64 v[26:27], v26
	s_wait_dscnt 0x0
	v_cndmask_b32_e64 v31, v26, v30, s3
	v_cndmask_b32_e64 v26, v12, v26, s3
	v_cmp_ge_u32_e64 s5, v31, v26
	s_and_b32 s4, s4, s5
	s_delay_alu instid0(SALU_CYCLE_1) | instskip(NEXT) | instid1(SALU_CYCLE_1)
	s_or_b32 s4, s6, s4
	v_cndmask_b32_e64 v28, v21, v23, s4
	s_delay_alu instid0(VALU_DEP_1) | instskip(NEXT) | instid1(VALU_DEP_1)
	v_dual_cndmask_b32 v19, s10, v19, s4 :: v_dual_add_nc_u32 v32, 1, v28
	v_add_min_u32_e64 v19, v19, -1, v32
	s_delay_alu instid0(VALU_DEP_1) | instskip(SKIP_3) | instid1(VALU_DEP_2)
	v_dual_cndmask_b32 v21, v32, v21, s4 :: v_dual_lshlrev_b32 v19, 3, v19
	ds_load_b64 v[28:29], v19
	v_cndmask_b32_e64 v19, v9, v33, s0
	v_cndmask_b32_e64 v9, v7, v9, s0
	;; [unrolled: 1-line block ×3, first 2 shown]
	s_delay_alu instid0(VALU_DEP_2) | instskip(NEXT) | instid1(VALU_DEP_1)
	v_dual_cndmask_b32 v11, v9, v11, s1 :: v_dual_cndmask_b32 v7, v19, v9, s1
	v_dual_cndmask_b32 v15, v13, v34, s2 :: v_dual_cndmask_b32 v13, v11, v13, s2
	;; [unrolled: 1-line block ×4, first 2 shown]
	v_cndmask_b32_e64 v12, v23, v32, s4
	s_delay_alu instid0(VALU_DEP_4)
	v_cndmask_b32_e64 v11, v15, v13, s3
	s_wait_dscnt 0x0
	v_dual_cndmask_b32 v15, v27, v15, s3 :: v_dual_cndmask_b32 v19, v26, v28, s4
	v_cndmask_b32_e64 v17, v28, v31, s4
	v_cndmask_b32_e64 v13, v13, v27, s3
	v_cmp_gt_u32_e32 vcc_lo, s18, v12
	v_cmp_le_u32_e64 s1, s10, v21
	v_cndmask_b32_e64 v12, v31, v26, s4
	v_cmp_ge_u32_e64 s0, v17, v19
	v_cndmask_b32_e64 v23, v29, v15, s4
	v_cndmask_b32_e64 v21, v13, v29, s4
	;; [unrolled: 1-line block ×3, first 2 shown]
	s_and_b32 s0, vcc_lo, s0
	s_delay_alu instid0(SALU_CYCLE_1) | instskip(NEXT) | instid1(VALU_DEP_2)
	s_or_b32 vcc_lo, s1, s0
	v_dual_cndmask_b32 v27, v23, v21 :: v_dual_cndmask_b32 v26, v17, v19
.LBB142_52:
	s_or_b32 exec_lo, exec_lo, s7
	v_mul_i32_i24_e32 v15, 0xffffffd0, v0
	s_mov_b32 s17, 0
	s_sub_co_i32 s4, s24, s16
	s_lshl_b64 s[2:3], s[16:17], 2
	s_cmp_gt_u32 s4, 0x6ff
	v_add_nc_u32_e32 v15, v1, v15
	s_add_nc_u64 s[0:1], s[14:15], s[2:3]
	s_wait_kmcnt 0x0
	s_add_nc_u64 s[2:3], s[8:9], s[2:3]
	s_barrier_signal -1
	s_barrier_wait -1
	ds_store_2addr_b64 v1, v[2:3], v[4:5] offset1:1
	ds_store_2addr_b64 v1, v[6:7], v[8:9] offset0:2 offset1:3
	ds_store_2addr_b64 v1, v[10:11], v[12:13] offset0:4 offset1:5
	ds_store_b64 v1, v[26:27] offset:48
	s_wait_dscnt 0x0
	s_cbranch_scc0 .LBB142_54
; %bb.53:
	s_barrier_signal -1
	s_barrier_wait -1
	ds_load_2addr_stride64_b64 v[6:9], v15 offset1:4
	ds_load_2addr_stride64_b64 v[10:13], v15 offset0:8 offset1:12
	ds_load_2addr_stride64_b64 v[26:29], v15 offset0:16 offset1:20
	ds_load_b64 v[4:5], v15 offset:12288
	s_mov_b32 s17, -1
	s_wait_dscnt 0x3
	s_clause 0x3
	global_store_b32 v0, v6, s[0:1] scale_offset
	global_store_b32 v0, v7, s[2:3] scale_offset
	global_store_b32 v0, v8, s[0:1] offset:1024 scale_offset
	global_store_b32 v0, v9, s[2:3] offset:1024 scale_offset
	s_wait_dscnt 0x2
	s_clause 0x3
	global_store_b32 v0, v10, s[0:1] offset:2048 scale_offset
	global_store_b32 v0, v11, s[2:3] offset:2048 scale_offset
	;; [unrolled: 1-line block ×4, first 2 shown]
	s_wait_dscnt 0x1
	s_clause 0x3
	global_store_b32 v0, v26, s[0:1] offset:4096 scale_offset
	global_store_b32 v0, v27, s[2:3] offset:4096 scale_offset
	;; [unrolled: 1-line block ×4, first 2 shown]
	s_cbranch_execz .LBB142_55
	s_branch .LBB142_63
.LBB142_54:
                                        ; implicit-def: $vgpr4_vgpr5
.LBB142_55:
	s_barrier_signal -1
	s_barrier_wait -1
	s_wait_storecnt_dscnt 0x0
	s_wait_xcnt 0x4
	ds_load_2addr_stride64_b64 v[10:13], v15 offset0:4 offset1:8
	ds_load_2addr_stride64_b64 v[6:9], v15 offset0:12 offset1:16
	;; [unrolled: 1-line block ×3, first 2 shown]
	s_wait_xcnt 0x0
	v_dual_mov_b32 v29, 0 :: v_dual_lshlrev_b32 v28, 2, v0
	s_mov_b32 s5, exec_lo
	s_delay_alu instid0(VALU_DEP_1)
	v_add_nc_u64_e32 v[26:27], s[0:1], v[28:29]
	v_add_nc_u64_e32 v[28:29], s[2:3], v[28:29]
	v_cmpx_gt_u32_e64 s4, v0
	s_cbranch_execnz .LBB142_66
; %bb.56:
	s_or_b32 exec_lo, exec_lo, s5
	s_delay_alu instid0(SALU_CYCLE_1)
	s_mov_b32 s5, exec_lo
	v_cmpx_gt_u32_e64 s4, v14
	s_cbranch_execnz .LBB142_67
.LBB142_57:
	s_or_b32 exec_lo, exec_lo, s5
	s_delay_alu instid0(SALU_CYCLE_1)
	s_mov_b32 s5, exec_lo
	v_cmpx_gt_u32_e64 s4, v16
	s_cbranch_execnz .LBB142_68
.LBB142_58:
	s_or_b32 exec_lo, exec_lo, s5
	s_delay_alu instid0(SALU_CYCLE_1)
	s_mov_b32 s5, exec_lo
	v_cmpx_gt_u32_e64 s4, v18
	s_cbranch_execnz .LBB142_69
.LBB142_59:
	s_or_b32 exec_lo, exec_lo, s5
	s_delay_alu instid0(SALU_CYCLE_1)
	s_mov_b32 s5, exec_lo
	v_cmpx_gt_u32_e64 s4, v20
	s_cbranch_execnz .LBB142_70
.LBB142_60:
	s_or_b32 exec_lo, exec_lo, s5
	s_delay_alu instid0(SALU_CYCLE_1)
	s_mov_b32 s5, exec_lo
	v_cmpx_gt_u32_e64 s4, v22
	s_cbranch_execz .LBB142_62
.LBB142_61:
	s_wait_dscnt 0x0
	global_store_b32 v[26:27], v2, off offset:5120
	global_store_b32 v[28:29], v3, off offset:5120
.LBB142_62:
	s_wait_xcnt 0x0
	s_or_b32 exec_lo, exec_lo, s5
	v_cmp_gt_u32_e64 s17, s4, v24
.LBB142_63:
	s_wait_xcnt 0x0
	s_delay_alu instid0(VALU_DEP_1)
	s_and_saveexec_b32 s4, s17
	s_cbranch_execnz .LBB142_65
; %bb.64:
	s_endpgm
.LBB142_65:
	s_wait_dscnt 0x0
	s_clause 0x1
	global_store_b32 v0, v4, s[0:1] offset:6144 scale_offset
	global_store_b32 v0, v5, s[2:3] offset:6144 scale_offset
	s_endpgm
.LBB142_66:
	ds_load_b64 v[30:31], v15
	s_wait_dscnt 0x0
	global_store_b32 v[26:27], v30, off
	global_store_b32 v[28:29], v31, off
	s_wait_xcnt 0x0
	s_or_b32 exec_lo, exec_lo, s5
	s_delay_alu instid0(SALU_CYCLE_1)
	s_mov_b32 s5, exec_lo
	v_cmpx_gt_u32_e64 s4, v14
	s_cbranch_execz .LBB142_57
.LBB142_67:
	s_wait_dscnt 0x2
	global_store_b32 v[26:27], v10, off offset:1024
	global_store_b32 v[28:29], v11, off offset:1024
	s_wait_xcnt 0x0
	s_or_b32 exec_lo, exec_lo, s5
	s_delay_alu instid0(SALU_CYCLE_1)
	s_mov_b32 s5, exec_lo
	v_cmpx_gt_u32_e64 s4, v16
	s_cbranch_execz .LBB142_58
.LBB142_68:
	s_wait_dscnt 0x2
	global_store_b32 v[26:27], v12, off offset:2048
	global_store_b32 v[28:29], v13, off offset:2048
	s_wait_xcnt 0x0
	s_or_b32 exec_lo, exec_lo, s5
	s_delay_alu instid0(SALU_CYCLE_1)
	s_mov_b32 s5, exec_lo
	v_cmpx_gt_u32_e64 s4, v18
	s_cbranch_execz .LBB142_59
.LBB142_69:
	s_wait_dscnt 0x1
	global_store_b32 v[26:27], v6, off offset:3072
	global_store_b32 v[28:29], v7, off offset:3072
	s_wait_xcnt 0x0
	s_or_b32 exec_lo, exec_lo, s5
	s_delay_alu instid0(SALU_CYCLE_1)
	s_mov_b32 s5, exec_lo
	v_cmpx_gt_u32_e64 s4, v20
	s_cbranch_execz .LBB142_60
.LBB142_70:
	s_wait_dscnt 0x1
	global_store_b32 v[26:27], v8, off offset:4096
	global_store_b32 v[28:29], v9, off offset:4096
	s_wait_xcnt 0x0
	s_or_b32 exec_lo, exec_lo, s5
	s_delay_alu instid0(SALU_CYCLE_1)
	s_mov_b32 s5, exec_lo
	v_cmpx_gt_u32_e64 s4, v22
	s_cbranch_execnz .LBB142_61
	s_branch .LBB142_62
	.section	.rodata,"a",@progbits
	.p2align	6, 0x0
	.amdhsa_kernel _ZN7rocprim17ROCPRIM_400000_NS6detail17trampoline_kernelINS0_14default_configENS1_21merge_config_selectorINS0_5tupleIJjjEEENS0_10empty_typeEEEZNS1_10merge_implIS3_NS0_12zip_iteratorINS5_IJN6thrust23THRUST_200600_302600_NS6detail15normal_iteratorINSC_10device_ptrIKjEEEESI_EEEEESK_NSA_INS5_IJNSE_INSF_IjEEEESM_EEEEEPS7_SP_SP_NSC_11hip_rocprim7__merge17predicate_wrapperIjjNSC_4lessIjEEEEEE10hipError_tPvRmT0_T1_T2_T3_T4_T5_mmT6_P12ihipStream_tbEUlT_E0_NS1_11comp_targetILNS1_3genE0ELNS1_11target_archE4294967295ELNS1_3gpuE0ELNS1_3repE0EEENS1_30default_config_static_selectorELNS0_4arch9wavefront6targetE0EEEvS10_
		.amdhsa_group_segment_fixed_size 14352
		.amdhsa_private_segment_fixed_size 0
		.amdhsa_kernarg_size 112
		.amdhsa_user_sgpr_count 2
		.amdhsa_user_sgpr_dispatch_ptr 0
		.amdhsa_user_sgpr_queue_ptr 0
		.amdhsa_user_sgpr_kernarg_segment_ptr 1
		.amdhsa_user_sgpr_dispatch_id 0
		.amdhsa_user_sgpr_kernarg_preload_length 0
		.amdhsa_user_sgpr_kernarg_preload_offset 0
		.amdhsa_user_sgpr_private_segment_size 0
		.amdhsa_wavefront_size32 1
		.amdhsa_uses_dynamic_stack 0
		.amdhsa_enable_private_segment 0
		.amdhsa_system_sgpr_workgroup_id_x 1
		.amdhsa_system_sgpr_workgroup_id_y 0
		.amdhsa_system_sgpr_workgroup_id_z 0
		.amdhsa_system_sgpr_workgroup_info 0
		.amdhsa_system_vgpr_workitem_id 0
		.amdhsa_next_free_vgpr 35
		.amdhsa_next_free_sgpr 26
		.amdhsa_named_barrier_count 0
		.amdhsa_reserve_vcc 1
		.amdhsa_float_round_mode_32 0
		.amdhsa_float_round_mode_16_64 0
		.amdhsa_float_denorm_mode_32 3
		.amdhsa_float_denorm_mode_16_64 3
		.amdhsa_fp16_overflow 0
		.amdhsa_memory_ordered 1
		.amdhsa_forward_progress 1
		.amdhsa_inst_pref_size 28
		.amdhsa_round_robin_scheduling 0
		.amdhsa_exception_fp_ieee_invalid_op 0
		.amdhsa_exception_fp_denorm_src 0
		.amdhsa_exception_fp_ieee_div_zero 0
		.amdhsa_exception_fp_ieee_overflow 0
		.amdhsa_exception_fp_ieee_underflow 0
		.amdhsa_exception_fp_ieee_inexact 0
		.amdhsa_exception_int_div_zero 0
	.end_amdhsa_kernel
	.section	.text._ZN7rocprim17ROCPRIM_400000_NS6detail17trampoline_kernelINS0_14default_configENS1_21merge_config_selectorINS0_5tupleIJjjEEENS0_10empty_typeEEEZNS1_10merge_implIS3_NS0_12zip_iteratorINS5_IJN6thrust23THRUST_200600_302600_NS6detail15normal_iteratorINSC_10device_ptrIKjEEEESI_EEEEESK_NSA_INS5_IJNSE_INSF_IjEEEESM_EEEEEPS7_SP_SP_NSC_11hip_rocprim7__merge17predicate_wrapperIjjNSC_4lessIjEEEEEE10hipError_tPvRmT0_T1_T2_T3_T4_T5_mmT6_P12ihipStream_tbEUlT_E0_NS1_11comp_targetILNS1_3genE0ELNS1_11target_archE4294967295ELNS1_3gpuE0ELNS1_3repE0EEENS1_30default_config_static_selectorELNS0_4arch9wavefront6targetE0EEEvS10_,"axG",@progbits,_ZN7rocprim17ROCPRIM_400000_NS6detail17trampoline_kernelINS0_14default_configENS1_21merge_config_selectorINS0_5tupleIJjjEEENS0_10empty_typeEEEZNS1_10merge_implIS3_NS0_12zip_iteratorINS5_IJN6thrust23THRUST_200600_302600_NS6detail15normal_iteratorINSC_10device_ptrIKjEEEESI_EEEEESK_NSA_INS5_IJNSE_INSF_IjEEEESM_EEEEEPS7_SP_SP_NSC_11hip_rocprim7__merge17predicate_wrapperIjjNSC_4lessIjEEEEEE10hipError_tPvRmT0_T1_T2_T3_T4_T5_mmT6_P12ihipStream_tbEUlT_E0_NS1_11comp_targetILNS1_3genE0ELNS1_11target_archE4294967295ELNS1_3gpuE0ELNS1_3repE0EEENS1_30default_config_static_selectorELNS0_4arch9wavefront6targetE0EEEvS10_,comdat
.Lfunc_end142:
	.size	_ZN7rocprim17ROCPRIM_400000_NS6detail17trampoline_kernelINS0_14default_configENS1_21merge_config_selectorINS0_5tupleIJjjEEENS0_10empty_typeEEEZNS1_10merge_implIS3_NS0_12zip_iteratorINS5_IJN6thrust23THRUST_200600_302600_NS6detail15normal_iteratorINSC_10device_ptrIKjEEEESI_EEEEESK_NSA_INS5_IJNSE_INSF_IjEEEESM_EEEEEPS7_SP_SP_NSC_11hip_rocprim7__merge17predicate_wrapperIjjNSC_4lessIjEEEEEE10hipError_tPvRmT0_T1_T2_T3_T4_T5_mmT6_P12ihipStream_tbEUlT_E0_NS1_11comp_targetILNS1_3genE0ELNS1_11target_archE4294967295ELNS1_3gpuE0ELNS1_3repE0EEENS1_30default_config_static_selectorELNS0_4arch9wavefront6targetE0EEEvS10_, .Lfunc_end142-_ZN7rocprim17ROCPRIM_400000_NS6detail17trampoline_kernelINS0_14default_configENS1_21merge_config_selectorINS0_5tupleIJjjEEENS0_10empty_typeEEEZNS1_10merge_implIS3_NS0_12zip_iteratorINS5_IJN6thrust23THRUST_200600_302600_NS6detail15normal_iteratorINSC_10device_ptrIKjEEEESI_EEEEESK_NSA_INS5_IJNSE_INSF_IjEEEESM_EEEEEPS7_SP_SP_NSC_11hip_rocprim7__merge17predicate_wrapperIjjNSC_4lessIjEEEEEE10hipError_tPvRmT0_T1_T2_T3_T4_T5_mmT6_P12ihipStream_tbEUlT_E0_NS1_11comp_targetILNS1_3genE0ELNS1_11target_archE4294967295ELNS1_3gpuE0ELNS1_3repE0EEENS1_30default_config_static_selectorELNS0_4arch9wavefront6targetE0EEEvS10_
                                        ; -- End function
	.set _ZN7rocprim17ROCPRIM_400000_NS6detail17trampoline_kernelINS0_14default_configENS1_21merge_config_selectorINS0_5tupleIJjjEEENS0_10empty_typeEEEZNS1_10merge_implIS3_NS0_12zip_iteratorINS5_IJN6thrust23THRUST_200600_302600_NS6detail15normal_iteratorINSC_10device_ptrIKjEEEESI_EEEEESK_NSA_INS5_IJNSE_INSF_IjEEEESM_EEEEEPS7_SP_SP_NSC_11hip_rocprim7__merge17predicate_wrapperIjjNSC_4lessIjEEEEEE10hipError_tPvRmT0_T1_T2_T3_T4_T5_mmT6_P12ihipStream_tbEUlT_E0_NS1_11comp_targetILNS1_3genE0ELNS1_11target_archE4294967295ELNS1_3gpuE0ELNS1_3repE0EEENS1_30default_config_static_selectorELNS0_4arch9wavefront6targetE0EEEvS10_.num_vgpr, 35
	.set _ZN7rocprim17ROCPRIM_400000_NS6detail17trampoline_kernelINS0_14default_configENS1_21merge_config_selectorINS0_5tupleIJjjEEENS0_10empty_typeEEEZNS1_10merge_implIS3_NS0_12zip_iteratorINS5_IJN6thrust23THRUST_200600_302600_NS6detail15normal_iteratorINSC_10device_ptrIKjEEEESI_EEEEESK_NSA_INS5_IJNSE_INSF_IjEEEESM_EEEEEPS7_SP_SP_NSC_11hip_rocprim7__merge17predicate_wrapperIjjNSC_4lessIjEEEEEE10hipError_tPvRmT0_T1_T2_T3_T4_T5_mmT6_P12ihipStream_tbEUlT_E0_NS1_11comp_targetILNS1_3genE0ELNS1_11target_archE4294967295ELNS1_3gpuE0ELNS1_3repE0EEENS1_30default_config_static_selectorELNS0_4arch9wavefront6targetE0EEEvS10_.num_agpr, 0
	.set _ZN7rocprim17ROCPRIM_400000_NS6detail17trampoline_kernelINS0_14default_configENS1_21merge_config_selectorINS0_5tupleIJjjEEENS0_10empty_typeEEEZNS1_10merge_implIS3_NS0_12zip_iteratorINS5_IJN6thrust23THRUST_200600_302600_NS6detail15normal_iteratorINSC_10device_ptrIKjEEEESI_EEEEESK_NSA_INS5_IJNSE_INSF_IjEEEESM_EEEEEPS7_SP_SP_NSC_11hip_rocprim7__merge17predicate_wrapperIjjNSC_4lessIjEEEEEE10hipError_tPvRmT0_T1_T2_T3_T4_T5_mmT6_P12ihipStream_tbEUlT_E0_NS1_11comp_targetILNS1_3genE0ELNS1_11target_archE4294967295ELNS1_3gpuE0ELNS1_3repE0EEENS1_30default_config_static_selectorELNS0_4arch9wavefront6targetE0EEEvS10_.numbered_sgpr, 26
	.set _ZN7rocprim17ROCPRIM_400000_NS6detail17trampoline_kernelINS0_14default_configENS1_21merge_config_selectorINS0_5tupleIJjjEEENS0_10empty_typeEEEZNS1_10merge_implIS3_NS0_12zip_iteratorINS5_IJN6thrust23THRUST_200600_302600_NS6detail15normal_iteratorINSC_10device_ptrIKjEEEESI_EEEEESK_NSA_INS5_IJNSE_INSF_IjEEEESM_EEEEEPS7_SP_SP_NSC_11hip_rocprim7__merge17predicate_wrapperIjjNSC_4lessIjEEEEEE10hipError_tPvRmT0_T1_T2_T3_T4_T5_mmT6_P12ihipStream_tbEUlT_E0_NS1_11comp_targetILNS1_3genE0ELNS1_11target_archE4294967295ELNS1_3gpuE0ELNS1_3repE0EEENS1_30default_config_static_selectorELNS0_4arch9wavefront6targetE0EEEvS10_.num_named_barrier, 0
	.set _ZN7rocprim17ROCPRIM_400000_NS6detail17trampoline_kernelINS0_14default_configENS1_21merge_config_selectorINS0_5tupleIJjjEEENS0_10empty_typeEEEZNS1_10merge_implIS3_NS0_12zip_iteratorINS5_IJN6thrust23THRUST_200600_302600_NS6detail15normal_iteratorINSC_10device_ptrIKjEEEESI_EEEEESK_NSA_INS5_IJNSE_INSF_IjEEEESM_EEEEEPS7_SP_SP_NSC_11hip_rocprim7__merge17predicate_wrapperIjjNSC_4lessIjEEEEEE10hipError_tPvRmT0_T1_T2_T3_T4_T5_mmT6_P12ihipStream_tbEUlT_E0_NS1_11comp_targetILNS1_3genE0ELNS1_11target_archE4294967295ELNS1_3gpuE0ELNS1_3repE0EEENS1_30default_config_static_selectorELNS0_4arch9wavefront6targetE0EEEvS10_.private_seg_size, 0
	.set _ZN7rocprim17ROCPRIM_400000_NS6detail17trampoline_kernelINS0_14default_configENS1_21merge_config_selectorINS0_5tupleIJjjEEENS0_10empty_typeEEEZNS1_10merge_implIS3_NS0_12zip_iteratorINS5_IJN6thrust23THRUST_200600_302600_NS6detail15normal_iteratorINSC_10device_ptrIKjEEEESI_EEEEESK_NSA_INS5_IJNSE_INSF_IjEEEESM_EEEEEPS7_SP_SP_NSC_11hip_rocprim7__merge17predicate_wrapperIjjNSC_4lessIjEEEEEE10hipError_tPvRmT0_T1_T2_T3_T4_T5_mmT6_P12ihipStream_tbEUlT_E0_NS1_11comp_targetILNS1_3genE0ELNS1_11target_archE4294967295ELNS1_3gpuE0ELNS1_3repE0EEENS1_30default_config_static_selectorELNS0_4arch9wavefront6targetE0EEEvS10_.uses_vcc, 1
	.set _ZN7rocprim17ROCPRIM_400000_NS6detail17trampoline_kernelINS0_14default_configENS1_21merge_config_selectorINS0_5tupleIJjjEEENS0_10empty_typeEEEZNS1_10merge_implIS3_NS0_12zip_iteratorINS5_IJN6thrust23THRUST_200600_302600_NS6detail15normal_iteratorINSC_10device_ptrIKjEEEESI_EEEEESK_NSA_INS5_IJNSE_INSF_IjEEEESM_EEEEEPS7_SP_SP_NSC_11hip_rocprim7__merge17predicate_wrapperIjjNSC_4lessIjEEEEEE10hipError_tPvRmT0_T1_T2_T3_T4_T5_mmT6_P12ihipStream_tbEUlT_E0_NS1_11comp_targetILNS1_3genE0ELNS1_11target_archE4294967295ELNS1_3gpuE0ELNS1_3repE0EEENS1_30default_config_static_selectorELNS0_4arch9wavefront6targetE0EEEvS10_.uses_flat_scratch, 0
	.set _ZN7rocprim17ROCPRIM_400000_NS6detail17trampoline_kernelINS0_14default_configENS1_21merge_config_selectorINS0_5tupleIJjjEEENS0_10empty_typeEEEZNS1_10merge_implIS3_NS0_12zip_iteratorINS5_IJN6thrust23THRUST_200600_302600_NS6detail15normal_iteratorINSC_10device_ptrIKjEEEESI_EEEEESK_NSA_INS5_IJNSE_INSF_IjEEEESM_EEEEEPS7_SP_SP_NSC_11hip_rocprim7__merge17predicate_wrapperIjjNSC_4lessIjEEEEEE10hipError_tPvRmT0_T1_T2_T3_T4_T5_mmT6_P12ihipStream_tbEUlT_E0_NS1_11comp_targetILNS1_3genE0ELNS1_11target_archE4294967295ELNS1_3gpuE0ELNS1_3repE0EEENS1_30default_config_static_selectorELNS0_4arch9wavefront6targetE0EEEvS10_.has_dyn_sized_stack, 0
	.set _ZN7rocprim17ROCPRIM_400000_NS6detail17trampoline_kernelINS0_14default_configENS1_21merge_config_selectorINS0_5tupleIJjjEEENS0_10empty_typeEEEZNS1_10merge_implIS3_NS0_12zip_iteratorINS5_IJN6thrust23THRUST_200600_302600_NS6detail15normal_iteratorINSC_10device_ptrIKjEEEESI_EEEEESK_NSA_INS5_IJNSE_INSF_IjEEEESM_EEEEEPS7_SP_SP_NSC_11hip_rocprim7__merge17predicate_wrapperIjjNSC_4lessIjEEEEEE10hipError_tPvRmT0_T1_T2_T3_T4_T5_mmT6_P12ihipStream_tbEUlT_E0_NS1_11comp_targetILNS1_3genE0ELNS1_11target_archE4294967295ELNS1_3gpuE0ELNS1_3repE0EEENS1_30default_config_static_selectorELNS0_4arch9wavefront6targetE0EEEvS10_.has_recursion, 0
	.set _ZN7rocprim17ROCPRIM_400000_NS6detail17trampoline_kernelINS0_14default_configENS1_21merge_config_selectorINS0_5tupleIJjjEEENS0_10empty_typeEEEZNS1_10merge_implIS3_NS0_12zip_iteratorINS5_IJN6thrust23THRUST_200600_302600_NS6detail15normal_iteratorINSC_10device_ptrIKjEEEESI_EEEEESK_NSA_INS5_IJNSE_INSF_IjEEEESM_EEEEEPS7_SP_SP_NSC_11hip_rocprim7__merge17predicate_wrapperIjjNSC_4lessIjEEEEEE10hipError_tPvRmT0_T1_T2_T3_T4_T5_mmT6_P12ihipStream_tbEUlT_E0_NS1_11comp_targetILNS1_3genE0ELNS1_11target_archE4294967295ELNS1_3gpuE0ELNS1_3repE0EEENS1_30default_config_static_selectorELNS0_4arch9wavefront6targetE0EEEvS10_.has_indirect_call, 0
	.section	.AMDGPU.csdata,"",@progbits
; Kernel info:
; codeLenInByte = 3508
; TotalNumSgprs: 28
; NumVgprs: 35
; ScratchSize: 0
; MemoryBound: 0
; FloatMode: 240
; IeeeMode: 1
; LDSByteSize: 14352 bytes/workgroup (compile time only)
; SGPRBlocks: 0
; VGPRBlocks: 2
; NumSGPRsForWavesPerEU: 28
; NumVGPRsForWavesPerEU: 35
; NamedBarCnt: 0
; Occupancy: 16
; WaveLimiterHint : 1
; COMPUTE_PGM_RSRC2:SCRATCH_EN: 0
; COMPUTE_PGM_RSRC2:USER_SGPR: 2
; COMPUTE_PGM_RSRC2:TRAP_HANDLER: 0
; COMPUTE_PGM_RSRC2:TGID_X_EN: 1
; COMPUTE_PGM_RSRC2:TGID_Y_EN: 0
; COMPUTE_PGM_RSRC2:TGID_Z_EN: 0
; COMPUTE_PGM_RSRC2:TIDIG_COMP_CNT: 0
	.section	.text._ZN7rocprim17ROCPRIM_400000_NS6detail17trampoline_kernelINS0_14default_configENS1_21merge_config_selectorINS0_5tupleIJjjEEENS0_10empty_typeEEEZNS1_10merge_implIS3_NS0_12zip_iteratorINS5_IJN6thrust23THRUST_200600_302600_NS6detail15normal_iteratorINSC_10device_ptrIKjEEEESI_EEEEESK_NSA_INS5_IJNSE_INSF_IjEEEESM_EEEEEPS7_SP_SP_NSC_11hip_rocprim7__merge17predicate_wrapperIjjNSC_4lessIjEEEEEE10hipError_tPvRmT0_T1_T2_T3_T4_T5_mmT6_P12ihipStream_tbEUlT_E0_NS1_11comp_targetILNS1_3genE5ELNS1_11target_archE942ELNS1_3gpuE9ELNS1_3repE0EEENS1_30default_config_static_selectorELNS0_4arch9wavefront6targetE0EEEvS10_,"axG",@progbits,_ZN7rocprim17ROCPRIM_400000_NS6detail17trampoline_kernelINS0_14default_configENS1_21merge_config_selectorINS0_5tupleIJjjEEENS0_10empty_typeEEEZNS1_10merge_implIS3_NS0_12zip_iteratorINS5_IJN6thrust23THRUST_200600_302600_NS6detail15normal_iteratorINSC_10device_ptrIKjEEEESI_EEEEESK_NSA_INS5_IJNSE_INSF_IjEEEESM_EEEEEPS7_SP_SP_NSC_11hip_rocprim7__merge17predicate_wrapperIjjNSC_4lessIjEEEEEE10hipError_tPvRmT0_T1_T2_T3_T4_T5_mmT6_P12ihipStream_tbEUlT_E0_NS1_11comp_targetILNS1_3genE5ELNS1_11target_archE942ELNS1_3gpuE9ELNS1_3repE0EEENS1_30default_config_static_selectorELNS0_4arch9wavefront6targetE0EEEvS10_,comdat
	.protected	_ZN7rocprim17ROCPRIM_400000_NS6detail17trampoline_kernelINS0_14default_configENS1_21merge_config_selectorINS0_5tupleIJjjEEENS0_10empty_typeEEEZNS1_10merge_implIS3_NS0_12zip_iteratorINS5_IJN6thrust23THRUST_200600_302600_NS6detail15normal_iteratorINSC_10device_ptrIKjEEEESI_EEEEESK_NSA_INS5_IJNSE_INSF_IjEEEESM_EEEEEPS7_SP_SP_NSC_11hip_rocprim7__merge17predicate_wrapperIjjNSC_4lessIjEEEEEE10hipError_tPvRmT0_T1_T2_T3_T4_T5_mmT6_P12ihipStream_tbEUlT_E0_NS1_11comp_targetILNS1_3genE5ELNS1_11target_archE942ELNS1_3gpuE9ELNS1_3repE0EEENS1_30default_config_static_selectorELNS0_4arch9wavefront6targetE0EEEvS10_ ; -- Begin function _ZN7rocprim17ROCPRIM_400000_NS6detail17trampoline_kernelINS0_14default_configENS1_21merge_config_selectorINS0_5tupleIJjjEEENS0_10empty_typeEEEZNS1_10merge_implIS3_NS0_12zip_iteratorINS5_IJN6thrust23THRUST_200600_302600_NS6detail15normal_iteratorINSC_10device_ptrIKjEEEESI_EEEEESK_NSA_INS5_IJNSE_INSF_IjEEEESM_EEEEEPS7_SP_SP_NSC_11hip_rocprim7__merge17predicate_wrapperIjjNSC_4lessIjEEEEEE10hipError_tPvRmT0_T1_T2_T3_T4_T5_mmT6_P12ihipStream_tbEUlT_E0_NS1_11comp_targetILNS1_3genE5ELNS1_11target_archE942ELNS1_3gpuE9ELNS1_3repE0EEENS1_30default_config_static_selectorELNS0_4arch9wavefront6targetE0EEEvS10_
	.globl	_ZN7rocprim17ROCPRIM_400000_NS6detail17trampoline_kernelINS0_14default_configENS1_21merge_config_selectorINS0_5tupleIJjjEEENS0_10empty_typeEEEZNS1_10merge_implIS3_NS0_12zip_iteratorINS5_IJN6thrust23THRUST_200600_302600_NS6detail15normal_iteratorINSC_10device_ptrIKjEEEESI_EEEEESK_NSA_INS5_IJNSE_INSF_IjEEEESM_EEEEEPS7_SP_SP_NSC_11hip_rocprim7__merge17predicate_wrapperIjjNSC_4lessIjEEEEEE10hipError_tPvRmT0_T1_T2_T3_T4_T5_mmT6_P12ihipStream_tbEUlT_E0_NS1_11comp_targetILNS1_3genE5ELNS1_11target_archE942ELNS1_3gpuE9ELNS1_3repE0EEENS1_30default_config_static_selectorELNS0_4arch9wavefront6targetE0EEEvS10_
	.p2align	8
	.type	_ZN7rocprim17ROCPRIM_400000_NS6detail17trampoline_kernelINS0_14default_configENS1_21merge_config_selectorINS0_5tupleIJjjEEENS0_10empty_typeEEEZNS1_10merge_implIS3_NS0_12zip_iteratorINS5_IJN6thrust23THRUST_200600_302600_NS6detail15normal_iteratorINSC_10device_ptrIKjEEEESI_EEEEESK_NSA_INS5_IJNSE_INSF_IjEEEESM_EEEEEPS7_SP_SP_NSC_11hip_rocprim7__merge17predicate_wrapperIjjNSC_4lessIjEEEEEE10hipError_tPvRmT0_T1_T2_T3_T4_T5_mmT6_P12ihipStream_tbEUlT_E0_NS1_11comp_targetILNS1_3genE5ELNS1_11target_archE942ELNS1_3gpuE9ELNS1_3repE0EEENS1_30default_config_static_selectorELNS0_4arch9wavefront6targetE0EEEvS10_,@function
_ZN7rocprim17ROCPRIM_400000_NS6detail17trampoline_kernelINS0_14default_configENS1_21merge_config_selectorINS0_5tupleIJjjEEENS0_10empty_typeEEEZNS1_10merge_implIS3_NS0_12zip_iteratorINS5_IJN6thrust23THRUST_200600_302600_NS6detail15normal_iteratorINSC_10device_ptrIKjEEEESI_EEEEESK_NSA_INS5_IJNSE_INSF_IjEEEESM_EEEEEPS7_SP_SP_NSC_11hip_rocprim7__merge17predicate_wrapperIjjNSC_4lessIjEEEEEE10hipError_tPvRmT0_T1_T2_T3_T4_T5_mmT6_P12ihipStream_tbEUlT_E0_NS1_11comp_targetILNS1_3genE5ELNS1_11target_archE942ELNS1_3gpuE9ELNS1_3repE0EEENS1_30default_config_static_selectorELNS0_4arch9wavefront6targetE0EEEvS10_: ; @_ZN7rocprim17ROCPRIM_400000_NS6detail17trampoline_kernelINS0_14default_configENS1_21merge_config_selectorINS0_5tupleIJjjEEENS0_10empty_typeEEEZNS1_10merge_implIS3_NS0_12zip_iteratorINS5_IJN6thrust23THRUST_200600_302600_NS6detail15normal_iteratorINSC_10device_ptrIKjEEEESI_EEEEESK_NSA_INS5_IJNSE_INSF_IjEEEESM_EEEEEPS7_SP_SP_NSC_11hip_rocprim7__merge17predicate_wrapperIjjNSC_4lessIjEEEEEE10hipError_tPvRmT0_T1_T2_T3_T4_T5_mmT6_P12ihipStream_tbEUlT_E0_NS1_11comp_targetILNS1_3genE5ELNS1_11target_archE942ELNS1_3gpuE9ELNS1_3repE0EEENS1_30default_config_static_selectorELNS0_4arch9wavefront6targetE0EEEvS10_
; %bb.0:
	.section	.rodata,"a",@progbits
	.p2align	6, 0x0
	.amdhsa_kernel _ZN7rocprim17ROCPRIM_400000_NS6detail17trampoline_kernelINS0_14default_configENS1_21merge_config_selectorINS0_5tupleIJjjEEENS0_10empty_typeEEEZNS1_10merge_implIS3_NS0_12zip_iteratorINS5_IJN6thrust23THRUST_200600_302600_NS6detail15normal_iteratorINSC_10device_ptrIKjEEEESI_EEEEESK_NSA_INS5_IJNSE_INSF_IjEEEESM_EEEEEPS7_SP_SP_NSC_11hip_rocprim7__merge17predicate_wrapperIjjNSC_4lessIjEEEEEE10hipError_tPvRmT0_T1_T2_T3_T4_T5_mmT6_P12ihipStream_tbEUlT_E0_NS1_11comp_targetILNS1_3genE5ELNS1_11target_archE942ELNS1_3gpuE9ELNS1_3repE0EEENS1_30default_config_static_selectorELNS0_4arch9wavefront6targetE0EEEvS10_
		.amdhsa_group_segment_fixed_size 0
		.amdhsa_private_segment_fixed_size 0
		.amdhsa_kernarg_size 112
		.amdhsa_user_sgpr_count 2
		.amdhsa_user_sgpr_dispatch_ptr 0
		.amdhsa_user_sgpr_queue_ptr 0
		.amdhsa_user_sgpr_kernarg_segment_ptr 1
		.amdhsa_user_sgpr_dispatch_id 0
		.amdhsa_user_sgpr_kernarg_preload_length 0
		.amdhsa_user_sgpr_kernarg_preload_offset 0
		.amdhsa_user_sgpr_private_segment_size 0
		.amdhsa_wavefront_size32 1
		.amdhsa_uses_dynamic_stack 0
		.amdhsa_enable_private_segment 0
		.amdhsa_system_sgpr_workgroup_id_x 1
		.amdhsa_system_sgpr_workgroup_id_y 0
		.amdhsa_system_sgpr_workgroup_id_z 0
		.amdhsa_system_sgpr_workgroup_info 0
		.amdhsa_system_vgpr_workitem_id 0
		.amdhsa_next_free_vgpr 1
		.amdhsa_next_free_sgpr 1
		.amdhsa_named_barrier_count 0
		.amdhsa_reserve_vcc 0
		.amdhsa_float_round_mode_32 0
		.amdhsa_float_round_mode_16_64 0
		.amdhsa_float_denorm_mode_32 3
		.amdhsa_float_denorm_mode_16_64 3
		.amdhsa_fp16_overflow 0
		.amdhsa_memory_ordered 1
		.amdhsa_forward_progress 1
		.amdhsa_inst_pref_size 0
		.amdhsa_round_robin_scheduling 0
		.amdhsa_exception_fp_ieee_invalid_op 0
		.amdhsa_exception_fp_denorm_src 0
		.amdhsa_exception_fp_ieee_div_zero 0
		.amdhsa_exception_fp_ieee_overflow 0
		.amdhsa_exception_fp_ieee_underflow 0
		.amdhsa_exception_fp_ieee_inexact 0
		.amdhsa_exception_int_div_zero 0
	.end_amdhsa_kernel
	.section	.text._ZN7rocprim17ROCPRIM_400000_NS6detail17trampoline_kernelINS0_14default_configENS1_21merge_config_selectorINS0_5tupleIJjjEEENS0_10empty_typeEEEZNS1_10merge_implIS3_NS0_12zip_iteratorINS5_IJN6thrust23THRUST_200600_302600_NS6detail15normal_iteratorINSC_10device_ptrIKjEEEESI_EEEEESK_NSA_INS5_IJNSE_INSF_IjEEEESM_EEEEEPS7_SP_SP_NSC_11hip_rocprim7__merge17predicate_wrapperIjjNSC_4lessIjEEEEEE10hipError_tPvRmT0_T1_T2_T3_T4_T5_mmT6_P12ihipStream_tbEUlT_E0_NS1_11comp_targetILNS1_3genE5ELNS1_11target_archE942ELNS1_3gpuE9ELNS1_3repE0EEENS1_30default_config_static_selectorELNS0_4arch9wavefront6targetE0EEEvS10_,"axG",@progbits,_ZN7rocprim17ROCPRIM_400000_NS6detail17trampoline_kernelINS0_14default_configENS1_21merge_config_selectorINS0_5tupleIJjjEEENS0_10empty_typeEEEZNS1_10merge_implIS3_NS0_12zip_iteratorINS5_IJN6thrust23THRUST_200600_302600_NS6detail15normal_iteratorINSC_10device_ptrIKjEEEESI_EEEEESK_NSA_INS5_IJNSE_INSF_IjEEEESM_EEEEEPS7_SP_SP_NSC_11hip_rocprim7__merge17predicate_wrapperIjjNSC_4lessIjEEEEEE10hipError_tPvRmT0_T1_T2_T3_T4_T5_mmT6_P12ihipStream_tbEUlT_E0_NS1_11comp_targetILNS1_3genE5ELNS1_11target_archE942ELNS1_3gpuE9ELNS1_3repE0EEENS1_30default_config_static_selectorELNS0_4arch9wavefront6targetE0EEEvS10_,comdat
.Lfunc_end143:
	.size	_ZN7rocprim17ROCPRIM_400000_NS6detail17trampoline_kernelINS0_14default_configENS1_21merge_config_selectorINS0_5tupleIJjjEEENS0_10empty_typeEEEZNS1_10merge_implIS3_NS0_12zip_iteratorINS5_IJN6thrust23THRUST_200600_302600_NS6detail15normal_iteratorINSC_10device_ptrIKjEEEESI_EEEEESK_NSA_INS5_IJNSE_INSF_IjEEEESM_EEEEEPS7_SP_SP_NSC_11hip_rocprim7__merge17predicate_wrapperIjjNSC_4lessIjEEEEEE10hipError_tPvRmT0_T1_T2_T3_T4_T5_mmT6_P12ihipStream_tbEUlT_E0_NS1_11comp_targetILNS1_3genE5ELNS1_11target_archE942ELNS1_3gpuE9ELNS1_3repE0EEENS1_30default_config_static_selectorELNS0_4arch9wavefront6targetE0EEEvS10_, .Lfunc_end143-_ZN7rocprim17ROCPRIM_400000_NS6detail17trampoline_kernelINS0_14default_configENS1_21merge_config_selectorINS0_5tupleIJjjEEENS0_10empty_typeEEEZNS1_10merge_implIS3_NS0_12zip_iteratorINS5_IJN6thrust23THRUST_200600_302600_NS6detail15normal_iteratorINSC_10device_ptrIKjEEEESI_EEEEESK_NSA_INS5_IJNSE_INSF_IjEEEESM_EEEEEPS7_SP_SP_NSC_11hip_rocprim7__merge17predicate_wrapperIjjNSC_4lessIjEEEEEE10hipError_tPvRmT0_T1_T2_T3_T4_T5_mmT6_P12ihipStream_tbEUlT_E0_NS1_11comp_targetILNS1_3genE5ELNS1_11target_archE942ELNS1_3gpuE9ELNS1_3repE0EEENS1_30default_config_static_selectorELNS0_4arch9wavefront6targetE0EEEvS10_
                                        ; -- End function
	.set _ZN7rocprim17ROCPRIM_400000_NS6detail17trampoline_kernelINS0_14default_configENS1_21merge_config_selectorINS0_5tupleIJjjEEENS0_10empty_typeEEEZNS1_10merge_implIS3_NS0_12zip_iteratorINS5_IJN6thrust23THRUST_200600_302600_NS6detail15normal_iteratorINSC_10device_ptrIKjEEEESI_EEEEESK_NSA_INS5_IJNSE_INSF_IjEEEESM_EEEEEPS7_SP_SP_NSC_11hip_rocprim7__merge17predicate_wrapperIjjNSC_4lessIjEEEEEE10hipError_tPvRmT0_T1_T2_T3_T4_T5_mmT6_P12ihipStream_tbEUlT_E0_NS1_11comp_targetILNS1_3genE5ELNS1_11target_archE942ELNS1_3gpuE9ELNS1_3repE0EEENS1_30default_config_static_selectorELNS0_4arch9wavefront6targetE0EEEvS10_.num_vgpr, 0
	.set _ZN7rocprim17ROCPRIM_400000_NS6detail17trampoline_kernelINS0_14default_configENS1_21merge_config_selectorINS0_5tupleIJjjEEENS0_10empty_typeEEEZNS1_10merge_implIS3_NS0_12zip_iteratorINS5_IJN6thrust23THRUST_200600_302600_NS6detail15normal_iteratorINSC_10device_ptrIKjEEEESI_EEEEESK_NSA_INS5_IJNSE_INSF_IjEEEESM_EEEEEPS7_SP_SP_NSC_11hip_rocprim7__merge17predicate_wrapperIjjNSC_4lessIjEEEEEE10hipError_tPvRmT0_T1_T2_T3_T4_T5_mmT6_P12ihipStream_tbEUlT_E0_NS1_11comp_targetILNS1_3genE5ELNS1_11target_archE942ELNS1_3gpuE9ELNS1_3repE0EEENS1_30default_config_static_selectorELNS0_4arch9wavefront6targetE0EEEvS10_.num_agpr, 0
	.set _ZN7rocprim17ROCPRIM_400000_NS6detail17trampoline_kernelINS0_14default_configENS1_21merge_config_selectorINS0_5tupleIJjjEEENS0_10empty_typeEEEZNS1_10merge_implIS3_NS0_12zip_iteratorINS5_IJN6thrust23THRUST_200600_302600_NS6detail15normal_iteratorINSC_10device_ptrIKjEEEESI_EEEEESK_NSA_INS5_IJNSE_INSF_IjEEEESM_EEEEEPS7_SP_SP_NSC_11hip_rocprim7__merge17predicate_wrapperIjjNSC_4lessIjEEEEEE10hipError_tPvRmT0_T1_T2_T3_T4_T5_mmT6_P12ihipStream_tbEUlT_E0_NS1_11comp_targetILNS1_3genE5ELNS1_11target_archE942ELNS1_3gpuE9ELNS1_3repE0EEENS1_30default_config_static_selectorELNS0_4arch9wavefront6targetE0EEEvS10_.numbered_sgpr, 0
	.set _ZN7rocprim17ROCPRIM_400000_NS6detail17trampoline_kernelINS0_14default_configENS1_21merge_config_selectorINS0_5tupleIJjjEEENS0_10empty_typeEEEZNS1_10merge_implIS3_NS0_12zip_iteratorINS5_IJN6thrust23THRUST_200600_302600_NS6detail15normal_iteratorINSC_10device_ptrIKjEEEESI_EEEEESK_NSA_INS5_IJNSE_INSF_IjEEEESM_EEEEEPS7_SP_SP_NSC_11hip_rocprim7__merge17predicate_wrapperIjjNSC_4lessIjEEEEEE10hipError_tPvRmT0_T1_T2_T3_T4_T5_mmT6_P12ihipStream_tbEUlT_E0_NS1_11comp_targetILNS1_3genE5ELNS1_11target_archE942ELNS1_3gpuE9ELNS1_3repE0EEENS1_30default_config_static_selectorELNS0_4arch9wavefront6targetE0EEEvS10_.num_named_barrier, 0
	.set _ZN7rocprim17ROCPRIM_400000_NS6detail17trampoline_kernelINS0_14default_configENS1_21merge_config_selectorINS0_5tupleIJjjEEENS0_10empty_typeEEEZNS1_10merge_implIS3_NS0_12zip_iteratorINS5_IJN6thrust23THRUST_200600_302600_NS6detail15normal_iteratorINSC_10device_ptrIKjEEEESI_EEEEESK_NSA_INS5_IJNSE_INSF_IjEEEESM_EEEEEPS7_SP_SP_NSC_11hip_rocprim7__merge17predicate_wrapperIjjNSC_4lessIjEEEEEE10hipError_tPvRmT0_T1_T2_T3_T4_T5_mmT6_P12ihipStream_tbEUlT_E0_NS1_11comp_targetILNS1_3genE5ELNS1_11target_archE942ELNS1_3gpuE9ELNS1_3repE0EEENS1_30default_config_static_selectorELNS0_4arch9wavefront6targetE0EEEvS10_.private_seg_size, 0
	.set _ZN7rocprim17ROCPRIM_400000_NS6detail17trampoline_kernelINS0_14default_configENS1_21merge_config_selectorINS0_5tupleIJjjEEENS0_10empty_typeEEEZNS1_10merge_implIS3_NS0_12zip_iteratorINS5_IJN6thrust23THRUST_200600_302600_NS6detail15normal_iteratorINSC_10device_ptrIKjEEEESI_EEEEESK_NSA_INS5_IJNSE_INSF_IjEEEESM_EEEEEPS7_SP_SP_NSC_11hip_rocprim7__merge17predicate_wrapperIjjNSC_4lessIjEEEEEE10hipError_tPvRmT0_T1_T2_T3_T4_T5_mmT6_P12ihipStream_tbEUlT_E0_NS1_11comp_targetILNS1_3genE5ELNS1_11target_archE942ELNS1_3gpuE9ELNS1_3repE0EEENS1_30default_config_static_selectorELNS0_4arch9wavefront6targetE0EEEvS10_.uses_vcc, 0
	.set _ZN7rocprim17ROCPRIM_400000_NS6detail17trampoline_kernelINS0_14default_configENS1_21merge_config_selectorINS0_5tupleIJjjEEENS0_10empty_typeEEEZNS1_10merge_implIS3_NS0_12zip_iteratorINS5_IJN6thrust23THRUST_200600_302600_NS6detail15normal_iteratorINSC_10device_ptrIKjEEEESI_EEEEESK_NSA_INS5_IJNSE_INSF_IjEEEESM_EEEEEPS7_SP_SP_NSC_11hip_rocprim7__merge17predicate_wrapperIjjNSC_4lessIjEEEEEE10hipError_tPvRmT0_T1_T2_T3_T4_T5_mmT6_P12ihipStream_tbEUlT_E0_NS1_11comp_targetILNS1_3genE5ELNS1_11target_archE942ELNS1_3gpuE9ELNS1_3repE0EEENS1_30default_config_static_selectorELNS0_4arch9wavefront6targetE0EEEvS10_.uses_flat_scratch, 0
	.set _ZN7rocprim17ROCPRIM_400000_NS6detail17trampoline_kernelINS0_14default_configENS1_21merge_config_selectorINS0_5tupleIJjjEEENS0_10empty_typeEEEZNS1_10merge_implIS3_NS0_12zip_iteratorINS5_IJN6thrust23THRUST_200600_302600_NS6detail15normal_iteratorINSC_10device_ptrIKjEEEESI_EEEEESK_NSA_INS5_IJNSE_INSF_IjEEEESM_EEEEEPS7_SP_SP_NSC_11hip_rocprim7__merge17predicate_wrapperIjjNSC_4lessIjEEEEEE10hipError_tPvRmT0_T1_T2_T3_T4_T5_mmT6_P12ihipStream_tbEUlT_E0_NS1_11comp_targetILNS1_3genE5ELNS1_11target_archE942ELNS1_3gpuE9ELNS1_3repE0EEENS1_30default_config_static_selectorELNS0_4arch9wavefront6targetE0EEEvS10_.has_dyn_sized_stack, 0
	.set _ZN7rocprim17ROCPRIM_400000_NS6detail17trampoline_kernelINS0_14default_configENS1_21merge_config_selectorINS0_5tupleIJjjEEENS0_10empty_typeEEEZNS1_10merge_implIS3_NS0_12zip_iteratorINS5_IJN6thrust23THRUST_200600_302600_NS6detail15normal_iteratorINSC_10device_ptrIKjEEEESI_EEEEESK_NSA_INS5_IJNSE_INSF_IjEEEESM_EEEEEPS7_SP_SP_NSC_11hip_rocprim7__merge17predicate_wrapperIjjNSC_4lessIjEEEEEE10hipError_tPvRmT0_T1_T2_T3_T4_T5_mmT6_P12ihipStream_tbEUlT_E0_NS1_11comp_targetILNS1_3genE5ELNS1_11target_archE942ELNS1_3gpuE9ELNS1_3repE0EEENS1_30default_config_static_selectorELNS0_4arch9wavefront6targetE0EEEvS10_.has_recursion, 0
	.set _ZN7rocprim17ROCPRIM_400000_NS6detail17trampoline_kernelINS0_14default_configENS1_21merge_config_selectorINS0_5tupleIJjjEEENS0_10empty_typeEEEZNS1_10merge_implIS3_NS0_12zip_iteratorINS5_IJN6thrust23THRUST_200600_302600_NS6detail15normal_iteratorINSC_10device_ptrIKjEEEESI_EEEEESK_NSA_INS5_IJNSE_INSF_IjEEEESM_EEEEEPS7_SP_SP_NSC_11hip_rocprim7__merge17predicate_wrapperIjjNSC_4lessIjEEEEEE10hipError_tPvRmT0_T1_T2_T3_T4_T5_mmT6_P12ihipStream_tbEUlT_E0_NS1_11comp_targetILNS1_3genE5ELNS1_11target_archE942ELNS1_3gpuE9ELNS1_3repE0EEENS1_30default_config_static_selectorELNS0_4arch9wavefront6targetE0EEEvS10_.has_indirect_call, 0
	.section	.AMDGPU.csdata,"",@progbits
; Kernel info:
; codeLenInByte = 0
; TotalNumSgprs: 0
; NumVgprs: 0
; ScratchSize: 0
; MemoryBound: 0
; FloatMode: 240
; IeeeMode: 1
; LDSByteSize: 0 bytes/workgroup (compile time only)
; SGPRBlocks: 0
; VGPRBlocks: 0
; NumSGPRsForWavesPerEU: 1
; NumVGPRsForWavesPerEU: 1
; NamedBarCnt: 0
; Occupancy: 16
; WaveLimiterHint : 0
; COMPUTE_PGM_RSRC2:SCRATCH_EN: 0
; COMPUTE_PGM_RSRC2:USER_SGPR: 2
; COMPUTE_PGM_RSRC2:TRAP_HANDLER: 0
; COMPUTE_PGM_RSRC2:TGID_X_EN: 1
; COMPUTE_PGM_RSRC2:TGID_Y_EN: 0
; COMPUTE_PGM_RSRC2:TGID_Z_EN: 0
; COMPUTE_PGM_RSRC2:TIDIG_COMP_CNT: 0
	.section	.text._ZN7rocprim17ROCPRIM_400000_NS6detail17trampoline_kernelINS0_14default_configENS1_21merge_config_selectorINS0_5tupleIJjjEEENS0_10empty_typeEEEZNS1_10merge_implIS3_NS0_12zip_iteratorINS5_IJN6thrust23THRUST_200600_302600_NS6detail15normal_iteratorINSC_10device_ptrIKjEEEESI_EEEEESK_NSA_INS5_IJNSE_INSF_IjEEEESM_EEEEEPS7_SP_SP_NSC_11hip_rocprim7__merge17predicate_wrapperIjjNSC_4lessIjEEEEEE10hipError_tPvRmT0_T1_T2_T3_T4_T5_mmT6_P12ihipStream_tbEUlT_E0_NS1_11comp_targetILNS1_3genE4ELNS1_11target_archE910ELNS1_3gpuE8ELNS1_3repE0EEENS1_30default_config_static_selectorELNS0_4arch9wavefront6targetE0EEEvS10_,"axG",@progbits,_ZN7rocprim17ROCPRIM_400000_NS6detail17trampoline_kernelINS0_14default_configENS1_21merge_config_selectorINS0_5tupleIJjjEEENS0_10empty_typeEEEZNS1_10merge_implIS3_NS0_12zip_iteratorINS5_IJN6thrust23THRUST_200600_302600_NS6detail15normal_iteratorINSC_10device_ptrIKjEEEESI_EEEEESK_NSA_INS5_IJNSE_INSF_IjEEEESM_EEEEEPS7_SP_SP_NSC_11hip_rocprim7__merge17predicate_wrapperIjjNSC_4lessIjEEEEEE10hipError_tPvRmT0_T1_T2_T3_T4_T5_mmT6_P12ihipStream_tbEUlT_E0_NS1_11comp_targetILNS1_3genE4ELNS1_11target_archE910ELNS1_3gpuE8ELNS1_3repE0EEENS1_30default_config_static_selectorELNS0_4arch9wavefront6targetE0EEEvS10_,comdat
	.protected	_ZN7rocprim17ROCPRIM_400000_NS6detail17trampoline_kernelINS0_14default_configENS1_21merge_config_selectorINS0_5tupleIJjjEEENS0_10empty_typeEEEZNS1_10merge_implIS3_NS0_12zip_iteratorINS5_IJN6thrust23THRUST_200600_302600_NS6detail15normal_iteratorINSC_10device_ptrIKjEEEESI_EEEEESK_NSA_INS5_IJNSE_INSF_IjEEEESM_EEEEEPS7_SP_SP_NSC_11hip_rocprim7__merge17predicate_wrapperIjjNSC_4lessIjEEEEEE10hipError_tPvRmT0_T1_T2_T3_T4_T5_mmT6_P12ihipStream_tbEUlT_E0_NS1_11comp_targetILNS1_3genE4ELNS1_11target_archE910ELNS1_3gpuE8ELNS1_3repE0EEENS1_30default_config_static_selectorELNS0_4arch9wavefront6targetE0EEEvS10_ ; -- Begin function _ZN7rocprim17ROCPRIM_400000_NS6detail17trampoline_kernelINS0_14default_configENS1_21merge_config_selectorINS0_5tupleIJjjEEENS0_10empty_typeEEEZNS1_10merge_implIS3_NS0_12zip_iteratorINS5_IJN6thrust23THRUST_200600_302600_NS6detail15normal_iteratorINSC_10device_ptrIKjEEEESI_EEEEESK_NSA_INS5_IJNSE_INSF_IjEEEESM_EEEEEPS7_SP_SP_NSC_11hip_rocprim7__merge17predicate_wrapperIjjNSC_4lessIjEEEEEE10hipError_tPvRmT0_T1_T2_T3_T4_T5_mmT6_P12ihipStream_tbEUlT_E0_NS1_11comp_targetILNS1_3genE4ELNS1_11target_archE910ELNS1_3gpuE8ELNS1_3repE0EEENS1_30default_config_static_selectorELNS0_4arch9wavefront6targetE0EEEvS10_
	.globl	_ZN7rocprim17ROCPRIM_400000_NS6detail17trampoline_kernelINS0_14default_configENS1_21merge_config_selectorINS0_5tupleIJjjEEENS0_10empty_typeEEEZNS1_10merge_implIS3_NS0_12zip_iteratorINS5_IJN6thrust23THRUST_200600_302600_NS6detail15normal_iteratorINSC_10device_ptrIKjEEEESI_EEEEESK_NSA_INS5_IJNSE_INSF_IjEEEESM_EEEEEPS7_SP_SP_NSC_11hip_rocprim7__merge17predicate_wrapperIjjNSC_4lessIjEEEEEE10hipError_tPvRmT0_T1_T2_T3_T4_T5_mmT6_P12ihipStream_tbEUlT_E0_NS1_11comp_targetILNS1_3genE4ELNS1_11target_archE910ELNS1_3gpuE8ELNS1_3repE0EEENS1_30default_config_static_selectorELNS0_4arch9wavefront6targetE0EEEvS10_
	.p2align	8
	.type	_ZN7rocprim17ROCPRIM_400000_NS6detail17trampoline_kernelINS0_14default_configENS1_21merge_config_selectorINS0_5tupleIJjjEEENS0_10empty_typeEEEZNS1_10merge_implIS3_NS0_12zip_iteratorINS5_IJN6thrust23THRUST_200600_302600_NS6detail15normal_iteratorINSC_10device_ptrIKjEEEESI_EEEEESK_NSA_INS5_IJNSE_INSF_IjEEEESM_EEEEEPS7_SP_SP_NSC_11hip_rocprim7__merge17predicate_wrapperIjjNSC_4lessIjEEEEEE10hipError_tPvRmT0_T1_T2_T3_T4_T5_mmT6_P12ihipStream_tbEUlT_E0_NS1_11comp_targetILNS1_3genE4ELNS1_11target_archE910ELNS1_3gpuE8ELNS1_3repE0EEENS1_30default_config_static_selectorELNS0_4arch9wavefront6targetE0EEEvS10_,@function
_ZN7rocprim17ROCPRIM_400000_NS6detail17trampoline_kernelINS0_14default_configENS1_21merge_config_selectorINS0_5tupleIJjjEEENS0_10empty_typeEEEZNS1_10merge_implIS3_NS0_12zip_iteratorINS5_IJN6thrust23THRUST_200600_302600_NS6detail15normal_iteratorINSC_10device_ptrIKjEEEESI_EEEEESK_NSA_INS5_IJNSE_INSF_IjEEEESM_EEEEEPS7_SP_SP_NSC_11hip_rocprim7__merge17predicate_wrapperIjjNSC_4lessIjEEEEEE10hipError_tPvRmT0_T1_T2_T3_T4_T5_mmT6_P12ihipStream_tbEUlT_E0_NS1_11comp_targetILNS1_3genE4ELNS1_11target_archE910ELNS1_3gpuE8ELNS1_3repE0EEENS1_30default_config_static_selectorELNS0_4arch9wavefront6targetE0EEEvS10_: ; @_ZN7rocprim17ROCPRIM_400000_NS6detail17trampoline_kernelINS0_14default_configENS1_21merge_config_selectorINS0_5tupleIJjjEEENS0_10empty_typeEEEZNS1_10merge_implIS3_NS0_12zip_iteratorINS5_IJN6thrust23THRUST_200600_302600_NS6detail15normal_iteratorINSC_10device_ptrIKjEEEESI_EEEEESK_NSA_INS5_IJNSE_INSF_IjEEEESM_EEEEEPS7_SP_SP_NSC_11hip_rocprim7__merge17predicate_wrapperIjjNSC_4lessIjEEEEEE10hipError_tPvRmT0_T1_T2_T3_T4_T5_mmT6_P12ihipStream_tbEUlT_E0_NS1_11comp_targetILNS1_3genE4ELNS1_11target_archE910ELNS1_3gpuE8ELNS1_3repE0EEENS1_30default_config_static_selectorELNS0_4arch9wavefront6targetE0EEEvS10_
; %bb.0:
	.section	.rodata,"a",@progbits
	.p2align	6, 0x0
	.amdhsa_kernel _ZN7rocprim17ROCPRIM_400000_NS6detail17trampoline_kernelINS0_14default_configENS1_21merge_config_selectorINS0_5tupleIJjjEEENS0_10empty_typeEEEZNS1_10merge_implIS3_NS0_12zip_iteratorINS5_IJN6thrust23THRUST_200600_302600_NS6detail15normal_iteratorINSC_10device_ptrIKjEEEESI_EEEEESK_NSA_INS5_IJNSE_INSF_IjEEEESM_EEEEEPS7_SP_SP_NSC_11hip_rocprim7__merge17predicate_wrapperIjjNSC_4lessIjEEEEEE10hipError_tPvRmT0_T1_T2_T3_T4_T5_mmT6_P12ihipStream_tbEUlT_E0_NS1_11comp_targetILNS1_3genE4ELNS1_11target_archE910ELNS1_3gpuE8ELNS1_3repE0EEENS1_30default_config_static_selectorELNS0_4arch9wavefront6targetE0EEEvS10_
		.amdhsa_group_segment_fixed_size 0
		.amdhsa_private_segment_fixed_size 0
		.amdhsa_kernarg_size 112
		.amdhsa_user_sgpr_count 2
		.amdhsa_user_sgpr_dispatch_ptr 0
		.amdhsa_user_sgpr_queue_ptr 0
		.amdhsa_user_sgpr_kernarg_segment_ptr 1
		.amdhsa_user_sgpr_dispatch_id 0
		.amdhsa_user_sgpr_kernarg_preload_length 0
		.amdhsa_user_sgpr_kernarg_preload_offset 0
		.amdhsa_user_sgpr_private_segment_size 0
		.amdhsa_wavefront_size32 1
		.amdhsa_uses_dynamic_stack 0
		.amdhsa_enable_private_segment 0
		.amdhsa_system_sgpr_workgroup_id_x 1
		.amdhsa_system_sgpr_workgroup_id_y 0
		.amdhsa_system_sgpr_workgroup_id_z 0
		.amdhsa_system_sgpr_workgroup_info 0
		.amdhsa_system_vgpr_workitem_id 0
		.amdhsa_next_free_vgpr 1
		.amdhsa_next_free_sgpr 1
		.amdhsa_named_barrier_count 0
		.amdhsa_reserve_vcc 0
		.amdhsa_float_round_mode_32 0
		.amdhsa_float_round_mode_16_64 0
		.amdhsa_float_denorm_mode_32 3
		.amdhsa_float_denorm_mode_16_64 3
		.amdhsa_fp16_overflow 0
		.amdhsa_memory_ordered 1
		.amdhsa_forward_progress 1
		.amdhsa_inst_pref_size 0
		.amdhsa_round_robin_scheduling 0
		.amdhsa_exception_fp_ieee_invalid_op 0
		.amdhsa_exception_fp_denorm_src 0
		.amdhsa_exception_fp_ieee_div_zero 0
		.amdhsa_exception_fp_ieee_overflow 0
		.amdhsa_exception_fp_ieee_underflow 0
		.amdhsa_exception_fp_ieee_inexact 0
		.amdhsa_exception_int_div_zero 0
	.end_amdhsa_kernel
	.section	.text._ZN7rocprim17ROCPRIM_400000_NS6detail17trampoline_kernelINS0_14default_configENS1_21merge_config_selectorINS0_5tupleIJjjEEENS0_10empty_typeEEEZNS1_10merge_implIS3_NS0_12zip_iteratorINS5_IJN6thrust23THRUST_200600_302600_NS6detail15normal_iteratorINSC_10device_ptrIKjEEEESI_EEEEESK_NSA_INS5_IJNSE_INSF_IjEEEESM_EEEEEPS7_SP_SP_NSC_11hip_rocprim7__merge17predicate_wrapperIjjNSC_4lessIjEEEEEE10hipError_tPvRmT0_T1_T2_T3_T4_T5_mmT6_P12ihipStream_tbEUlT_E0_NS1_11comp_targetILNS1_3genE4ELNS1_11target_archE910ELNS1_3gpuE8ELNS1_3repE0EEENS1_30default_config_static_selectorELNS0_4arch9wavefront6targetE0EEEvS10_,"axG",@progbits,_ZN7rocprim17ROCPRIM_400000_NS6detail17trampoline_kernelINS0_14default_configENS1_21merge_config_selectorINS0_5tupleIJjjEEENS0_10empty_typeEEEZNS1_10merge_implIS3_NS0_12zip_iteratorINS5_IJN6thrust23THRUST_200600_302600_NS6detail15normal_iteratorINSC_10device_ptrIKjEEEESI_EEEEESK_NSA_INS5_IJNSE_INSF_IjEEEESM_EEEEEPS7_SP_SP_NSC_11hip_rocprim7__merge17predicate_wrapperIjjNSC_4lessIjEEEEEE10hipError_tPvRmT0_T1_T2_T3_T4_T5_mmT6_P12ihipStream_tbEUlT_E0_NS1_11comp_targetILNS1_3genE4ELNS1_11target_archE910ELNS1_3gpuE8ELNS1_3repE0EEENS1_30default_config_static_selectorELNS0_4arch9wavefront6targetE0EEEvS10_,comdat
.Lfunc_end144:
	.size	_ZN7rocprim17ROCPRIM_400000_NS6detail17trampoline_kernelINS0_14default_configENS1_21merge_config_selectorINS0_5tupleIJjjEEENS0_10empty_typeEEEZNS1_10merge_implIS3_NS0_12zip_iteratorINS5_IJN6thrust23THRUST_200600_302600_NS6detail15normal_iteratorINSC_10device_ptrIKjEEEESI_EEEEESK_NSA_INS5_IJNSE_INSF_IjEEEESM_EEEEEPS7_SP_SP_NSC_11hip_rocprim7__merge17predicate_wrapperIjjNSC_4lessIjEEEEEE10hipError_tPvRmT0_T1_T2_T3_T4_T5_mmT6_P12ihipStream_tbEUlT_E0_NS1_11comp_targetILNS1_3genE4ELNS1_11target_archE910ELNS1_3gpuE8ELNS1_3repE0EEENS1_30default_config_static_selectorELNS0_4arch9wavefront6targetE0EEEvS10_, .Lfunc_end144-_ZN7rocprim17ROCPRIM_400000_NS6detail17trampoline_kernelINS0_14default_configENS1_21merge_config_selectorINS0_5tupleIJjjEEENS0_10empty_typeEEEZNS1_10merge_implIS3_NS0_12zip_iteratorINS5_IJN6thrust23THRUST_200600_302600_NS6detail15normal_iteratorINSC_10device_ptrIKjEEEESI_EEEEESK_NSA_INS5_IJNSE_INSF_IjEEEESM_EEEEEPS7_SP_SP_NSC_11hip_rocprim7__merge17predicate_wrapperIjjNSC_4lessIjEEEEEE10hipError_tPvRmT0_T1_T2_T3_T4_T5_mmT6_P12ihipStream_tbEUlT_E0_NS1_11comp_targetILNS1_3genE4ELNS1_11target_archE910ELNS1_3gpuE8ELNS1_3repE0EEENS1_30default_config_static_selectorELNS0_4arch9wavefront6targetE0EEEvS10_
                                        ; -- End function
	.set _ZN7rocprim17ROCPRIM_400000_NS6detail17trampoline_kernelINS0_14default_configENS1_21merge_config_selectorINS0_5tupleIJjjEEENS0_10empty_typeEEEZNS1_10merge_implIS3_NS0_12zip_iteratorINS5_IJN6thrust23THRUST_200600_302600_NS6detail15normal_iteratorINSC_10device_ptrIKjEEEESI_EEEEESK_NSA_INS5_IJNSE_INSF_IjEEEESM_EEEEEPS7_SP_SP_NSC_11hip_rocprim7__merge17predicate_wrapperIjjNSC_4lessIjEEEEEE10hipError_tPvRmT0_T1_T2_T3_T4_T5_mmT6_P12ihipStream_tbEUlT_E0_NS1_11comp_targetILNS1_3genE4ELNS1_11target_archE910ELNS1_3gpuE8ELNS1_3repE0EEENS1_30default_config_static_selectorELNS0_4arch9wavefront6targetE0EEEvS10_.num_vgpr, 0
	.set _ZN7rocprim17ROCPRIM_400000_NS6detail17trampoline_kernelINS0_14default_configENS1_21merge_config_selectorINS0_5tupleIJjjEEENS0_10empty_typeEEEZNS1_10merge_implIS3_NS0_12zip_iteratorINS5_IJN6thrust23THRUST_200600_302600_NS6detail15normal_iteratorINSC_10device_ptrIKjEEEESI_EEEEESK_NSA_INS5_IJNSE_INSF_IjEEEESM_EEEEEPS7_SP_SP_NSC_11hip_rocprim7__merge17predicate_wrapperIjjNSC_4lessIjEEEEEE10hipError_tPvRmT0_T1_T2_T3_T4_T5_mmT6_P12ihipStream_tbEUlT_E0_NS1_11comp_targetILNS1_3genE4ELNS1_11target_archE910ELNS1_3gpuE8ELNS1_3repE0EEENS1_30default_config_static_selectorELNS0_4arch9wavefront6targetE0EEEvS10_.num_agpr, 0
	.set _ZN7rocprim17ROCPRIM_400000_NS6detail17trampoline_kernelINS0_14default_configENS1_21merge_config_selectorINS0_5tupleIJjjEEENS0_10empty_typeEEEZNS1_10merge_implIS3_NS0_12zip_iteratorINS5_IJN6thrust23THRUST_200600_302600_NS6detail15normal_iteratorINSC_10device_ptrIKjEEEESI_EEEEESK_NSA_INS5_IJNSE_INSF_IjEEEESM_EEEEEPS7_SP_SP_NSC_11hip_rocprim7__merge17predicate_wrapperIjjNSC_4lessIjEEEEEE10hipError_tPvRmT0_T1_T2_T3_T4_T5_mmT6_P12ihipStream_tbEUlT_E0_NS1_11comp_targetILNS1_3genE4ELNS1_11target_archE910ELNS1_3gpuE8ELNS1_3repE0EEENS1_30default_config_static_selectorELNS0_4arch9wavefront6targetE0EEEvS10_.numbered_sgpr, 0
	.set _ZN7rocprim17ROCPRIM_400000_NS6detail17trampoline_kernelINS0_14default_configENS1_21merge_config_selectorINS0_5tupleIJjjEEENS0_10empty_typeEEEZNS1_10merge_implIS3_NS0_12zip_iteratorINS5_IJN6thrust23THRUST_200600_302600_NS6detail15normal_iteratorINSC_10device_ptrIKjEEEESI_EEEEESK_NSA_INS5_IJNSE_INSF_IjEEEESM_EEEEEPS7_SP_SP_NSC_11hip_rocprim7__merge17predicate_wrapperIjjNSC_4lessIjEEEEEE10hipError_tPvRmT0_T1_T2_T3_T4_T5_mmT6_P12ihipStream_tbEUlT_E0_NS1_11comp_targetILNS1_3genE4ELNS1_11target_archE910ELNS1_3gpuE8ELNS1_3repE0EEENS1_30default_config_static_selectorELNS0_4arch9wavefront6targetE0EEEvS10_.num_named_barrier, 0
	.set _ZN7rocprim17ROCPRIM_400000_NS6detail17trampoline_kernelINS0_14default_configENS1_21merge_config_selectorINS0_5tupleIJjjEEENS0_10empty_typeEEEZNS1_10merge_implIS3_NS0_12zip_iteratorINS5_IJN6thrust23THRUST_200600_302600_NS6detail15normal_iteratorINSC_10device_ptrIKjEEEESI_EEEEESK_NSA_INS5_IJNSE_INSF_IjEEEESM_EEEEEPS7_SP_SP_NSC_11hip_rocprim7__merge17predicate_wrapperIjjNSC_4lessIjEEEEEE10hipError_tPvRmT0_T1_T2_T3_T4_T5_mmT6_P12ihipStream_tbEUlT_E0_NS1_11comp_targetILNS1_3genE4ELNS1_11target_archE910ELNS1_3gpuE8ELNS1_3repE0EEENS1_30default_config_static_selectorELNS0_4arch9wavefront6targetE0EEEvS10_.private_seg_size, 0
	.set _ZN7rocprim17ROCPRIM_400000_NS6detail17trampoline_kernelINS0_14default_configENS1_21merge_config_selectorINS0_5tupleIJjjEEENS0_10empty_typeEEEZNS1_10merge_implIS3_NS0_12zip_iteratorINS5_IJN6thrust23THRUST_200600_302600_NS6detail15normal_iteratorINSC_10device_ptrIKjEEEESI_EEEEESK_NSA_INS5_IJNSE_INSF_IjEEEESM_EEEEEPS7_SP_SP_NSC_11hip_rocprim7__merge17predicate_wrapperIjjNSC_4lessIjEEEEEE10hipError_tPvRmT0_T1_T2_T3_T4_T5_mmT6_P12ihipStream_tbEUlT_E0_NS1_11comp_targetILNS1_3genE4ELNS1_11target_archE910ELNS1_3gpuE8ELNS1_3repE0EEENS1_30default_config_static_selectorELNS0_4arch9wavefront6targetE0EEEvS10_.uses_vcc, 0
	.set _ZN7rocprim17ROCPRIM_400000_NS6detail17trampoline_kernelINS0_14default_configENS1_21merge_config_selectorINS0_5tupleIJjjEEENS0_10empty_typeEEEZNS1_10merge_implIS3_NS0_12zip_iteratorINS5_IJN6thrust23THRUST_200600_302600_NS6detail15normal_iteratorINSC_10device_ptrIKjEEEESI_EEEEESK_NSA_INS5_IJNSE_INSF_IjEEEESM_EEEEEPS7_SP_SP_NSC_11hip_rocprim7__merge17predicate_wrapperIjjNSC_4lessIjEEEEEE10hipError_tPvRmT0_T1_T2_T3_T4_T5_mmT6_P12ihipStream_tbEUlT_E0_NS1_11comp_targetILNS1_3genE4ELNS1_11target_archE910ELNS1_3gpuE8ELNS1_3repE0EEENS1_30default_config_static_selectorELNS0_4arch9wavefront6targetE0EEEvS10_.uses_flat_scratch, 0
	.set _ZN7rocprim17ROCPRIM_400000_NS6detail17trampoline_kernelINS0_14default_configENS1_21merge_config_selectorINS0_5tupleIJjjEEENS0_10empty_typeEEEZNS1_10merge_implIS3_NS0_12zip_iteratorINS5_IJN6thrust23THRUST_200600_302600_NS6detail15normal_iteratorINSC_10device_ptrIKjEEEESI_EEEEESK_NSA_INS5_IJNSE_INSF_IjEEEESM_EEEEEPS7_SP_SP_NSC_11hip_rocprim7__merge17predicate_wrapperIjjNSC_4lessIjEEEEEE10hipError_tPvRmT0_T1_T2_T3_T4_T5_mmT6_P12ihipStream_tbEUlT_E0_NS1_11comp_targetILNS1_3genE4ELNS1_11target_archE910ELNS1_3gpuE8ELNS1_3repE0EEENS1_30default_config_static_selectorELNS0_4arch9wavefront6targetE0EEEvS10_.has_dyn_sized_stack, 0
	.set _ZN7rocprim17ROCPRIM_400000_NS6detail17trampoline_kernelINS0_14default_configENS1_21merge_config_selectorINS0_5tupleIJjjEEENS0_10empty_typeEEEZNS1_10merge_implIS3_NS0_12zip_iteratorINS5_IJN6thrust23THRUST_200600_302600_NS6detail15normal_iteratorINSC_10device_ptrIKjEEEESI_EEEEESK_NSA_INS5_IJNSE_INSF_IjEEEESM_EEEEEPS7_SP_SP_NSC_11hip_rocprim7__merge17predicate_wrapperIjjNSC_4lessIjEEEEEE10hipError_tPvRmT0_T1_T2_T3_T4_T5_mmT6_P12ihipStream_tbEUlT_E0_NS1_11comp_targetILNS1_3genE4ELNS1_11target_archE910ELNS1_3gpuE8ELNS1_3repE0EEENS1_30default_config_static_selectorELNS0_4arch9wavefront6targetE0EEEvS10_.has_recursion, 0
	.set _ZN7rocprim17ROCPRIM_400000_NS6detail17trampoline_kernelINS0_14default_configENS1_21merge_config_selectorINS0_5tupleIJjjEEENS0_10empty_typeEEEZNS1_10merge_implIS3_NS0_12zip_iteratorINS5_IJN6thrust23THRUST_200600_302600_NS6detail15normal_iteratorINSC_10device_ptrIKjEEEESI_EEEEESK_NSA_INS5_IJNSE_INSF_IjEEEESM_EEEEEPS7_SP_SP_NSC_11hip_rocprim7__merge17predicate_wrapperIjjNSC_4lessIjEEEEEE10hipError_tPvRmT0_T1_T2_T3_T4_T5_mmT6_P12ihipStream_tbEUlT_E0_NS1_11comp_targetILNS1_3genE4ELNS1_11target_archE910ELNS1_3gpuE8ELNS1_3repE0EEENS1_30default_config_static_selectorELNS0_4arch9wavefront6targetE0EEEvS10_.has_indirect_call, 0
	.section	.AMDGPU.csdata,"",@progbits
; Kernel info:
; codeLenInByte = 0
; TotalNumSgprs: 0
; NumVgprs: 0
; ScratchSize: 0
; MemoryBound: 0
; FloatMode: 240
; IeeeMode: 1
; LDSByteSize: 0 bytes/workgroup (compile time only)
; SGPRBlocks: 0
; VGPRBlocks: 0
; NumSGPRsForWavesPerEU: 1
; NumVGPRsForWavesPerEU: 1
; NamedBarCnt: 0
; Occupancy: 16
; WaveLimiterHint : 0
; COMPUTE_PGM_RSRC2:SCRATCH_EN: 0
; COMPUTE_PGM_RSRC2:USER_SGPR: 2
; COMPUTE_PGM_RSRC2:TRAP_HANDLER: 0
; COMPUTE_PGM_RSRC2:TGID_X_EN: 1
; COMPUTE_PGM_RSRC2:TGID_Y_EN: 0
; COMPUTE_PGM_RSRC2:TGID_Z_EN: 0
; COMPUTE_PGM_RSRC2:TIDIG_COMP_CNT: 0
	.section	.text._ZN7rocprim17ROCPRIM_400000_NS6detail17trampoline_kernelINS0_14default_configENS1_21merge_config_selectorINS0_5tupleIJjjEEENS0_10empty_typeEEEZNS1_10merge_implIS3_NS0_12zip_iteratorINS5_IJN6thrust23THRUST_200600_302600_NS6detail15normal_iteratorINSC_10device_ptrIKjEEEESI_EEEEESK_NSA_INS5_IJNSE_INSF_IjEEEESM_EEEEEPS7_SP_SP_NSC_11hip_rocprim7__merge17predicate_wrapperIjjNSC_4lessIjEEEEEE10hipError_tPvRmT0_T1_T2_T3_T4_T5_mmT6_P12ihipStream_tbEUlT_E0_NS1_11comp_targetILNS1_3genE3ELNS1_11target_archE908ELNS1_3gpuE7ELNS1_3repE0EEENS1_30default_config_static_selectorELNS0_4arch9wavefront6targetE0EEEvS10_,"axG",@progbits,_ZN7rocprim17ROCPRIM_400000_NS6detail17trampoline_kernelINS0_14default_configENS1_21merge_config_selectorINS0_5tupleIJjjEEENS0_10empty_typeEEEZNS1_10merge_implIS3_NS0_12zip_iteratorINS5_IJN6thrust23THRUST_200600_302600_NS6detail15normal_iteratorINSC_10device_ptrIKjEEEESI_EEEEESK_NSA_INS5_IJNSE_INSF_IjEEEESM_EEEEEPS7_SP_SP_NSC_11hip_rocprim7__merge17predicate_wrapperIjjNSC_4lessIjEEEEEE10hipError_tPvRmT0_T1_T2_T3_T4_T5_mmT6_P12ihipStream_tbEUlT_E0_NS1_11comp_targetILNS1_3genE3ELNS1_11target_archE908ELNS1_3gpuE7ELNS1_3repE0EEENS1_30default_config_static_selectorELNS0_4arch9wavefront6targetE0EEEvS10_,comdat
	.protected	_ZN7rocprim17ROCPRIM_400000_NS6detail17trampoline_kernelINS0_14default_configENS1_21merge_config_selectorINS0_5tupleIJjjEEENS0_10empty_typeEEEZNS1_10merge_implIS3_NS0_12zip_iteratorINS5_IJN6thrust23THRUST_200600_302600_NS6detail15normal_iteratorINSC_10device_ptrIKjEEEESI_EEEEESK_NSA_INS5_IJNSE_INSF_IjEEEESM_EEEEEPS7_SP_SP_NSC_11hip_rocprim7__merge17predicate_wrapperIjjNSC_4lessIjEEEEEE10hipError_tPvRmT0_T1_T2_T3_T4_T5_mmT6_P12ihipStream_tbEUlT_E0_NS1_11comp_targetILNS1_3genE3ELNS1_11target_archE908ELNS1_3gpuE7ELNS1_3repE0EEENS1_30default_config_static_selectorELNS0_4arch9wavefront6targetE0EEEvS10_ ; -- Begin function _ZN7rocprim17ROCPRIM_400000_NS6detail17trampoline_kernelINS0_14default_configENS1_21merge_config_selectorINS0_5tupleIJjjEEENS0_10empty_typeEEEZNS1_10merge_implIS3_NS0_12zip_iteratorINS5_IJN6thrust23THRUST_200600_302600_NS6detail15normal_iteratorINSC_10device_ptrIKjEEEESI_EEEEESK_NSA_INS5_IJNSE_INSF_IjEEEESM_EEEEEPS7_SP_SP_NSC_11hip_rocprim7__merge17predicate_wrapperIjjNSC_4lessIjEEEEEE10hipError_tPvRmT0_T1_T2_T3_T4_T5_mmT6_P12ihipStream_tbEUlT_E0_NS1_11comp_targetILNS1_3genE3ELNS1_11target_archE908ELNS1_3gpuE7ELNS1_3repE0EEENS1_30default_config_static_selectorELNS0_4arch9wavefront6targetE0EEEvS10_
	.globl	_ZN7rocprim17ROCPRIM_400000_NS6detail17trampoline_kernelINS0_14default_configENS1_21merge_config_selectorINS0_5tupleIJjjEEENS0_10empty_typeEEEZNS1_10merge_implIS3_NS0_12zip_iteratorINS5_IJN6thrust23THRUST_200600_302600_NS6detail15normal_iteratorINSC_10device_ptrIKjEEEESI_EEEEESK_NSA_INS5_IJNSE_INSF_IjEEEESM_EEEEEPS7_SP_SP_NSC_11hip_rocprim7__merge17predicate_wrapperIjjNSC_4lessIjEEEEEE10hipError_tPvRmT0_T1_T2_T3_T4_T5_mmT6_P12ihipStream_tbEUlT_E0_NS1_11comp_targetILNS1_3genE3ELNS1_11target_archE908ELNS1_3gpuE7ELNS1_3repE0EEENS1_30default_config_static_selectorELNS0_4arch9wavefront6targetE0EEEvS10_
	.p2align	8
	.type	_ZN7rocprim17ROCPRIM_400000_NS6detail17trampoline_kernelINS0_14default_configENS1_21merge_config_selectorINS0_5tupleIJjjEEENS0_10empty_typeEEEZNS1_10merge_implIS3_NS0_12zip_iteratorINS5_IJN6thrust23THRUST_200600_302600_NS6detail15normal_iteratorINSC_10device_ptrIKjEEEESI_EEEEESK_NSA_INS5_IJNSE_INSF_IjEEEESM_EEEEEPS7_SP_SP_NSC_11hip_rocprim7__merge17predicate_wrapperIjjNSC_4lessIjEEEEEE10hipError_tPvRmT0_T1_T2_T3_T4_T5_mmT6_P12ihipStream_tbEUlT_E0_NS1_11comp_targetILNS1_3genE3ELNS1_11target_archE908ELNS1_3gpuE7ELNS1_3repE0EEENS1_30default_config_static_selectorELNS0_4arch9wavefront6targetE0EEEvS10_,@function
_ZN7rocprim17ROCPRIM_400000_NS6detail17trampoline_kernelINS0_14default_configENS1_21merge_config_selectorINS0_5tupleIJjjEEENS0_10empty_typeEEEZNS1_10merge_implIS3_NS0_12zip_iteratorINS5_IJN6thrust23THRUST_200600_302600_NS6detail15normal_iteratorINSC_10device_ptrIKjEEEESI_EEEEESK_NSA_INS5_IJNSE_INSF_IjEEEESM_EEEEEPS7_SP_SP_NSC_11hip_rocprim7__merge17predicate_wrapperIjjNSC_4lessIjEEEEEE10hipError_tPvRmT0_T1_T2_T3_T4_T5_mmT6_P12ihipStream_tbEUlT_E0_NS1_11comp_targetILNS1_3genE3ELNS1_11target_archE908ELNS1_3gpuE7ELNS1_3repE0EEENS1_30default_config_static_selectorELNS0_4arch9wavefront6targetE0EEEvS10_: ; @_ZN7rocprim17ROCPRIM_400000_NS6detail17trampoline_kernelINS0_14default_configENS1_21merge_config_selectorINS0_5tupleIJjjEEENS0_10empty_typeEEEZNS1_10merge_implIS3_NS0_12zip_iteratorINS5_IJN6thrust23THRUST_200600_302600_NS6detail15normal_iteratorINSC_10device_ptrIKjEEEESI_EEEEESK_NSA_INS5_IJNSE_INSF_IjEEEESM_EEEEEPS7_SP_SP_NSC_11hip_rocprim7__merge17predicate_wrapperIjjNSC_4lessIjEEEEEE10hipError_tPvRmT0_T1_T2_T3_T4_T5_mmT6_P12ihipStream_tbEUlT_E0_NS1_11comp_targetILNS1_3genE3ELNS1_11target_archE908ELNS1_3gpuE7ELNS1_3repE0EEENS1_30default_config_static_selectorELNS0_4arch9wavefront6targetE0EEEvS10_
; %bb.0:
	.section	.rodata,"a",@progbits
	.p2align	6, 0x0
	.amdhsa_kernel _ZN7rocprim17ROCPRIM_400000_NS6detail17trampoline_kernelINS0_14default_configENS1_21merge_config_selectorINS0_5tupleIJjjEEENS0_10empty_typeEEEZNS1_10merge_implIS3_NS0_12zip_iteratorINS5_IJN6thrust23THRUST_200600_302600_NS6detail15normal_iteratorINSC_10device_ptrIKjEEEESI_EEEEESK_NSA_INS5_IJNSE_INSF_IjEEEESM_EEEEEPS7_SP_SP_NSC_11hip_rocprim7__merge17predicate_wrapperIjjNSC_4lessIjEEEEEE10hipError_tPvRmT0_T1_T2_T3_T4_T5_mmT6_P12ihipStream_tbEUlT_E0_NS1_11comp_targetILNS1_3genE3ELNS1_11target_archE908ELNS1_3gpuE7ELNS1_3repE0EEENS1_30default_config_static_selectorELNS0_4arch9wavefront6targetE0EEEvS10_
		.amdhsa_group_segment_fixed_size 0
		.amdhsa_private_segment_fixed_size 0
		.amdhsa_kernarg_size 112
		.amdhsa_user_sgpr_count 2
		.amdhsa_user_sgpr_dispatch_ptr 0
		.amdhsa_user_sgpr_queue_ptr 0
		.amdhsa_user_sgpr_kernarg_segment_ptr 1
		.amdhsa_user_sgpr_dispatch_id 0
		.amdhsa_user_sgpr_kernarg_preload_length 0
		.amdhsa_user_sgpr_kernarg_preload_offset 0
		.amdhsa_user_sgpr_private_segment_size 0
		.amdhsa_wavefront_size32 1
		.amdhsa_uses_dynamic_stack 0
		.amdhsa_enable_private_segment 0
		.amdhsa_system_sgpr_workgroup_id_x 1
		.amdhsa_system_sgpr_workgroup_id_y 0
		.amdhsa_system_sgpr_workgroup_id_z 0
		.amdhsa_system_sgpr_workgroup_info 0
		.amdhsa_system_vgpr_workitem_id 0
		.amdhsa_next_free_vgpr 1
		.amdhsa_next_free_sgpr 1
		.amdhsa_named_barrier_count 0
		.amdhsa_reserve_vcc 0
		.amdhsa_float_round_mode_32 0
		.amdhsa_float_round_mode_16_64 0
		.amdhsa_float_denorm_mode_32 3
		.amdhsa_float_denorm_mode_16_64 3
		.amdhsa_fp16_overflow 0
		.amdhsa_memory_ordered 1
		.amdhsa_forward_progress 1
		.amdhsa_inst_pref_size 0
		.amdhsa_round_robin_scheduling 0
		.amdhsa_exception_fp_ieee_invalid_op 0
		.amdhsa_exception_fp_denorm_src 0
		.amdhsa_exception_fp_ieee_div_zero 0
		.amdhsa_exception_fp_ieee_overflow 0
		.amdhsa_exception_fp_ieee_underflow 0
		.amdhsa_exception_fp_ieee_inexact 0
		.amdhsa_exception_int_div_zero 0
	.end_amdhsa_kernel
	.section	.text._ZN7rocprim17ROCPRIM_400000_NS6detail17trampoline_kernelINS0_14default_configENS1_21merge_config_selectorINS0_5tupleIJjjEEENS0_10empty_typeEEEZNS1_10merge_implIS3_NS0_12zip_iteratorINS5_IJN6thrust23THRUST_200600_302600_NS6detail15normal_iteratorINSC_10device_ptrIKjEEEESI_EEEEESK_NSA_INS5_IJNSE_INSF_IjEEEESM_EEEEEPS7_SP_SP_NSC_11hip_rocprim7__merge17predicate_wrapperIjjNSC_4lessIjEEEEEE10hipError_tPvRmT0_T1_T2_T3_T4_T5_mmT6_P12ihipStream_tbEUlT_E0_NS1_11comp_targetILNS1_3genE3ELNS1_11target_archE908ELNS1_3gpuE7ELNS1_3repE0EEENS1_30default_config_static_selectorELNS0_4arch9wavefront6targetE0EEEvS10_,"axG",@progbits,_ZN7rocprim17ROCPRIM_400000_NS6detail17trampoline_kernelINS0_14default_configENS1_21merge_config_selectorINS0_5tupleIJjjEEENS0_10empty_typeEEEZNS1_10merge_implIS3_NS0_12zip_iteratorINS5_IJN6thrust23THRUST_200600_302600_NS6detail15normal_iteratorINSC_10device_ptrIKjEEEESI_EEEEESK_NSA_INS5_IJNSE_INSF_IjEEEESM_EEEEEPS7_SP_SP_NSC_11hip_rocprim7__merge17predicate_wrapperIjjNSC_4lessIjEEEEEE10hipError_tPvRmT0_T1_T2_T3_T4_T5_mmT6_P12ihipStream_tbEUlT_E0_NS1_11comp_targetILNS1_3genE3ELNS1_11target_archE908ELNS1_3gpuE7ELNS1_3repE0EEENS1_30default_config_static_selectorELNS0_4arch9wavefront6targetE0EEEvS10_,comdat
.Lfunc_end145:
	.size	_ZN7rocprim17ROCPRIM_400000_NS6detail17trampoline_kernelINS0_14default_configENS1_21merge_config_selectorINS0_5tupleIJjjEEENS0_10empty_typeEEEZNS1_10merge_implIS3_NS0_12zip_iteratorINS5_IJN6thrust23THRUST_200600_302600_NS6detail15normal_iteratorINSC_10device_ptrIKjEEEESI_EEEEESK_NSA_INS5_IJNSE_INSF_IjEEEESM_EEEEEPS7_SP_SP_NSC_11hip_rocprim7__merge17predicate_wrapperIjjNSC_4lessIjEEEEEE10hipError_tPvRmT0_T1_T2_T3_T4_T5_mmT6_P12ihipStream_tbEUlT_E0_NS1_11comp_targetILNS1_3genE3ELNS1_11target_archE908ELNS1_3gpuE7ELNS1_3repE0EEENS1_30default_config_static_selectorELNS0_4arch9wavefront6targetE0EEEvS10_, .Lfunc_end145-_ZN7rocprim17ROCPRIM_400000_NS6detail17trampoline_kernelINS0_14default_configENS1_21merge_config_selectorINS0_5tupleIJjjEEENS0_10empty_typeEEEZNS1_10merge_implIS3_NS0_12zip_iteratorINS5_IJN6thrust23THRUST_200600_302600_NS6detail15normal_iteratorINSC_10device_ptrIKjEEEESI_EEEEESK_NSA_INS5_IJNSE_INSF_IjEEEESM_EEEEEPS7_SP_SP_NSC_11hip_rocprim7__merge17predicate_wrapperIjjNSC_4lessIjEEEEEE10hipError_tPvRmT0_T1_T2_T3_T4_T5_mmT6_P12ihipStream_tbEUlT_E0_NS1_11comp_targetILNS1_3genE3ELNS1_11target_archE908ELNS1_3gpuE7ELNS1_3repE0EEENS1_30default_config_static_selectorELNS0_4arch9wavefront6targetE0EEEvS10_
                                        ; -- End function
	.set _ZN7rocprim17ROCPRIM_400000_NS6detail17trampoline_kernelINS0_14default_configENS1_21merge_config_selectorINS0_5tupleIJjjEEENS0_10empty_typeEEEZNS1_10merge_implIS3_NS0_12zip_iteratorINS5_IJN6thrust23THRUST_200600_302600_NS6detail15normal_iteratorINSC_10device_ptrIKjEEEESI_EEEEESK_NSA_INS5_IJNSE_INSF_IjEEEESM_EEEEEPS7_SP_SP_NSC_11hip_rocprim7__merge17predicate_wrapperIjjNSC_4lessIjEEEEEE10hipError_tPvRmT0_T1_T2_T3_T4_T5_mmT6_P12ihipStream_tbEUlT_E0_NS1_11comp_targetILNS1_3genE3ELNS1_11target_archE908ELNS1_3gpuE7ELNS1_3repE0EEENS1_30default_config_static_selectorELNS0_4arch9wavefront6targetE0EEEvS10_.num_vgpr, 0
	.set _ZN7rocprim17ROCPRIM_400000_NS6detail17trampoline_kernelINS0_14default_configENS1_21merge_config_selectorINS0_5tupleIJjjEEENS0_10empty_typeEEEZNS1_10merge_implIS3_NS0_12zip_iteratorINS5_IJN6thrust23THRUST_200600_302600_NS6detail15normal_iteratorINSC_10device_ptrIKjEEEESI_EEEEESK_NSA_INS5_IJNSE_INSF_IjEEEESM_EEEEEPS7_SP_SP_NSC_11hip_rocprim7__merge17predicate_wrapperIjjNSC_4lessIjEEEEEE10hipError_tPvRmT0_T1_T2_T3_T4_T5_mmT6_P12ihipStream_tbEUlT_E0_NS1_11comp_targetILNS1_3genE3ELNS1_11target_archE908ELNS1_3gpuE7ELNS1_3repE0EEENS1_30default_config_static_selectorELNS0_4arch9wavefront6targetE0EEEvS10_.num_agpr, 0
	.set _ZN7rocprim17ROCPRIM_400000_NS6detail17trampoline_kernelINS0_14default_configENS1_21merge_config_selectorINS0_5tupleIJjjEEENS0_10empty_typeEEEZNS1_10merge_implIS3_NS0_12zip_iteratorINS5_IJN6thrust23THRUST_200600_302600_NS6detail15normal_iteratorINSC_10device_ptrIKjEEEESI_EEEEESK_NSA_INS5_IJNSE_INSF_IjEEEESM_EEEEEPS7_SP_SP_NSC_11hip_rocprim7__merge17predicate_wrapperIjjNSC_4lessIjEEEEEE10hipError_tPvRmT0_T1_T2_T3_T4_T5_mmT6_P12ihipStream_tbEUlT_E0_NS1_11comp_targetILNS1_3genE3ELNS1_11target_archE908ELNS1_3gpuE7ELNS1_3repE0EEENS1_30default_config_static_selectorELNS0_4arch9wavefront6targetE0EEEvS10_.numbered_sgpr, 0
	.set _ZN7rocprim17ROCPRIM_400000_NS6detail17trampoline_kernelINS0_14default_configENS1_21merge_config_selectorINS0_5tupleIJjjEEENS0_10empty_typeEEEZNS1_10merge_implIS3_NS0_12zip_iteratorINS5_IJN6thrust23THRUST_200600_302600_NS6detail15normal_iteratorINSC_10device_ptrIKjEEEESI_EEEEESK_NSA_INS5_IJNSE_INSF_IjEEEESM_EEEEEPS7_SP_SP_NSC_11hip_rocprim7__merge17predicate_wrapperIjjNSC_4lessIjEEEEEE10hipError_tPvRmT0_T1_T2_T3_T4_T5_mmT6_P12ihipStream_tbEUlT_E0_NS1_11comp_targetILNS1_3genE3ELNS1_11target_archE908ELNS1_3gpuE7ELNS1_3repE0EEENS1_30default_config_static_selectorELNS0_4arch9wavefront6targetE0EEEvS10_.num_named_barrier, 0
	.set _ZN7rocprim17ROCPRIM_400000_NS6detail17trampoline_kernelINS0_14default_configENS1_21merge_config_selectorINS0_5tupleIJjjEEENS0_10empty_typeEEEZNS1_10merge_implIS3_NS0_12zip_iteratorINS5_IJN6thrust23THRUST_200600_302600_NS6detail15normal_iteratorINSC_10device_ptrIKjEEEESI_EEEEESK_NSA_INS5_IJNSE_INSF_IjEEEESM_EEEEEPS7_SP_SP_NSC_11hip_rocprim7__merge17predicate_wrapperIjjNSC_4lessIjEEEEEE10hipError_tPvRmT0_T1_T2_T3_T4_T5_mmT6_P12ihipStream_tbEUlT_E0_NS1_11comp_targetILNS1_3genE3ELNS1_11target_archE908ELNS1_3gpuE7ELNS1_3repE0EEENS1_30default_config_static_selectorELNS0_4arch9wavefront6targetE0EEEvS10_.private_seg_size, 0
	.set _ZN7rocprim17ROCPRIM_400000_NS6detail17trampoline_kernelINS0_14default_configENS1_21merge_config_selectorINS0_5tupleIJjjEEENS0_10empty_typeEEEZNS1_10merge_implIS3_NS0_12zip_iteratorINS5_IJN6thrust23THRUST_200600_302600_NS6detail15normal_iteratorINSC_10device_ptrIKjEEEESI_EEEEESK_NSA_INS5_IJNSE_INSF_IjEEEESM_EEEEEPS7_SP_SP_NSC_11hip_rocprim7__merge17predicate_wrapperIjjNSC_4lessIjEEEEEE10hipError_tPvRmT0_T1_T2_T3_T4_T5_mmT6_P12ihipStream_tbEUlT_E0_NS1_11comp_targetILNS1_3genE3ELNS1_11target_archE908ELNS1_3gpuE7ELNS1_3repE0EEENS1_30default_config_static_selectorELNS0_4arch9wavefront6targetE0EEEvS10_.uses_vcc, 0
	.set _ZN7rocprim17ROCPRIM_400000_NS6detail17trampoline_kernelINS0_14default_configENS1_21merge_config_selectorINS0_5tupleIJjjEEENS0_10empty_typeEEEZNS1_10merge_implIS3_NS0_12zip_iteratorINS5_IJN6thrust23THRUST_200600_302600_NS6detail15normal_iteratorINSC_10device_ptrIKjEEEESI_EEEEESK_NSA_INS5_IJNSE_INSF_IjEEEESM_EEEEEPS7_SP_SP_NSC_11hip_rocprim7__merge17predicate_wrapperIjjNSC_4lessIjEEEEEE10hipError_tPvRmT0_T1_T2_T3_T4_T5_mmT6_P12ihipStream_tbEUlT_E0_NS1_11comp_targetILNS1_3genE3ELNS1_11target_archE908ELNS1_3gpuE7ELNS1_3repE0EEENS1_30default_config_static_selectorELNS0_4arch9wavefront6targetE0EEEvS10_.uses_flat_scratch, 0
	.set _ZN7rocprim17ROCPRIM_400000_NS6detail17trampoline_kernelINS0_14default_configENS1_21merge_config_selectorINS0_5tupleIJjjEEENS0_10empty_typeEEEZNS1_10merge_implIS3_NS0_12zip_iteratorINS5_IJN6thrust23THRUST_200600_302600_NS6detail15normal_iteratorINSC_10device_ptrIKjEEEESI_EEEEESK_NSA_INS5_IJNSE_INSF_IjEEEESM_EEEEEPS7_SP_SP_NSC_11hip_rocprim7__merge17predicate_wrapperIjjNSC_4lessIjEEEEEE10hipError_tPvRmT0_T1_T2_T3_T4_T5_mmT6_P12ihipStream_tbEUlT_E0_NS1_11comp_targetILNS1_3genE3ELNS1_11target_archE908ELNS1_3gpuE7ELNS1_3repE0EEENS1_30default_config_static_selectorELNS0_4arch9wavefront6targetE0EEEvS10_.has_dyn_sized_stack, 0
	.set _ZN7rocprim17ROCPRIM_400000_NS6detail17trampoline_kernelINS0_14default_configENS1_21merge_config_selectorINS0_5tupleIJjjEEENS0_10empty_typeEEEZNS1_10merge_implIS3_NS0_12zip_iteratorINS5_IJN6thrust23THRUST_200600_302600_NS6detail15normal_iteratorINSC_10device_ptrIKjEEEESI_EEEEESK_NSA_INS5_IJNSE_INSF_IjEEEESM_EEEEEPS7_SP_SP_NSC_11hip_rocprim7__merge17predicate_wrapperIjjNSC_4lessIjEEEEEE10hipError_tPvRmT0_T1_T2_T3_T4_T5_mmT6_P12ihipStream_tbEUlT_E0_NS1_11comp_targetILNS1_3genE3ELNS1_11target_archE908ELNS1_3gpuE7ELNS1_3repE0EEENS1_30default_config_static_selectorELNS0_4arch9wavefront6targetE0EEEvS10_.has_recursion, 0
	.set _ZN7rocprim17ROCPRIM_400000_NS6detail17trampoline_kernelINS0_14default_configENS1_21merge_config_selectorINS0_5tupleIJjjEEENS0_10empty_typeEEEZNS1_10merge_implIS3_NS0_12zip_iteratorINS5_IJN6thrust23THRUST_200600_302600_NS6detail15normal_iteratorINSC_10device_ptrIKjEEEESI_EEEEESK_NSA_INS5_IJNSE_INSF_IjEEEESM_EEEEEPS7_SP_SP_NSC_11hip_rocprim7__merge17predicate_wrapperIjjNSC_4lessIjEEEEEE10hipError_tPvRmT0_T1_T2_T3_T4_T5_mmT6_P12ihipStream_tbEUlT_E0_NS1_11comp_targetILNS1_3genE3ELNS1_11target_archE908ELNS1_3gpuE7ELNS1_3repE0EEENS1_30default_config_static_selectorELNS0_4arch9wavefront6targetE0EEEvS10_.has_indirect_call, 0
	.section	.AMDGPU.csdata,"",@progbits
; Kernel info:
; codeLenInByte = 0
; TotalNumSgprs: 0
; NumVgprs: 0
; ScratchSize: 0
; MemoryBound: 0
; FloatMode: 240
; IeeeMode: 1
; LDSByteSize: 0 bytes/workgroup (compile time only)
; SGPRBlocks: 0
; VGPRBlocks: 0
; NumSGPRsForWavesPerEU: 1
; NumVGPRsForWavesPerEU: 1
; NamedBarCnt: 0
; Occupancy: 16
; WaveLimiterHint : 0
; COMPUTE_PGM_RSRC2:SCRATCH_EN: 0
; COMPUTE_PGM_RSRC2:USER_SGPR: 2
; COMPUTE_PGM_RSRC2:TRAP_HANDLER: 0
; COMPUTE_PGM_RSRC2:TGID_X_EN: 1
; COMPUTE_PGM_RSRC2:TGID_Y_EN: 0
; COMPUTE_PGM_RSRC2:TGID_Z_EN: 0
; COMPUTE_PGM_RSRC2:TIDIG_COMP_CNT: 0
	.section	.text._ZN7rocprim17ROCPRIM_400000_NS6detail17trampoline_kernelINS0_14default_configENS1_21merge_config_selectorINS0_5tupleIJjjEEENS0_10empty_typeEEEZNS1_10merge_implIS3_NS0_12zip_iteratorINS5_IJN6thrust23THRUST_200600_302600_NS6detail15normal_iteratorINSC_10device_ptrIKjEEEESI_EEEEESK_NSA_INS5_IJNSE_INSF_IjEEEESM_EEEEEPS7_SP_SP_NSC_11hip_rocprim7__merge17predicate_wrapperIjjNSC_4lessIjEEEEEE10hipError_tPvRmT0_T1_T2_T3_T4_T5_mmT6_P12ihipStream_tbEUlT_E0_NS1_11comp_targetILNS1_3genE2ELNS1_11target_archE906ELNS1_3gpuE6ELNS1_3repE0EEENS1_30default_config_static_selectorELNS0_4arch9wavefront6targetE0EEEvS10_,"axG",@progbits,_ZN7rocprim17ROCPRIM_400000_NS6detail17trampoline_kernelINS0_14default_configENS1_21merge_config_selectorINS0_5tupleIJjjEEENS0_10empty_typeEEEZNS1_10merge_implIS3_NS0_12zip_iteratorINS5_IJN6thrust23THRUST_200600_302600_NS6detail15normal_iteratorINSC_10device_ptrIKjEEEESI_EEEEESK_NSA_INS5_IJNSE_INSF_IjEEEESM_EEEEEPS7_SP_SP_NSC_11hip_rocprim7__merge17predicate_wrapperIjjNSC_4lessIjEEEEEE10hipError_tPvRmT0_T1_T2_T3_T4_T5_mmT6_P12ihipStream_tbEUlT_E0_NS1_11comp_targetILNS1_3genE2ELNS1_11target_archE906ELNS1_3gpuE6ELNS1_3repE0EEENS1_30default_config_static_selectorELNS0_4arch9wavefront6targetE0EEEvS10_,comdat
	.protected	_ZN7rocprim17ROCPRIM_400000_NS6detail17trampoline_kernelINS0_14default_configENS1_21merge_config_selectorINS0_5tupleIJjjEEENS0_10empty_typeEEEZNS1_10merge_implIS3_NS0_12zip_iteratorINS5_IJN6thrust23THRUST_200600_302600_NS6detail15normal_iteratorINSC_10device_ptrIKjEEEESI_EEEEESK_NSA_INS5_IJNSE_INSF_IjEEEESM_EEEEEPS7_SP_SP_NSC_11hip_rocprim7__merge17predicate_wrapperIjjNSC_4lessIjEEEEEE10hipError_tPvRmT0_T1_T2_T3_T4_T5_mmT6_P12ihipStream_tbEUlT_E0_NS1_11comp_targetILNS1_3genE2ELNS1_11target_archE906ELNS1_3gpuE6ELNS1_3repE0EEENS1_30default_config_static_selectorELNS0_4arch9wavefront6targetE0EEEvS10_ ; -- Begin function _ZN7rocprim17ROCPRIM_400000_NS6detail17trampoline_kernelINS0_14default_configENS1_21merge_config_selectorINS0_5tupleIJjjEEENS0_10empty_typeEEEZNS1_10merge_implIS3_NS0_12zip_iteratorINS5_IJN6thrust23THRUST_200600_302600_NS6detail15normal_iteratorINSC_10device_ptrIKjEEEESI_EEEEESK_NSA_INS5_IJNSE_INSF_IjEEEESM_EEEEEPS7_SP_SP_NSC_11hip_rocprim7__merge17predicate_wrapperIjjNSC_4lessIjEEEEEE10hipError_tPvRmT0_T1_T2_T3_T4_T5_mmT6_P12ihipStream_tbEUlT_E0_NS1_11comp_targetILNS1_3genE2ELNS1_11target_archE906ELNS1_3gpuE6ELNS1_3repE0EEENS1_30default_config_static_selectorELNS0_4arch9wavefront6targetE0EEEvS10_
	.globl	_ZN7rocprim17ROCPRIM_400000_NS6detail17trampoline_kernelINS0_14default_configENS1_21merge_config_selectorINS0_5tupleIJjjEEENS0_10empty_typeEEEZNS1_10merge_implIS3_NS0_12zip_iteratorINS5_IJN6thrust23THRUST_200600_302600_NS6detail15normal_iteratorINSC_10device_ptrIKjEEEESI_EEEEESK_NSA_INS5_IJNSE_INSF_IjEEEESM_EEEEEPS7_SP_SP_NSC_11hip_rocprim7__merge17predicate_wrapperIjjNSC_4lessIjEEEEEE10hipError_tPvRmT0_T1_T2_T3_T4_T5_mmT6_P12ihipStream_tbEUlT_E0_NS1_11comp_targetILNS1_3genE2ELNS1_11target_archE906ELNS1_3gpuE6ELNS1_3repE0EEENS1_30default_config_static_selectorELNS0_4arch9wavefront6targetE0EEEvS10_
	.p2align	8
	.type	_ZN7rocprim17ROCPRIM_400000_NS6detail17trampoline_kernelINS0_14default_configENS1_21merge_config_selectorINS0_5tupleIJjjEEENS0_10empty_typeEEEZNS1_10merge_implIS3_NS0_12zip_iteratorINS5_IJN6thrust23THRUST_200600_302600_NS6detail15normal_iteratorINSC_10device_ptrIKjEEEESI_EEEEESK_NSA_INS5_IJNSE_INSF_IjEEEESM_EEEEEPS7_SP_SP_NSC_11hip_rocprim7__merge17predicate_wrapperIjjNSC_4lessIjEEEEEE10hipError_tPvRmT0_T1_T2_T3_T4_T5_mmT6_P12ihipStream_tbEUlT_E0_NS1_11comp_targetILNS1_3genE2ELNS1_11target_archE906ELNS1_3gpuE6ELNS1_3repE0EEENS1_30default_config_static_selectorELNS0_4arch9wavefront6targetE0EEEvS10_,@function
_ZN7rocprim17ROCPRIM_400000_NS6detail17trampoline_kernelINS0_14default_configENS1_21merge_config_selectorINS0_5tupleIJjjEEENS0_10empty_typeEEEZNS1_10merge_implIS3_NS0_12zip_iteratorINS5_IJN6thrust23THRUST_200600_302600_NS6detail15normal_iteratorINSC_10device_ptrIKjEEEESI_EEEEESK_NSA_INS5_IJNSE_INSF_IjEEEESM_EEEEEPS7_SP_SP_NSC_11hip_rocprim7__merge17predicate_wrapperIjjNSC_4lessIjEEEEEE10hipError_tPvRmT0_T1_T2_T3_T4_T5_mmT6_P12ihipStream_tbEUlT_E0_NS1_11comp_targetILNS1_3genE2ELNS1_11target_archE906ELNS1_3gpuE6ELNS1_3repE0EEENS1_30default_config_static_selectorELNS0_4arch9wavefront6targetE0EEEvS10_: ; @_ZN7rocprim17ROCPRIM_400000_NS6detail17trampoline_kernelINS0_14default_configENS1_21merge_config_selectorINS0_5tupleIJjjEEENS0_10empty_typeEEEZNS1_10merge_implIS3_NS0_12zip_iteratorINS5_IJN6thrust23THRUST_200600_302600_NS6detail15normal_iteratorINSC_10device_ptrIKjEEEESI_EEEEESK_NSA_INS5_IJNSE_INSF_IjEEEESM_EEEEEPS7_SP_SP_NSC_11hip_rocprim7__merge17predicate_wrapperIjjNSC_4lessIjEEEEEE10hipError_tPvRmT0_T1_T2_T3_T4_T5_mmT6_P12ihipStream_tbEUlT_E0_NS1_11comp_targetILNS1_3genE2ELNS1_11target_archE906ELNS1_3gpuE6ELNS1_3repE0EEENS1_30default_config_static_selectorELNS0_4arch9wavefront6targetE0EEEvS10_
; %bb.0:
	.section	.rodata,"a",@progbits
	.p2align	6, 0x0
	.amdhsa_kernel _ZN7rocprim17ROCPRIM_400000_NS6detail17trampoline_kernelINS0_14default_configENS1_21merge_config_selectorINS0_5tupleIJjjEEENS0_10empty_typeEEEZNS1_10merge_implIS3_NS0_12zip_iteratorINS5_IJN6thrust23THRUST_200600_302600_NS6detail15normal_iteratorINSC_10device_ptrIKjEEEESI_EEEEESK_NSA_INS5_IJNSE_INSF_IjEEEESM_EEEEEPS7_SP_SP_NSC_11hip_rocprim7__merge17predicate_wrapperIjjNSC_4lessIjEEEEEE10hipError_tPvRmT0_T1_T2_T3_T4_T5_mmT6_P12ihipStream_tbEUlT_E0_NS1_11comp_targetILNS1_3genE2ELNS1_11target_archE906ELNS1_3gpuE6ELNS1_3repE0EEENS1_30default_config_static_selectorELNS0_4arch9wavefront6targetE0EEEvS10_
		.amdhsa_group_segment_fixed_size 0
		.amdhsa_private_segment_fixed_size 0
		.amdhsa_kernarg_size 112
		.amdhsa_user_sgpr_count 2
		.amdhsa_user_sgpr_dispatch_ptr 0
		.amdhsa_user_sgpr_queue_ptr 0
		.amdhsa_user_sgpr_kernarg_segment_ptr 1
		.amdhsa_user_sgpr_dispatch_id 0
		.amdhsa_user_sgpr_kernarg_preload_length 0
		.amdhsa_user_sgpr_kernarg_preload_offset 0
		.amdhsa_user_sgpr_private_segment_size 0
		.amdhsa_wavefront_size32 1
		.amdhsa_uses_dynamic_stack 0
		.amdhsa_enable_private_segment 0
		.amdhsa_system_sgpr_workgroup_id_x 1
		.amdhsa_system_sgpr_workgroup_id_y 0
		.amdhsa_system_sgpr_workgroup_id_z 0
		.amdhsa_system_sgpr_workgroup_info 0
		.amdhsa_system_vgpr_workitem_id 0
		.amdhsa_next_free_vgpr 1
		.amdhsa_next_free_sgpr 1
		.amdhsa_named_barrier_count 0
		.amdhsa_reserve_vcc 0
		.amdhsa_float_round_mode_32 0
		.amdhsa_float_round_mode_16_64 0
		.amdhsa_float_denorm_mode_32 3
		.amdhsa_float_denorm_mode_16_64 3
		.amdhsa_fp16_overflow 0
		.amdhsa_memory_ordered 1
		.amdhsa_forward_progress 1
		.amdhsa_inst_pref_size 0
		.amdhsa_round_robin_scheduling 0
		.amdhsa_exception_fp_ieee_invalid_op 0
		.amdhsa_exception_fp_denorm_src 0
		.amdhsa_exception_fp_ieee_div_zero 0
		.amdhsa_exception_fp_ieee_overflow 0
		.amdhsa_exception_fp_ieee_underflow 0
		.amdhsa_exception_fp_ieee_inexact 0
		.amdhsa_exception_int_div_zero 0
	.end_amdhsa_kernel
	.section	.text._ZN7rocprim17ROCPRIM_400000_NS6detail17trampoline_kernelINS0_14default_configENS1_21merge_config_selectorINS0_5tupleIJjjEEENS0_10empty_typeEEEZNS1_10merge_implIS3_NS0_12zip_iteratorINS5_IJN6thrust23THRUST_200600_302600_NS6detail15normal_iteratorINSC_10device_ptrIKjEEEESI_EEEEESK_NSA_INS5_IJNSE_INSF_IjEEEESM_EEEEEPS7_SP_SP_NSC_11hip_rocprim7__merge17predicate_wrapperIjjNSC_4lessIjEEEEEE10hipError_tPvRmT0_T1_T2_T3_T4_T5_mmT6_P12ihipStream_tbEUlT_E0_NS1_11comp_targetILNS1_3genE2ELNS1_11target_archE906ELNS1_3gpuE6ELNS1_3repE0EEENS1_30default_config_static_selectorELNS0_4arch9wavefront6targetE0EEEvS10_,"axG",@progbits,_ZN7rocprim17ROCPRIM_400000_NS6detail17trampoline_kernelINS0_14default_configENS1_21merge_config_selectorINS0_5tupleIJjjEEENS0_10empty_typeEEEZNS1_10merge_implIS3_NS0_12zip_iteratorINS5_IJN6thrust23THRUST_200600_302600_NS6detail15normal_iteratorINSC_10device_ptrIKjEEEESI_EEEEESK_NSA_INS5_IJNSE_INSF_IjEEEESM_EEEEEPS7_SP_SP_NSC_11hip_rocprim7__merge17predicate_wrapperIjjNSC_4lessIjEEEEEE10hipError_tPvRmT0_T1_T2_T3_T4_T5_mmT6_P12ihipStream_tbEUlT_E0_NS1_11comp_targetILNS1_3genE2ELNS1_11target_archE906ELNS1_3gpuE6ELNS1_3repE0EEENS1_30default_config_static_selectorELNS0_4arch9wavefront6targetE0EEEvS10_,comdat
.Lfunc_end146:
	.size	_ZN7rocprim17ROCPRIM_400000_NS6detail17trampoline_kernelINS0_14default_configENS1_21merge_config_selectorINS0_5tupleIJjjEEENS0_10empty_typeEEEZNS1_10merge_implIS3_NS0_12zip_iteratorINS5_IJN6thrust23THRUST_200600_302600_NS6detail15normal_iteratorINSC_10device_ptrIKjEEEESI_EEEEESK_NSA_INS5_IJNSE_INSF_IjEEEESM_EEEEEPS7_SP_SP_NSC_11hip_rocprim7__merge17predicate_wrapperIjjNSC_4lessIjEEEEEE10hipError_tPvRmT0_T1_T2_T3_T4_T5_mmT6_P12ihipStream_tbEUlT_E0_NS1_11comp_targetILNS1_3genE2ELNS1_11target_archE906ELNS1_3gpuE6ELNS1_3repE0EEENS1_30default_config_static_selectorELNS0_4arch9wavefront6targetE0EEEvS10_, .Lfunc_end146-_ZN7rocprim17ROCPRIM_400000_NS6detail17trampoline_kernelINS0_14default_configENS1_21merge_config_selectorINS0_5tupleIJjjEEENS0_10empty_typeEEEZNS1_10merge_implIS3_NS0_12zip_iteratorINS5_IJN6thrust23THRUST_200600_302600_NS6detail15normal_iteratorINSC_10device_ptrIKjEEEESI_EEEEESK_NSA_INS5_IJNSE_INSF_IjEEEESM_EEEEEPS7_SP_SP_NSC_11hip_rocprim7__merge17predicate_wrapperIjjNSC_4lessIjEEEEEE10hipError_tPvRmT0_T1_T2_T3_T4_T5_mmT6_P12ihipStream_tbEUlT_E0_NS1_11comp_targetILNS1_3genE2ELNS1_11target_archE906ELNS1_3gpuE6ELNS1_3repE0EEENS1_30default_config_static_selectorELNS0_4arch9wavefront6targetE0EEEvS10_
                                        ; -- End function
	.set _ZN7rocprim17ROCPRIM_400000_NS6detail17trampoline_kernelINS0_14default_configENS1_21merge_config_selectorINS0_5tupleIJjjEEENS0_10empty_typeEEEZNS1_10merge_implIS3_NS0_12zip_iteratorINS5_IJN6thrust23THRUST_200600_302600_NS6detail15normal_iteratorINSC_10device_ptrIKjEEEESI_EEEEESK_NSA_INS5_IJNSE_INSF_IjEEEESM_EEEEEPS7_SP_SP_NSC_11hip_rocprim7__merge17predicate_wrapperIjjNSC_4lessIjEEEEEE10hipError_tPvRmT0_T1_T2_T3_T4_T5_mmT6_P12ihipStream_tbEUlT_E0_NS1_11comp_targetILNS1_3genE2ELNS1_11target_archE906ELNS1_3gpuE6ELNS1_3repE0EEENS1_30default_config_static_selectorELNS0_4arch9wavefront6targetE0EEEvS10_.num_vgpr, 0
	.set _ZN7rocprim17ROCPRIM_400000_NS6detail17trampoline_kernelINS0_14default_configENS1_21merge_config_selectorINS0_5tupleIJjjEEENS0_10empty_typeEEEZNS1_10merge_implIS3_NS0_12zip_iteratorINS5_IJN6thrust23THRUST_200600_302600_NS6detail15normal_iteratorINSC_10device_ptrIKjEEEESI_EEEEESK_NSA_INS5_IJNSE_INSF_IjEEEESM_EEEEEPS7_SP_SP_NSC_11hip_rocprim7__merge17predicate_wrapperIjjNSC_4lessIjEEEEEE10hipError_tPvRmT0_T1_T2_T3_T4_T5_mmT6_P12ihipStream_tbEUlT_E0_NS1_11comp_targetILNS1_3genE2ELNS1_11target_archE906ELNS1_3gpuE6ELNS1_3repE0EEENS1_30default_config_static_selectorELNS0_4arch9wavefront6targetE0EEEvS10_.num_agpr, 0
	.set _ZN7rocprim17ROCPRIM_400000_NS6detail17trampoline_kernelINS0_14default_configENS1_21merge_config_selectorINS0_5tupleIJjjEEENS0_10empty_typeEEEZNS1_10merge_implIS3_NS0_12zip_iteratorINS5_IJN6thrust23THRUST_200600_302600_NS6detail15normal_iteratorINSC_10device_ptrIKjEEEESI_EEEEESK_NSA_INS5_IJNSE_INSF_IjEEEESM_EEEEEPS7_SP_SP_NSC_11hip_rocprim7__merge17predicate_wrapperIjjNSC_4lessIjEEEEEE10hipError_tPvRmT0_T1_T2_T3_T4_T5_mmT6_P12ihipStream_tbEUlT_E0_NS1_11comp_targetILNS1_3genE2ELNS1_11target_archE906ELNS1_3gpuE6ELNS1_3repE0EEENS1_30default_config_static_selectorELNS0_4arch9wavefront6targetE0EEEvS10_.numbered_sgpr, 0
	.set _ZN7rocprim17ROCPRIM_400000_NS6detail17trampoline_kernelINS0_14default_configENS1_21merge_config_selectorINS0_5tupleIJjjEEENS0_10empty_typeEEEZNS1_10merge_implIS3_NS0_12zip_iteratorINS5_IJN6thrust23THRUST_200600_302600_NS6detail15normal_iteratorINSC_10device_ptrIKjEEEESI_EEEEESK_NSA_INS5_IJNSE_INSF_IjEEEESM_EEEEEPS7_SP_SP_NSC_11hip_rocprim7__merge17predicate_wrapperIjjNSC_4lessIjEEEEEE10hipError_tPvRmT0_T1_T2_T3_T4_T5_mmT6_P12ihipStream_tbEUlT_E0_NS1_11comp_targetILNS1_3genE2ELNS1_11target_archE906ELNS1_3gpuE6ELNS1_3repE0EEENS1_30default_config_static_selectorELNS0_4arch9wavefront6targetE0EEEvS10_.num_named_barrier, 0
	.set _ZN7rocprim17ROCPRIM_400000_NS6detail17trampoline_kernelINS0_14default_configENS1_21merge_config_selectorINS0_5tupleIJjjEEENS0_10empty_typeEEEZNS1_10merge_implIS3_NS0_12zip_iteratorINS5_IJN6thrust23THRUST_200600_302600_NS6detail15normal_iteratorINSC_10device_ptrIKjEEEESI_EEEEESK_NSA_INS5_IJNSE_INSF_IjEEEESM_EEEEEPS7_SP_SP_NSC_11hip_rocprim7__merge17predicate_wrapperIjjNSC_4lessIjEEEEEE10hipError_tPvRmT0_T1_T2_T3_T4_T5_mmT6_P12ihipStream_tbEUlT_E0_NS1_11comp_targetILNS1_3genE2ELNS1_11target_archE906ELNS1_3gpuE6ELNS1_3repE0EEENS1_30default_config_static_selectorELNS0_4arch9wavefront6targetE0EEEvS10_.private_seg_size, 0
	.set _ZN7rocprim17ROCPRIM_400000_NS6detail17trampoline_kernelINS0_14default_configENS1_21merge_config_selectorINS0_5tupleIJjjEEENS0_10empty_typeEEEZNS1_10merge_implIS3_NS0_12zip_iteratorINS5_IJN6thrust23THRUST_200600_302600_NS6detail15normal_iteratorINSC_10device_ptrIKjEEEESI_EEEEESK_NSA_INS5_IJNSE_INSF_IjEEEESM_EEEEEPS7_SP_SP_NSC_11hip_rocprim7__merge17predicate_wrapperIjjNSC_4lessIjEEEEEE10hipError_tPvRmT0_T1_T2_T3_T4_T5_mmT6_P12ihipStream_tbEUlT_E0_NS1_11comp_targetILNS1_3genE2ELNS1_11target_archE906ELNS1_3gpuE6ELNS1_3repE0EEENS1_30default_config_static_selectorELNS0_4arch9wavefront6targetE0EEEvS10_.uses_vcc, 0
	.set _ZN7rocprim17ROCPRIM_400000_NS6detail17trampoline_kernelINS0_14default_configENS1_21merge_config_selectorINS0_5tupleIJjjEEENS0_10empty_typeEEEZNS1_10merge_implIS3_NS0_12zip_iteratorINS5_IJN6thrust23THRUST_200600_302600_NS6detail15normal_iteratorINSC_10device_ptrIKjEEEESI_EEEEESK_NSA_INS5_IJNSE_INSF_IjEEEESM_EEEEEPS7_SP_SP_NSC_11hip_rocprim7__merge17predicate_wrapperIjjNSC_4lessIjEEEEEE10hipError_tPvRmT0_T1_T2_T3_T4_T5_mmT6_P12ihipStream_tbEUlT_E0_NS1_11comp_targetILNS1_3genE2ELNS1_11target_archE906ELNS1_3gpuE6ELNS1_3repE0EEENS1_30default_config_static_selectorELNS0_4arch9wavefront6targetE0EEEvS10_.uses_flat_scratch, 0
	.set _ZN7rocprim17ROCPRIM_400000_NS6detail17trampoline_kernelINS0_14default_configENS1_21merge_config_selectorINS0_5tupleIJjjEEENS0_10empty_typeEEEZNS1_10merge_implIS3_NS0_12zip_iteratorINS5_IJN6thrust23THRUST_200600_302600_NS6detail15normal_iteratorINSC_10device_ptrIKjEEEESI_EEEEESK_NSA_INS5_IJNSE_INSF_IjEEEESM_EEEEEPS7_SP_SP_NSC_11hip_rocprim7__merge17predicate_wrapperIjjNSC_4lessIjEEEEEE10hipError_tPvRmT0_T1_T2_T3_T4_T5_mmT6_P12ihipStream_tbEUlT_E0_NS1_11comp_targetILNS1_3genE2ELNS1_11target_archE906ELNS1_3gpuE6ELNS1_3repE0EEENS1_30default_config_static_selectorELNS0_4arch9wavefront6targetE0EEEvS10_.has_dyn_sized_stack, 0
	.set _ZN7rocprim17ROCPRIM_400000_NS6detail17trampoline_kernelINS0_14default_configENS1_21merge_config_selectorINS0_5tupleIJjjEEENS0_10empty_typeEEEZNS1_10merge_implIS3_NS0_12zip_iteratorINS5_IJN6thrust23THRUST_200600_302600_NS6detail15normal_iteratorINSC_10device_ptrIKjEEEESI_EEEEESK_NSA_INS5_IJNSE_INSF_IjEEEESM_EEEEEPS7_SP_SP_NSC_11hip_rocprim7__merge17predicate_wrapperIjjNSC_4lessIjEEEEEE10hipError_tPvRmT0_T1_T2_T3_T4_T5_mmT6_P12ihipStream_tbEUlT_E0_NS1_11comp_targetILNS1_3genE2ELNS1_11target_archE906ELNS1_3gpuE6ELNS1_3repE0EEENS1_30default_config_static_selectorELNS0_4arch9wavefront6targetE0EEEvS10_.has_recursion, 0
	.set _ZN7rocprim17ROCPRIM_400000_NS6detail17trampoline_kernelINS0_14default_configENS1_21merge_config_selectorINS0_5tupleIJjjEEENS0_10empty_typeEEEZNS1_10merge_implIS3_NS0_12zip_iteratorINS5_IJN6thrust23THRUST_200600_302600_NS6detail15normal_iteratorINSC_10device_ptrIKjEEEESI_EEEEESK_NSA_INS5_IJNSE_INSF_IjEEEESM_EEEEEPS7_SP_SP_NSC_11hip_rocprim7__merge17predicate_wrapperIjjNSC_4lessIjEEEEEE10hipError_tPvRmT0_T1_T2_T3_T4_T5_mmT6_P12ihipStream_tbEUlT_E0_NS1_11comp_targetILNS1_3genE2ELNS1_11target_archE906ELNS1_3gpuE6ELNS1_3repE0EEENS1_30default_config_static_selectorELNS0_4arch9wavefront6targetE0EEEvS10_.has_indirect_call, 0
	.section	.AMDGPU.csdata,"",@progbits
; Kernel info:
; codeLenInByte = 0
; TotalNumSgprs: 0
; NumVgprs: 0
; ScratchSize: 0
; MemoryBound: 0
; FloatMode: 240
; IeeeMode: 1
; LDSByteSize: 0 bytes/workgroup (compile time only)
; SGPRBlocks: 0
; VGPRBlocks: 0
; NumSGPRsForWavesPerEU: 1
; NumVGPRsForWavesPerEU: 1
; NamedBarCnt: 0
; Occupancy: 16
; WaveLimiterHint : 0
; COMPUTE_PGM_RSRC2:SCRATCH_EN: 0
; COMPUTE_PGM_RSRC2:USER_SGPR: 2
; COMPUTE_PGM_RSRC2:TRAP_HANDLER: 0
; COMPUTE_PGM_RSRC2:TGID_X_EN: 1
; COMPUTE_PGM_RSRC2:TGID_Y_EN: 0
; COMPUTE_PGM_RSRC2:TGID_Z_EN: 0
; COMPUTE_PGM_RSRC2:TIDIG_COMP_CNT: 0
	.section	.text._ZN7rocprim17ROCPRIM_400000_NS6detail17trampoline_kernelINS0_14default_configENS1_21merge_config_selectorINS0_5tupleIJjjEEENS0_10empty_typeEEEZNS1_10merge_implIS3_NS0_12zip_iteratorINS5_IJN6thrust23THRUST_200600_302600_NS6detail15normal_iteratorINSC_10device_ptrIKjEEEESI_EEEEESK_NSA_INS5_IJNSE_INSF_IjEEEESM_EEEEEPS7_SP_SP_NSC_11hip_rocprim7__merge17predicate_wrapperIjjNSC_4lessIjEEEEEE10hipError_tPvRmT0_T1_T2_T3_T4_T5_mmT6_P12ihipStream_tbEUlT_E0_NS1_11comp_targetILNS1_3genE10ELNS1_11target_archE1201ELNS1_3gpuE5ELNS1_3repE0EEENS1_30default_config_static_selectorELNS0_4arch9wavefront6targetE0EEEvS10_,"axG",@progbits,_ZN7rocprim17ROCPRIM_400000_NS6detail17trampoline_kernelINS0_14default_configENS1_21merge_config_selectorINS0_5tupleIJjjEEENS0_10empty_typeEEEZNS1_10merge_implIS3_NS0_12zip_iteratorINS5_IJN6thrust23THRUST_200600_302600_NS6detail15normal_iteratorINSC_10device_ptrIKjEEEESI_EEEEESK_NSA_INS5_IJNSE_INSF_IjEEEESM_EEEEEPS7_SP_SP_NSC_11hip_rocprim7__merge17predicate_wrapperIjjNSC_4lessIjEEEEEE10hipError_tPvRmT0_T1_T2_T3_T4_T5_mmT6_P12ihipStream_tbEUlT_E0_NS1_11comp_targetILNS1_3genE10ELNS1_11target_archE1201ELNS1_3gpuE5ELNS1_3repE0EEENS1_30default_config_static_selectorELNS0_4arch9wavefront6targetE0EEEvS10_,comdat
	.protected	_ZN7rocprim17ROCPRIM_400000_NS6detail17trampoline_kernelINS0_14default_configENS1_21merge_config_selectorINS0_5tupleIJjjEEENS0_10empty_typeEEEZNS1_10merge_implIS3_NS0_12zip_iteratorINS5_IJN6thrust23THRUST_200600_302600_NS6detail15normal_iteratorINSC_10device_ptrIKjEEEESI_EEEEESK_NSA_INS5_IJNSE_INSF_IjEEEESM_EEEEEPS7_SP_SP_NSC_11hip_rocprim7__merge17predicate_wrapperIjjNSC_4lessIjEEEEEE10hipError_tPvRmT0_T1_T2_T3_T4_T5_mmT6_P12ihipStream_tbEUlT_E0_NS1_11comp_targetILNS1_3genE10ELNS1_11target_archE1201ELNS1_3gpuE5ELNS1_3repE0EEENS1_30default_config_static_selectorELNS0_4arch9wavefront6targetE0EEEvS10_ ; -- Begin function _ZN7rocprim17ROCPRIM_400000_NS6detail17trampoline_kernelINS0_14default_configENS1_21merge_config_selectorINS0_5tupleIJjjEEENS0_10empty_typeEEEZNS1_10merge_implIS3_NS0_12zip_iteratorINS5_IJN6thrust23THRUST_200600_302600_NS6detail15normal_iteratorINSC_10device_ptrIKjEEEESI_EEEEESK_NSA_INS5_IJNSE_INSF_IjEEEESM_EEEEEPS7_SP_SP_NSC_11hip_rocprim7__merge17predicate_wrapperIjjNSC_4lessIjEEEEEE10hipError_tPvRmT0_T1_T2_T3_T4_T5_mmT6_P12ihipStream_tbEUlT_E0_NS1_11comp_targetILNS1_3genE10ELNS1_11target_archE1201ELNS1_3gpuE5ELNS1_3repE0EEENS1_30default_config_static_selectorELNS0_4arch9wavefront6targetE0EEEvS10_
	.globl	_ZN7rocprim17ROCPRIM_400000_NS6detail17trampoline_kernelINS0_14default_configENS1_21merge_config_selectorINS0_5tupleIJjjEEENS0_10empty_typeEEEZNS1_10merge_implIS3_NS0_12zip_iteratorINS5_IJN6thrust23THRUST_200600_302600_NS6detail15normal_iteratorINSC_10device_ptrIKjEEEESI_EEEEESK_NSA_INS5_IJNSE_INSF_IjEEEESM_EEEEEPS7_SP_SP_NSC_11hip_rocprim7__merge17predicate_wrapperIjjNSC_4lessIjEEEEEE10hipError_tPvRmT0_T1_T2_T3_T4_T5_mmT6_P12ihipStream_tbEUlT_E0_NS1_11comp_targetILNS1_3genE10ELNS1_11target_archE1201ELNS1_3gpuE5ELNS1_3repE0EEENS1_30default_config_static_selectorELNS0_4arch9wavefront6targetE0EEEvS10_
	.p2align	8
	.type	_ZN7rocprim17ROCPRIM_400000_NS6detail17trampoline_kernelINS0_14default_configENS1_21merge_config_selectorINS0_5tupleIJjjEEENS0_10empty_typeEEEZNS1_10merge_implIS3_NS0_12zip_iteratorINS5_IJN6thrust23THRUST_200600_302600_NS6detail15normal_iteratorINSC_10device_ptrIKjEEEESI_EEEEESK_NSA_INS5_IJNSE_INSF_IjEEEESM_EEEEEPS7_SP_SP_NSC_11hip_rocprim7__merge17predicate_wrapperIjjNSC_4lessIjEEEEEE10hipError_tPvRmT0_T1_T2_T3_T4_T5_mmT6_P12ihipStream_tbEUlT_E0_NS1_11comp_targetILNS1_3genE10ELNS1_11target_archE1201ELNS1_3gpuE5ELNS1_3repE0EEENS1_30default_config_static_selectorELNS0_4arch9wavefront6targetE0EEEvS10_,@function
_ZN7rocprim17ROCPRIM_400000_NS6detail17trampoline_kernelINS0_14default_configENS1_21merge_config_selectorINS0_5tupleIJjjEEENS0_10empty_typeEEEZNS1_10merge_implIS3_NS0_12zip_iteratorINS5_IJN6thrust23THRUST_200600_302600_NS6detail15normal_iteratorINSC_10device_ptrIKjEEEESI_EEEEESK_NSA_INS5_IJNSE_INSF_IjEEEESM_EEEEEPS7_SP_SP_NSC_11hip_rocprim7__merge17predicate_wrapperIjjNSC_4lessIjEEEEEE10hipError_tPvRmT0_T1_T2_T3_T4_T5_mmT6_P12ihipStream_tbEUlT_E0_NS1_11comp_targetILNS1_3genE10ELNS1_11target_archE1201ELNS1_3gpuE5ELNS1_3repE0EEENS1_30default_config_static_selectorELNS0_4arch9wavefront6targetE0EEEvS10_: ; @_ZN7rocprim17ROCPRIM_400000_NS6detail17trampoline_kernelINS0_14default_configENS1_21merge_config_selectorINS0_5tupleIJjjEEENS0_10empty_typeEEEZNS1_10merge_implIS3_NS0_12zip_iteratorINS5_IJN6thrust23THRUST_200600_302600_NS6detail15normal_iteratorINSC_10device_ptrIKjEEEESI_EEEEESK_NSA_INS5_IJNSE_INSF_IjEEEESM_EEEEEPS7_SP_SP_NSC_11hip_rocprim7__merge17predicate_wrapperIjjNSC_4lessIjEEEEEE10hipError_tPvRmT0_T1_T2_T3_T4_T5_mmT6_P12ihipStream_tbEUlT_E0_NS1_11comp_targetILNS1_3genE10ELNS1_11target_archE1201ELNS1_3gpuE5ELNS1_3repE0EEENS1_30default_config_static_selectorELNS0_4arch9wavefront6targetE0EEEvS10_
; %bb.0:
	.section	.rodata,"a",@progbits
	.p2align	6, 0x0
	.amdhsa_kernel _ZN7rocprim17ROCPRIM_400000_NS6detail17trampoline_kernelINS0_14default_configENS1_21merge_config_selectorINS0_5tupleIJjjEEENS0_10empty_typeEEEZNS1_10merge_implIS3_NS0_12zip_iteratorINS5_IJN6thrust23THRUST_200600_302600_NS6detail15normal_iteratorINSC_10device_ptrIKjEEEESI_EEEEESK_NSA_INS5_IJNSE_INSF_IjEEEESM_EEEEEPS7_SP_SP_NSC_11hip_rocprim7__merge17predicate_wrapperIjjNSC_4lessIjEEEEEE10hipError_tPvRmT0_T1_T2_T3_T4_T5_mmT6_P12ihipStream_tbEUlT_E0_NS1_11comp_targetILNS1_3genE10ELNS1_11target_archE1201ELNS1_3gpuE5ELNS1_3repE0EEENS1_30default_config_static_selectorELNS0_4arch9wavefront6targetE0EEEvS10_
		.amdhsa_group_segment_fixed_size 0
		.amdhsa_private_segment_fixed_size 0
		.amdhsa_kernarg_size 112
		.amdhsa_user_sgpr_count 2
		.amdhsa_user_sgpr_dispatch_ptr 0
		.amdhsa_user_sgpr_queue_ptr 0
		.amdhsa_user_sgpr_kernarg_segment_ptr 1
		.amdhsa_user_sgpr_dispatch_id 0
		.amdhsa_user_sgpr_kernarg_preload_length 0
		.amdhsa_user_sgpr_kernarg_preload_offset 0
		.amdhsa_user_sgpr_private_segment_size 0
		.amdhsa_wavefront_size32 1
		.amdhsa_uses_dynamic_stack 0
		.amdhsa_enable_private_segment 0
		.amdhsa_system_sgpr_workgroup_id_x 1
		.amdhsa_system_sgpr_workgroup_id_y 0
		.amdhsa_system_sgpr_workgroup_id_z 0
		.amdhsa_system_sgpr_workgroup_info 0
		.amdhsa_system_vgpr_workitem_id 0
		.amdhsa_next_free_vgpr 1
		.amdhsa_next_free_sgpr 1
		.amdhsa_named_barrier_count 0
		.amdhsa_reserve_vcc 0
		.amdhsa_float_round_mode_32 0
		.amdhsa_float_round_mode_16_64 0
		.amdhsa_float_denorm_mode_32 3
		.amdhsa_float_denorm_mode_16_64 3
		.amdhsa_fp16_overflow 0
		.amdhsa_memory_ordered 1
		.amdhsa_forward_progress 1
		.amdhsa_inst_pref_size 0
		.amdhsa_round_robin_scheduling 0
		.amdhsa_exception_fp_ieee_invalid_op 0
		.amdhsa_exception_fp_denorm_src 0
		.amdhsa_exception_fp_ieee_div_zero 0
		.amdhsa_exception_fp_ieee_overflow 0
		.amdhsa_exception_fp_ieee_underflow 0
		.amdhsa_exception_fp_ieee_inexact 0
		.amdhsa_exception_int_div_zero 0
	.end_amdhsa_kernel
	.section	.text._ZN7rocprim17ROCPRIM_400000_NS6detail17trampoline_kernelINS0_14default_configENS1_21merge_config_selectorINS0_5tupleIJjjEEENS0_10empty_typeEEEZNS1_10merge_implIS3_NS0_12zip_iteratorINS5_IJN6thrust23THRUST_200600_302600_NS6detail15normal_iteratorINSC_10device_ptrIKjEEEESI_EEEEESK_NSA_INS5_IJNSE_INSF_IjEEEESM_EEEEEPS7_SP_SP_NSC_11hip_rocprim7__merge17predicate_wrapperIjjNSC_4lessIjEEEEEE10hipError_tPvRmT0_T1_T2_T3_T4_T5_mmT6_P12ihipStream_tbEUlT_E0_NS1_11comp_targetILNS1_3genE10ELNS1_11target_archE1201ELNS1_3gpuE5ELNS1_3repE0EEENS1_30default_config_static_selectorELNS0_4arch9wavefront6targetE0EEEvS10_,"axG",@progbits,_ZN7rocprim17ROCPRIM_400000_NS6detail17trampoline_kernelINS0_14default_configENS1_21merge_config_selectorINS0_5tupleIJjjEEENS0_10empty_typeEEEZNS1_10merge_implIS3_NS0_12zip_iteratorINS5_IJN6thrust23THRUST_200600_302600_NS6detail15normal_iteratorINSC_10device_ptrIKjEEEESI_EEEEESK_NSA_INS5_IJNSE_INSF_IjEEEESM_EEEEEPS7_SP_SP_NSC_11hip_rocprim7__merge17predicate_wrapperIjjNSC_4lessIjEEEEEE10hipError_tPvRmT0_T1_T2_T3_T4_T5_mmT6_P12ihipStream_tbEUlT_E0_NS1_11comp_targetILNS1_3genE10ELNS1_11target_archE1201ELNS1_3gpuE5ELNS1_3repE0EEENS1_30default_config_static_selectorELNS0_4arch9wavefront6targetE0EEEvS10_,comdat
.Lfunc_end147:
	.size	_ZN7rocprim17ROCPRIM_400000_NS6detail17trampoline_kernelINS0_14default_configENS1_21merge_config_selectorINS0_5tupleIJjjEEENS0_10empty_typeEEEZNS1_10merge_implIS3_NS0_12zip_iteratorINS5_IJN6thrust23THRUST_200600_302600_NS6detail15normal_iteratorINSC_10device_ptrIKjEEEESI_EEEEESK_NSA_INS5_IJNSE_INSF_IjEEEESM_EEEEEPS7_SP_SP_NSC_11hip_rocprim7__merge17predicate_wrapperIjjNSC_4lessIjEEEEEE10hipError_tPvRmT0_T1_T2_T3_T4_T5_mmT6_P12ihipStream_tbEUlT_E0_NS1_11comp_targetILNS1_3genE10ELNS1_11target_archE1201ELNS1_3gpuE5ELNS1_3repE0EEENS1_30default_config_static_selectorELNS0_4arch9wavefront6targetE0EEEvS10_, .Lfunc_end147-_ZN7rocprim17ROCPRIM_400000_NS6detail17trampoline_kernelINS0_14default_configENS1_21merge_config_selectorINS0_5tupleIJjjEEENS0_10empty_typeEEEZNS1_10merge_implIS3_NS0_12zip_iteratorINS5_IJN6thrust23THRUST_200600_302600_NS6detail15normal_iteratorINSC_10device_ptrIKjEEEESI_EEEEESK_NSA_INS5_IJNSE_INSF_IjEEEESM_EEEEEPS7_SP_SP_NSC_11hip_rocprim7__merge17predicate_wrapperIjjNSC_4lessIjEEEEEE10hipError_tPvRmT0_T1_T2_T3_T4_T5_mmT6_P12ihipStream_tbEUlT_E0_NS1_11comp_targetILNS1_3genE10ELNS1_11target_archE1201ELNS1_3gpuE5ELNS1_3repE0EEENS1_30default_config_static_selectorELNS0_4arch9wavefront6targetE0EEEvS10_
                                        ; -- End function
	.set _ZN7rocprim17ROCPRIM_400000_NS6detail17trampoline_kernelINS0_14default_configENS1_21merge_config_selectorINS0_5tupleIJjjEEENS0_10empty_typeEEEZNS1_10merge_implIS3_NS0_12zip_iteratorINS5_IJN6thrust23THRUST_200600_302600_NS6detail15normal_iteratorINSC_10device_ptrIKjEEEESI_EEEEESK_NSA_INS5_IJNSE_INSF_IjEEEESM_EEEEEPS7_SP_SP_NSC_11hip_rocprim7__merge17predicate_wrapperIjjNSC_4lessIjEEEEEE10hipError_tPvRmT0_T1_T2_T3_T4_T5_mmT6_P12ihipStream_tbEUlT_E0_NS1_11comp_targetILNS1_3genE10ELNS1_11target_archE1201ELNS1_3gpuE5ELNS1_3repE0EEENS1_30default_config_static_selectorELNS0_4arch9wavefront6targetE0EEEvS10_.num_vgpr, 0
	.set _ZN7rocprim17ROCPRIM_400000_NS6detail17trampoline_kernelINS0_14default_configENS1_21merge_config_selectorINS0_5tupleIJjjEEENS0_10empty_typeEEEZNS1_10merge_implIS3_NS0_12zip_iteratorINS5_IJN6thrust23THRUST_200600_302600_NS6detail15normal_iteratorINSC_10device_ptrIKjEEEESI_EEEEESK_NSA_INS5_IJNSE_INSF_IjEEEESM_EEEEEPS7_SP_SP_NSC_11hip_rocprim7__merge17predicate_wrapperIjjNSC_4lessIjEEEEEE10hipError_tPvRmT0_T1_T2_T3_T4_T5_mmT6_P12ihipStream_tbEUlT_E0_NS1_11comp_targetILNS1_3genE10ELNS1_11target_archE1201ELNS1_3gpuE5ELNS1_3repE0EEENS1_30default_config_static_selectorELNS0_4arch9wavefront6targetE0EEEvS10_.num_agpr, 0
	.set _ZN7rocprim17ROCPRIM_400000_NS6detail17trampoline_kernelINS0_14default_configENS1_21merge_config_selectorINS0_5tupleIJjjEEENS0_10empty_typeEEEZNS1_10merge_implIS3_NS0_12zip_iteratorINS5_IJN6thrust23THRUST_200600_302600_NS6detail15normal_iteratorINSC_10device_ptrIKjEEEESI_EEEEESK_NSA_INS5_IJNSE_INSF_IjEEEESM_EEEEEPS7_SP_SP_NSC_11hip_rocprim7__merge17predicate_wrapperIjjNSC_4lessIjEEEEEE10hipError_tPvRmT0_T1_T2_T3_T4_T5_mmT6_P12ihipStream_tbEUlT_E0_NS1_11comp_targetILNS1_3genE10ELNS1_11target_archE1201ELNS1_3gpuE5ELNS1_3repE0EEENS1_30default_config_static_selectorELNS0_4arch9wavefront6targetE0EEEvS10_.numbered_sgpr, 0
	.set _ZN7rocprim17ROCPRIM_400000_NS6detail17trampoline_kernelINS0_14default_configENS1_21merge_config_selectorINS0_5tupleIJjjEEENS0_10empty_typeEEEZNS1_10merge_implIS3_NS0_12zip_iteratorINS5_IJN6thrust23THRUST_200600_302600_NS6detail15normal_iteratorINSC_10device_ptrIKjEEEESI_EEEEESK_NSA_INS5_IJNSE_INSF_IjEEEESM_EEEEEPS7_SP_SP_NSC_11hip_rocprim7__merge17predicate_wrapperIjjNSC_4lessIjEEEEEE10hipError_tPvRmT0_T1_T2_T3_T4_T5_mmT6_P12ihipStream_tbEUlT_E0_NS1_11comp_targetILNS1_3genE10ELNS1_11target_archE1201ELNS1_3gpuE5ELNS1_3repE0EEENS1_30default_config_static_selectorELNS0_4arch9wavefront6targetE0EEEvS10_.num_named_barrier, 0
	.set _ZN7rocprim17ROCPRIM_400000_NS6detail17trampoline_kernelINS0_14default_configENS1_21merge_config_selectorINS0_5tupleIJjjEEENS0_10empty_typeEEEZNS1_10merge_implIS3_NS0_12zip_iteratorINS5_IJN6thrust23THRUST_200600_302600_NS6detail15normal_iteratorINSC_10device_ptrIKjEEEESI_EEEEESK_NSA_INS5_IJNSE_INSF_IjEEEESM_EEEEEPS7_SP_SP_NSC_11hip_rocprim7__merge17predicate_wrapperIjjNSC_4lessIjEEEEEE10hipError_tPvRmT0_T1_T2_T3_T4_T5_mmT6_P12ihipStream_tbEUlT_E0_NS1_11comp_targetILNS1_3genE10ELNS1_11target_archE1201ELNS1_3gpuE5ELNS1_3repE0EEENS1_30default_config_static_selectorELNS0_4arch9wavefront6targetE0EEEvS10_.private_seg_size, 0
	.set _ZN7rocprim17ROCPRIM_400000_NS6detail17trampoline_kernelINS0_14default_configENS1_21merge_config_selectorINS0_5tupleIJjjEEENS0_10empty_typeEEEZNS1_10merge_implIS3_NS0_12zip_iteratorINS5_IJN6thrust23THRUST_200600_302600_NS6detail15normal_iteratorINSC_10device_ptrIKjEEEESI_EEEEESK_NSA_INS5_IJNSE_INSF_IjEEEESM_EEEEEPS7_SP_SP_NSC_11hip_rocprim7__merge17predicate_wrapperIjjNSC_4lessIjEEEEEE10hipError_tPvRmT0_T1_T2_T3_T4_T5_mmT6_P12ihipStream_tbEUlT_E0_NS1_11comp_targetILNS1_3genE10ELNS1_11target_archE1201ELNS1_3gpuE5ELNS1_3repE0EEENS1_30default_config_static_selectorELNS0_4arch9wavefront6targetE0EEEvS10_.uses_vcc, 0
	.set _ZN7rocprim17ROCPRIM_400000_NS6detail17trampoline_kernelINS0_14default_configENS1_21merge_config_selectorINS0_5tupleIJjjEEENS0_10empty_typeEEEZNS1_10merge_implIS3_NS0_12zip_iteratorINS5_IJN6thrust23THRUST_200600_302600_NS6detail15normal_iteratorINSC_10device_ptrIKjEEEESI_EEEEESK_NSA_INS5_IJNSE_INSF_IjEEEESM_EEEEEPS7_SP_SP_NSC_11hip_rocprim7__merge17predicate_wrapperIjjNSC_4lessIjEEEEEE10hipError_tPvRmT0_T1_T2_T3_T4_T5_mmT6_P12ihipStream_tbEUlT_E0_NS1_11comp_targetILNS1_3genE10ELNS1_11target_archE1201ELNS1_3gpuE5ELNS1_3repE0EEENS1_30default_config_static_selectorELNS0_4arch9wavefront6targetE0EEEvS10_.uses_flat_scratch, 0
	.set _ZN7rocprim17ROCPRIM_400000_NS6detail17trampoline_kernelINS0_14default_configENS1_21merge_config_selectorINS0_5tupleIJjjEEENS0_10empty_typeEEEZNS1_10merge_implIS3_NS0_12zip_iteratorINS5_IJN6thrust23THRUST_200600_302600_NS6detail15normal_iteratorINSC_10device_ptrIKjEEEESI_EEEEESK_NSA_INS5_IJNSE_INSF_IjEEEESM_EEEEEPS7_SP_SP_NSC_11hip_rocprim7__merge17predicate_wrapperIjjNSC_4lessIjEEEEEE10hipError_tPvRmT0_T1_T2_T3_T4_T5_mmT6_P12ihipStream_tbEUlT_E0_NS1_11comp_targetILNS1_3genE10ELNS1_11target_archE1201ELNS1_3gpuE5ELNS1_3repE0EEENS1_30default_config_static_selectorELNS0_4arch9wavefront6targetE0EEEvS10_.has_dyn_sized_stack, 0
	.set _ZN7rocprim17ROCPRIM_400000_NS6detail17trampoline_kernelINS0_14default_configENS1_21merge_config_selectorINS0_5tupleIJjjEEENS0_10empty_typeEEEZNS1_10merge_implIS3_NS0_12zip_iteratorINS5_IJN6thrust23THRUST_200600_302600_NS6detail15normal_iteratorINSC_10device_ptrIKjEEEESI_EEEEESK_NSA_INS5_IJNSE_INSF_IjEEEESM_EEEEEPS7_SP_SP_NSC_11hip_rocprim7__merge17predicate_wrapperIjjNSC_4lessIjEEEEEE10hipError_tPvRmT0_T1_T2_T3_T4_T5_mmT6_P12ihipStream_tbEUlT_E0_NS1_11comp_targetILNS1_3genE10ELNS1_11target_archE1201ELNS1_3gpuE5ELNS1_3repE0EEENS1_30default_config_static_selectorELNS0_4arch9wavefront6targetE0EEEvS10_.has_recursion, 0
	.set _ZN7rocprim17ROCPRIM_400000_NS6detail17trampoline_kernelINS0_14default_configENS1_21merge_config_selectorINS0_5tupleIJjjEEENS0_10empty_typeEEEZNS1_10merge_implIS3_NS0_12zip_iteratorINS5_IJN6thrust23THRUST_200600_302600_NS6detail15normal_iteratorINSC_10device_ptrIKjEEEESI_EEEEESK_NSA_INS5_IJNSE_INSF_IjEEEESM_EEEEEPS7_SP_SP_NSC_11hip_rocprim7__merge17predicate_wrapperIjjNSC_4lessIjEEEEEE10hipError_tPvRmT0_T1_T2_T3_T4_T5_mmT6_P12ihipStream_tbEUlT_E0_NS1_11comp_targetILNS1_3genE10ELNS1_11target_archE1201ELNS1_3gpuE5ELNS1_3repE0EEENS1_30default_config_static_selectorELNS0_4arch9wavefront6targetE0EEEvS10_.has_indirect_call, 0
	.section	.AMDGPU.csdata,"",@progbits
; Kernel info:
; codeLenInByte = 0
; TotalNumSgprs: 0
; NumVgprs: 0
; ScratchSize: 0
; MemoryBound: 0
; FloatMode: 240
; IeeeMode: 1
; LDSByteSize: 0 bytes/workgroup (compile time only)
; SGPRBlocks: 0
; VGPRBlocks: 0
; NumSGPRsForWavesPerEU: 1
; NumVGPRsForWavesPerEU: 1
; NamedBarCnt: 0
; Occupancy: 16
; WaveLimiterHint : 0
; COMPUTE_PGM_RSRC2:SCRATCH_EN: 0
; COMPUTE_PGM_RSRC2:USER_SGPR: 2
; COMPUTE_PGM_RSRC2:TRAP_HANDLER: 0
; COMPUTE_PGM_RSRC2:TGID_X_EN: 1
; COMPUTE_PGM_RSRC2:TGID_Y_EN: 0
; COMPUTE_PGM_RSRC2:TGID_Z_EN: 0
; COMPUTE_PGM_RSRC2:TIDIG_COMP_CNT: 0
	.section	.text._ZN7rocprim17ROCPRIM_400000_NS6detail17trampoline_kernelINS0_14default_configENS1_21merge_config_selectorINS0_5tupleIJjjEEENS0_10empty_typeEEEZNS1_10merge_implIS3_NS0_12zip_iteratorINS5_IJN6thrust23THRUST_200600_302600_NS6detail15normal_iteratorINSC_10device_ptrIKjEEEESI_EEEEESK_NSA_INS5_IJNSE_INSF_IjEEEESM_EEEEEPS7_SP_SP_NSC_11hip_rocprim7__merge17predicate_wrapperIjjNSC_4lessIjEEEEEE10hipError_tPvRmT0_T1_T2_T3_T4_T5_mmT6_P12ihipStream_tbEUlT_E0_NS1_11comp_targetILNS1_3genE10ELNS1_11target_archE1200ELNS1_3gpuE4ELNS1_3repE0EEENS1_30default_config_static_selectorELNS0_4arch9wavefront6targetE0EEEvS10_,"axG",@progbits,_ZN7rocprim17ROCPRIM_400000_NS6detail17trampoline_kernelINS0_14default_configENS1_21merge_config_selectorINS0_5tupleIJjjEEENS0_10empty_typeEEEZNS1_10merge_implIS3_NS0_12zip_iteratorINS5_IJN6thrust23THRUST_200600_302600_NS6detail15normal_iteratorINSC_10device_ptrIKjEEEESI_EEEEESK_NSA_INS5_IJNSE_INSF_IjEEEESM_EEEEEPS7_SP_SP_NSC_11hip_rocprim7__merge17predicate_wrapperIjjNSC_4lessIjEEEEEE10hipError_tPvRmT0_T1_T2_T3_T4_T5_mmT6_P12ihipStream_tbEUlT_E0_NS1_11comp_targetILNS1_3genE10ELNS1_11target_archE1200ELNS1_3gpuE4ELNS1_3repE0EEENS1_30default_config_static_selectorELNS0_4arch9wavefront6targetE0EEEvS10_,comdat
	.protected	_ZN7rocprim17ROCPRIM_400000_NS6detail17trampoline_kernelINS0_14default_configENS1_21merge_config_selectorINS0_5tupleIJjjEEENS0_10empty_typeEEEZNS1_10merge_implIS3_NS0_12zip_iteratorINS5_IJN6thrust23THRUST_200600_302600_NS6detail15normal_iteratorINSC_10device_ptrIKjEEEESI_EEEEESK_NSA_INS5_IJNSE_INSF_IjEEEESM_EEEEEPS7_SP_SP_NSC_11hip_rocprim7__merge17predicate_wrapperIjjNSC_4lessIjEEEEEE10hipError_tPvRmT0_T1_T2_T3_T4_T5_mmT6_P12ihipStream_tbEUlT_E0_NS1_11comp_targetILNS1_3genE10ELNS1_11target_archE1200ELNS1_3gpuE4ELNS1_3repE0EEENS1_30default_config_static_selectorELNS0_4arch9wavefront6targetE0EEEvS10_ ; -- Begin function _ZN7rocprim17ROCPRIM_400000_NS6detail17trampoline_kernelINS0_14default_configENS1_21merge_config_selectorINS0_5tupleIJjjEEENS0_10empty_typeEEEZNS1_10merge_implIS3_NS0_12zip_iteratorINS5_IJN6thrust23THRUST_200600_302600_NS6detail15normal_iteratorINSC_10device_ptrIKjEEEESI_EEEEESK_NSA_INS5_IJNSE_INSF_IjEEEESM_EEEEEPS7_SP_SP_NSC_11hip_rocprim7__merge17predicate_wrapperIjjNSC_4lessIjEEEEEE10hipError_tPvRmT0_T1_T2_T3_T4_T5_mmT6_P12ihipStream_tbEUlT_E0_NS1_11comp_targetILNS1_3genE10ELNS1_11target_archE1200ELNS1_3gpuE4ELNS1_3repE0EEENS1_30default_config_static_selectorELNS0_4arch9wavefront6targetE0EEEvS10_
	.globl	_ZN7rocprim17ROCPRIM_400000_NS6detail17trampoline_kernelINS0_14default_configENS1_21merge_config_selectorINS0_5tupleIJjjEEENS0_10empty_typeEEEZNS1_10merge_implIS3_NS0_12zip_iteratorINS5_IJN6thrust23THRUST_200600_302600_NS6detail15normal_iteratorINSC_10device_ptrIKjEEEESI_EEEEESK_NSA_INS5_IJNSE_INSF_IjEEEESM_EEEEEPS7_SP_SP_NSC_11hip_rocprim7__merge17predicate_wrapperIjjNSC_4lessIjEEEEEE10hipError_tPvRmT0_T1_T2_T3_T4_T5_mmT6_P12ihipStream_tbEUlT_E0_NS1_11comp_targetILNS1_3genE10ELNS1_11target_archE1200ELNS1_3gpuE4ELNS1_3repE0EEENS1_30default_config_static_selectorELNS0_4arch9wavefront6targetE0EEEvS10_
	.p2align	8
	.type	_ZN7rocprim17ROCPRIM_400000_NS6detail17trampoline_kernelINS0_14default_configENS1_21merge_config_selectorINS0_5tupleIJjjEEENS0_10empty_typeEEEZNS1_10merge_implIS3_NS0_12zip_iteratorINS5_IJN6thrust23THRUST_200600_302600_NS6detail15normal_iteratorINSC_10device_ptrIKjEEEESI_EEEEESK_NSA_INS5_IJNSE_INSF_IjEEEESM_EEEEEPS7_SP_SP_NSC_11hip_rocprim7__merge17predicate_wrapperIjjNSC_4lessIjEEEEEE10hipError_tPvRmT0_T1_T2_T3_T4_T5_mmT6_P12ihipStream_tbEUlT_E0_NS1_11comp_targetILNS1_3genE10ELNS1_11target_archE1200ELNS1_3gpuE4ELNS1_3repE0EEENS1_30default_config_static_selectorELNS0_4arch9wavefront6targetE0EEEvS10_,@function
_ZN7rocprim17ROCPRIM_400000_NS6detail17trampoline_kernelINS0_14default_configENS1_21merge_config_selectorINS0_5tupleIJjjEEENS0_10empty_typeEEEZNS1_10merge_implIS3_NS0_12zip_iteratorINS5_IJN6thrust23THRUST_200600_302600_NS6detail15normal_iteratorINSC_10device_ptrIKjEEEESI_EEEEESK_NSA_INS5_IJNSE_INSF_IjEEEESM_EEEEEPS7_SP_SP_NSC_11hip_rocprim7__merge17predicate_wrapperIjjNSC_4lessIjEEEEEE10hipError_tPvRmT0_T1_T2_T3_T4_T5_mmT6_P12ihipStream_tbEUlT_E0_NS1_11comp_targetILNS1_3genE10ELNS1_11target_archE1200ELNS1_3gpuE4ELNS1_3repE0EEENS1_30default_config_static_selectorELNS0_4arch9wavefront6targetE0EEEvS10_: ; @_ZN7rocprim17ROCPRIM_400000_NS6detail17trampoline_kernelINS0_14default_configENS1_21merge_config_selectorINS0_5tupleIJjjEEENS0_10empty_typeEEEZNS1_10merge_implIS3_NS0_12zip_iteratorINS5_IJN6thrust23THRUST_200600_302600_NS6detail15normal_iteratorINSC_10device_ptrIKjEEEESI_EEEEESK_NSA_INS5_IJNSE_INSF_IjEEEESM_EEEEEPS7_SP_SP_NSC_11hip_rocprim7__merge17predicate_wrapperIjjNSC_4lessIjEEEEEE10hipError_tPvRmT0_T1_T2_T3_T4_T5_mmT6_P12ihipStream_tbEUlT_E0_NS1_11comp_targetILNS1_3genE10ELNS1_11target_archE1200ELNS1_3gpuE4ELNS1_3repE0EEENS1_30default_config_static_selectorELNS0_4arch9wavefront6targetE0EEEvS10_
; %bb.0:
	.section	.rodata,"a",@progbits
	.p2align	6, 0x0
	.amdhsa_kernel _ZN7rocprim17ROCPRIM_400000_NS6detail17trampoline_kernelINS0_14default_configENS1_21merge_config_selectorINS0_5tupleIJjjEEENS0_10empty_typeEEEZNS1_10merge_implIS3_NS0_12zip_iteratorINS5_IJN6thrust23THRUST_200600_302600_NS6detail15normal_iteratorINSC_10device_ptrIKjEEEESI_EEEEESK_NSA_INS5_IJNSE_INSF_IjEEEESM_EEEEEPS7_SP_SP_NSC_11hip_rocprim7__merge17predicate_wrapperIjjNSC_4lessIjEEEEEE10hipError_tPvRmT0_T1_T2_T3_T4_T5_mmT6_P12ihipStream_tbEUlT_E0_NS1_11comp_targetILNS1_3genE10ELNS1_11target_archE1200ELNS1_3gpuE4ELNS1_3repE0EEENS1_30default_config_static_selectorELNS0_4arch9wavefront6targetE0EEEvS10_
		.amdhsa_group_segment_fixed_size 0
		.amdhsa_private_segment_fixed_size 0
		.amdhsa_kernarg_size 112
		.amdhsa_user_sgpr_count 2
		.amdhsa_user_sgpr_dispatch_ptr 0
		.amdhsa_user_sgpr_queue_ptr 0
		.amdhsa_user_sgpr_kernarg_segment_ptr 1
		.amdhsa_user_sgpr_dispatch_id 0
		.amdhsa_user_sgpr_kernarg_preload_length 0
		.amdhsa_user_sgpr_kernarg_preload_offset 0
		.amdhsa_user_sgpr_private_segment_size 0
		.amdhsa_wavefront_size32 1
		.amdhsa_uses_dynamic_stack 0
		.amdhsa_enable_private_segment 0
		.amdhsa_system_sgpr_workgroup_id_x 1
		.amdhsa_system_sgpr_workgroup_id_y 0
		.amdhsa_system_sgpr_workgroup_id_z 0
		.amdhsa_system_sgpr_workgroup_info 0
		.amdhsa_system_vgpr_workitem_id 0
		.amdhsa_next_free_vgpr 1
		.amdhsa_next_free_sgpr 1
		.amdhsa_named_barrier_count 0
		.amdhsa_reserve_vcc 0
		.amdhsa_float_round_mode_32 0
		.amdhsa_float_round_mode_16_64 0
		.amdhsa_float_denorm_mode_32 3
		.amdhsa_float_denorm_mode_16_64 3
		.amdhsa_fp16_overflow 0
		.amdhsa_memory_ordered 1
		.amdhsa_forward_progress 1
		.amdhsa_inst_pref_size 0
		.amdhsa_round_robin_scheduling 0
		.amdhsa_exception_fp_ieee_invalid_op 0
		.amdhsa_exception_fp_denorm_src 0
		.amdhsa_exception_fp_ieee_div_zero 0
		.amdhsa_exception_fp_ieee_overflow 0
		.amdhsa_exception_fp_ieee_underflow 0
		.amdhsa_exception_fp_ieee_inexact 0
		.amdhsa_exception_int_div_zero 0
	.end_amdhsa_kernel
	.section	.text._ZN7rocprim17ROCPRIM_400000_NS6detail17trampoline_kernelINS0_14default_configENS1_21merge_config_selectorINS0_5tupleIJjjEEENS0_10empty_typeEEEZNS1_10merge_implIS3_NS0_12zip_iteratorINS5_IJN6thrust23THRUST_200600_302600_NS6detail15normal_iteratorINSC_10device_ptrIKjEEEESI_EEEEESK_NSA_INS5_IJNSE_INSF_IjEEEESM_EEEEEPS7_SP_SP_NSC_11hip_rocprim7__merge17predicate_wrapperIjjNSC_4lessIjEEEEEE10hipError_tPvRmT0_T1_T2_T3_T4_T5_mmT6_P12ihipStream_tbEUlT_E0_NS1_11comp_targetILNS1_3genE10ELNS1_11target_archE1200ELNS1_3gpuE4ELNS1_3repE0EEENS1_30default_config_static_selectorELNS0_4arch9wavefront6targetE0EEEvS10_,"axG",@progbits,_ZN7rocprim17ROCPRIM_400000_NS6detail17trampoline_kernelINS0_14default_configENS1_21merge_config_selectorINS0_5tupleIJjjEEENS0_10empty_typeEEEZNS1_10merge_implIS3_NS0_12zip_iteratorINS5_IJN6thrust23THRUST_200600_302600_NS6detail15normal_iteratorINSC_10device_ptrIKjEEEESI_EEEEESK_NSA_INS5_IJNSE_INSF_IjEEEESM_EEEEEPS7_SP_SP_NSC_11hip_rocprim7__merge17predicate_wrapperIjjNSC_4lessIjEEEEEE10hipError_tPvRmT0_T1_T2_T3_T4_T5_mmT6_P12ihipStream_tbEUlT_E0_NS1_11comp_targetILNS1_3genE10ELNS1_11target_archE1200ELNS1_3gpuE4ELNS1_3repE0EEENS1_30default_config_static_selectorELNS0_4arch9wavefront6targetE0EEEvS10_,comdat
.Lfunc_end148:
	.size	_ZN7rocprim17ROCPRIM_400000_NS6detail17trampoline_kernelINS0_14default_configENS1_21merge_config_selectorINS0_5tupleIJjjEEENS0_10empty_typeEEEZNS1_10merge_implIS3_NS0_12zip_iteratorINS5_IJN6thrust23THRUST_200600_302600_NS6detail15normal_iteratorINSC_10device_ptrIKjEEEESI_EEEEESK_NSA_INS5_IJNSE_INSF_IjEEEESM_EEEEEPS7_SP_SP_NSC_11hip_rocprim7__merge17predicate_wrapperIjjNSC_4lessIjEEEEEE10hipError_tPvRmT0_T1_T2_T3_T4_T5_mmT6_P12ihipStream_tbEUlT_E0_NS1_11comp_targetILNS1_3genE10ELNS1_11target_archE1200ELNS1_3gpuE4ELNS1_3repE0EEENS1_30default_config_static_selectorELNS0_4arch9wavefront6targetE0EEEvS10_, .Lfunc_end148-_ZN7rocprim17ROCPRIM_400000_NS6detail17trampoline_kernelINS0_14default_configENS1_21merge_config_selectorINS0_5tupleIJjjEEENS0_10empty_typeEEEZNS1_10merge_implIS3_NS0_12zip_iteratorINS5_IJN6thrust23THRUST_200600_302600_NS6detail15normal_iteratorINSC_10device_ptrIKjEEEESI_EEEEESK_NSA_INS5_IJNSE_INSF_IjEEEESM_EEEEEPS7_SP_SP_NSC_11hip_rocprim7__merge17predicate_wrapperIjjNSC_4lessIjEEEEEE10hipError_tPvRmT0_T1_T2_T3_T4_T5_mmT6_P12ihipStream_tbEUlT_E0_NS1_11comp_targetILNS1_3genE10ELNS1_11target_archE1200ELNS1_3gpuE4ELNS1_3repE0EEENS1_30default_config_static_selectorELNS0_4arch9wavefront6targetE0EEEvS10_
                                        ; -- End function
	.set _ZN7rocprim17ROCPRIM_400000_NS6detail17trampoline_kernelINS0_14default_configENS1_21merge_config_selectorINS0_5tupleIJjjEEENS0_10empty_typeEEEZNS1_10merge_implIS3_NS0_12zip_iteratorINS5_IJN6thrust23THRUST_200600_302600_NS6detail15normal_iteratorINSC_10device_ptrIKjEEEESI_EEEEESK_NSA_INS5_IJNSE_INSF_IjEEEESM_EEEEEPS7_SP_SP_NSC_11hip_rocprim7__merge17predicate_wrapperIjjNSC_4lessIjEEEEEE10hipError_tPvRmT0_T1_T2_T3_T4_T5_mmT6_P12ihipStream_tbEUlT_E0_NS1_11comp_targetILNS1_3genE10ELNS1_11target_archE1200ELNS1_3gpuE4ELNS1_3repE0EEENS1_30default_config_static_selectorELNS0_4arch9wavefront6targetE0EEEvS10_.num_vgpr, 0
	.set _ZN7rocprim17ROCPRIM_400000_NS6detail17trampoline_kernelINS0_14default_configENS1_21merge_config_selectorINS0_5tupleIJjjEEENS0_10empty_typeEEEZNS1_10merge_implIS3_NS0_12zip_iteratorINS5_IJN6thrust23THRUST_200600_302600_NS6detail15normal_iteratorINSC_10device_ptrIKjEEEESI_EEEEESK_NSA_INS5_IJNSE_INSF_IjEEEESM_EEEEEPS7_SP_SP_NSC_11hip_rocprim7__merge17predicate_wrapperIjjNSC_4lessIjEEEEEE10hipError_tPvRmT0_T1_T2_T3_T4_T5_mmT6_P12ihipStream_tbEUlT_E0_NS1_11comp_targetILNS1_3genE10ELNS1_11target_archE1200ELNS1_3gpuE4ELNS1_3repE0EEENS1_30default_config_static_selectorELNS0_4arch9wavefront6targetE0EEEvS10_.num_agpr, 0
	.set _ZN7rocprim17ROCPRIM_400000_NS6detail17trampoline_kernelINS0_14default_configENS1_21merge_config_selectorINS0_5tupleIJjjEEENS0_10empty_typeEEEZNS1_10merge_implIS3_NS0_12zip_iteratorINS5_IJN6thrust23THRUST_200600_302600_NS6detail15normal_iteratorINSC_10device_ptrIKjEEEESI_EEEEESK_NSA_INS5_IJNSE_INSF_IjEEEESM_EEEEEPS7_SP_SP_NSC_11hip_rocprim7__merge17predicate_wrapperIjjNSC_4lessIjEEEEEE10hipError_tPvRmT0_T1_T2_T3_T4_T5_mmT6_P12ihipStream_tbEUlT_E0_NS1_11comp_targetILNS1_3genE10ELNS1_11target_archE1200ELNS1_3gpuE4ELNS1_3repE0EEENS1_30default_config_static_selectorELNS0_4arch9wavefront6targetE0EEEvS10_.numbered_sgpr, 0
	.set _ZN7rocprim17ROCPRIM_400000_NS6detail17trampoline_kernelINS0_14default_configENS1_21merge_config_selectorINS0_5tupleIJjjEEENS0_10empty_typeEEEZNS1_10merge_implIS3_NS0_12zip_iteratorINS5_IJN6thrust23THRUST_200600_302600_NS6detail15normal_iteratorINSC_10device_ptrIKjEEEESI_EEEEESK_NSA_INS5_IJNSE_INSF_IjEEEESM_EEEEEPS7_SP_SP_NSC_11hip_rocprim7__merge17predicate_wrapperIjjNSC_4lessIjEEEEEE10hipError_tPvRmT0_T1_T2_T3_T4_T5_mmT6_P12ihipStream_tbEUlT_E0_NS1_11comp_targetILNS1_3genE10ELNS1_11target_archE1200ELNS1_3gpuE4ELNS1_3repE0EEENS1_30default_config_static_selectorELNS0_4arch9wavefront6targetE0EEEvS10_.num_named_barrier, 0
	.set _ZN7rocprim17ROCPRIM_400000_NS6detail17trampoline_kernelINS0_14default_configENS1_21merge_config_selectorINS0_5tupleIJjjEEENS0_10empty_typeEEEZNS1_10merge_implIS3_NS0_12zip_iteratorINS5_IJN6thrust23THRUST_200600_302600_NS6detail15normal_iteratorINSC_10device_ptrIKjEEEESI_EEEEESK_NSA_INS5_IJNSE_INSF_IjEEEESM_EEEEEPS7_SP_SP_NSC_11hip_rocprim7__merge17predicate_wrapperIjjNSC_4lessIjEEEEEE10hipError_tPvRmT0_T1_T2_T3_T4_T5_mmT6_P12ihipStream_tbEUlT_E0_NS1_11comp_targetILNS1_3genE10ELNS1_11target_archE1200ELNS1_3gpuE4ELNS1_3repE0EEENS1_30default_config_static_selectorELNS0_4arch9wavefront6targetE0EEEvS10_.private_seg_size, 0
	.set _ZN7rocprim17ROCPRIM_400000_NS6detail17trampoline_kernelINS0_14default_configENS1_21merge_config_selectorINS0_5tupleIJjjEEENS0_10empty_typeEEEZNS1_10merge_implIS3_NS0_12zip_iteratorINS5_IJN6thrust23THRUST_200600_302600_NS6detail15normal_iteratorINSC_10device_ptrIKjEEEESI_EEEEESK_NSA_INS5_IJNSE_INSF_IjEEEESM_EEEEEPS7_SP_SP_NSC_11hip_rocprim7__merge17predicate_wrapperIjjNSC_4lessIjEEEEEE10hipError_tPvRmT0_T1_T2_T3_T4_T5_mmT6_P12ihipStream_tbEUlT_E0_NS1_11comp_targetILNS1_3genE10ELNS1_11target_archE1200ELNS1_3gpuE4ELNS1_3repE0EEENS1_30default_config_static_selectorELNS0_4arch9wavefront6targetE0EEEvS10_.uses_vcc, 0
	.set _ZN7rocprim17ROCPRIM_400000_NS6detail17trampoline_kernelINS0_14default_configENS1_21merge_config_selectorINS0_5tupleIJjjEEENS0_10empty_typeEEEZNS1_10merge_implIS3_NS0_12zip_iteratorINS5_IJN6thrust23THRUST_200600_302600_NS6detail15normal_iteratorINSC_10device_ptrIKjEEEESI_EEEEESK_NSA_INS5_IJNSE_INSF_IjEEEESM_EEEEEPS7_SP_SP_NSC_11hip_rocprim7__merge17predicate_wrapperIjjNSC_4lessIjEEEEEE10hipError_tPvRmT0_T1_T2_T3_T4_T5_mmT6_P12ihipStream_tbEUlT_E0_NS1_11comp_targetILNS1_3genE10ELNS1_11target_archE1200ELNS1_3gpuE4ELNS1_3repE0EEENS1_30default_config_static_selectorELNS0_4arch9wavefront6targetE0EEEvS10_.uses_flat_scratch, 0
	.set _ZN7rocprim17ROCPRIM_400000_NS6detail17trampoline_kernelINS0_14default_configENS1_21merge_config_selectorINS0_5tupleIJjjEEENS0_10empty_typeEEEZNS1_10merge_implIS3_NS0_12zip_iteratorINS5_IJN6thrust23THRUST_200600_302600_NS6detail15normal_iteratorINSC_10device_ptrIKjEEEESI_EEEEESK_NSA_INS5_IJNSE_INSF_IjEEEESM_EEEEEPS7_SP_SP_NSC_11hip_rocprim7__merge17predicate_wrapperIjjNSC_4lessIjEEEEEE10hipError_tPvRmT0_T1_T2_T3_T4_T5_mmT6_P12ihipStream_tbEUlT_E0_NS1_11comp_targetILNS1_3genE10ELNS1_11target_archE1200ELNS1_3gpuE4ELNS1_3repE0EEENS1_30default_config_static_selectorELNS0_4arch9wavefront6targetE0EEEvS10_.has_dyn_sized_stack, 0
	.set _ZN7rocprim17ROCPRIM_400000_NS6detail17trampoline_kernelINS0_14default_configENS1_21merge_config_selectorINS0_5tupleIJjjEEENS0_10empty_typeEEEZNS1_10merge_implIS3_NS0_12zip_iteratorINS5_IJN6thrust23THRUST_200600_302600_NS6detail15normal_iteratorINSC_10device_ptrIKjEEEESI_EEEEESK_NSA_INS5_IJNSE_INSF_IjEEEESM_EEEEEPS7_SP_SP_NSC_11hip_rocprim7__merge17predicate_wrapperIjjNSC_4lessIjEEEEEE10hipError_tPvRmT0_T1_T2_T3_T4_T5_mmT6_P12ihipStream_tbEUlT_E0_NS1_11comp_targetILNS1_3genE10ELNS1_11target_archE1200ELNS1_3gpuE4ELNS1_3repE0EEENS1_30default_config_static_selectorELNS0_4arch9wavefront6targetE0EEEvS10_.has_recursion, 0
	.set _ZN7rocprim17ROCPRIM_400000_NS6detail17trampoline_kernelINS0_14default_configENS1_21merge_config_selectorINS0_5tupleIJjjEEENS0_10empty_typeEEEZNS1_10merge_implIS3_NS0_12zip_iteratorINS5_IJN6thrust23THRUST_200600_302600_NS6detail15normal_iteratorINSC_10device_ptrIKjEEEESI_EEEEESK_NSA_INS5_IJNSE_INSF_IjEEEESM_EEEEEPS7_SP_SP_NSC_11hip_rocprim7__merge17predicate_wrapperIjjNSC_4lessIjEEEEEE10hipError_tPvRmT0_T1_T2_T3_T4_T5_mmT6_P12ihipStream_tbEUlT_E0_NS1_11comp_targetILNS1_3genE10ELNS1_11target_archE1200ELNS1_3gpuE4ELNS1_3repE0EEENS1_30default_config_static_selectorELNS0_4arch9wavefront6targetE0EEEvS10_.has_indirect_call, 0
	.section	.AMDGPU.csdata,"",@progbits
; Kernel info:
; codeLenInByte = 0
; TotalNumSgprs: 0
; NumVgprs: 0
; ScratchSize: 0
; MemoryBound: 0
; FloatMode: 240
; IeeeMode: 1
; LDSByteSize: 0 bytes/workgroup (compile time only)
; SGPRBlocks: 0
; VGPRBlocks: 0
; NumSGPRsForWavesPerEU: 1
; NumVGPRsForWavesPerEU: 1
; NamedBarCnt: 0
; Occupancy: 16
; WaveLimiterHint : 0
; COMPUTE_PGM_RSRC2:SCRATCH_EN: 0
; COMPUTE_PGM_RSRC2:USER_SGPR: 2
; COMPUTE_PGM_RSRC2:TRAP_HANDLER: 0
; COMPUTE_PGM_RSRC2:TGID_X_EN: 1
; COMPUTE_PGM_RSRC2:TGID_Y_EN: 0
; COMPUTE_PGM_RSRC2:TGID_Z_EN: 0
; COMPUTE_PGM_RSRC2:TIDIG_COMP_CNT: 0
	.section	.text._ZN7rocprim17ROCPRIM_400000_NS6detail17trampoline_kernelINS0_14default_configENS1_21merge_config_selectorINS0_5tupleIJjjEEENS0_10empty_typeEEEZNS1_10merge_implIS3_NS0_12zip_iteratorINS5_IJN6thrust23THRUST_200600_302600_NS6detail15normal_iteratorINSC_10device_ptrIKjEEEESI_EEEEESK_NSA_INS5_IJNSE_INSF_IjEEEESM_EEEEEPS7_SP_SP_NSC_11hip_rocprim7__merge17predicate_wrapperIjjNSC_4lessIjEEEEEE10hipError_tPvRmT0_T1_T2_T3_T4_T5_mmT6_P12ihipStream_tbEUlT_E0_NS1_11comp_targetILNS1_3genE9ELNS1_11target_archE1100ELNS1_3gpuE3ELNS1_3repE0EEENS1_30default_config_static_selectorELNS0_4arch9wavefront6targetE0EEEvS10_,"axG",@progbits,_ZN7rocprim17ROCPRIM_400000_NS6detail17trampoline_kernelINS0_14default_configENS1_21merge_config_selectorINS0_5tupleIJjjEEENS0_10empty_typeEEEZNS1_10merge_implIS3_NS0_12zip_iteratorINS5_IJN6thrust23THRUST_200600_302600_NS6detail15normal_iteratorINSC_10device_ptrIKjEEEESI_EEEEESK_NSA_INS5_IJNSE_INSF_IjEEEESM_EEEEEPS7_SP_SP_NSC_11hip_rocprim7__merge17predicate_wrapperIjjNSC_4lessIjEEEEEE10hipError_tPvRmT0_T1_T2_T3_T4_T5_mmT6_P12ihipStream_tbEUlT_E0_NS1_11comp_targetILNS1_3genE9ELNS1_11target_archE1100ELNS1_3gpuE3ELNS1_3repE0EEENS1_30default_config_static_selectorELNS0_4arch9wavefront6targetE0EEEvS10_,comdat
	.protected	_ZN7rocprim17ROCPRIM_400000_NS6detail17trampoline_kernelINS0_14default_configENS1_21merge_config_selectorINS0_5tupleIJjjEEENS0_10empty_typeEEEZNS1_10merge_implIS3_NS0_12zip_iteratorINS5_IJN6thrust23THRUST_200600_302600_NS6detail15normal_iteratorINSC_10device_ptrIKjEEEESI_EEEEESK_NSA_INS5_IJNSE_INSF_IjEEEESM_EEEEEPS7_SP_SP_NSC_11hip_rocprim7__merge17predicate_wrapperIjjNSC_4lessIjEEEEEE10hipError_tPvRmT0_T1_T2_T3_T4_T5_mmT6_P12ihipStream_tbEUlT_E0_NS1_11comp_targetILNS1_3genE9ELNS1_11target_archE1100ELNS1_3gpuE3ELNS1_3repE0EEENS1_30default_config_static_selectorELNS0_4arch9wavefront6targetE0EEEvS10_ ; -- Begin function _ZN7rocprim17ROCPRIM_400000_NS6detail17trampoline_kernelINS0_14default_configENS1_21merge_config_selectorINS0_5tupleIJjjEEENS0_10empty_typeEEEZNS1_10merge_implIS3_NS0_12zip_iteratorINS5_IJN6thrust23THRUST_200600_302600_NS6detail15normal_iteratorINSC_10device_ptrIKjEEEESI_EEEEESK_NSA_INS5_IJNSE_INSF_IjEEEESM_EEEEEPS7_SP_SP_NSC_11hip_rocprim7__merge17predicate_wrapperIjjNSC_4lessIjEEEEEE10hipError_tPvRmT0_T1_T2_T3_T4_T5_mmT6_P12ihipStream_tbEUlT_E0_NS1_11comp_targetILNS1_3genE9ELNS1_11target_archE1100ELNS1_3gpuE3ELNS1_3repE0EEENS1_30default_config_static_selectorELNS0_4arch9wavefront6targetE0EEEvS10_
	.globl	_ZN7rocprim17ROCPRIM_400000_NS6detail17trampoline_kernelINS0_14default_configENS1_21merge_config_selectorINS0_5tupleIJjjEEENS0_10empty_typeEEEZNS1_10merge_implIS3_NS0_12zip_iteratorINS5_IJN6thrust23THRUST_200600_302600_NS6detail15normal_iteratorINSC_10device_ptrIKjEEEESI_EEEEESK_NSA_INS5_IJNSE_INSF_IjEEEESM_EEEEEPS7_SP_SP_NSC_11hip_rocprim7__merge17predicate_wrapperIjjNSC_4lessIjEEEEEE10hipError_tPvRmT0_T1_T2_T3_T4_T5_mmT6_P12ihipStream_tbEUlT_E0_NS1_11comp_targetILNS1_3genE9ELNS1_11target_archE1100ELNS1_3gpuE3ELNS1_3repE0EEENS1_30default_config_static_selectorELNS0_4arch9wavefront6targetE0EEEvS10_
	.p2align	8
	.type	_ZN7rocprim17ROCPRIM_400000_NS6detail17trampoline_kernelINS0_14default_configENS1_21merge_config_selectorINS0_5tupleIJjjEEENS0_10empty_typeEEEZNS1_10merge_implIS3_NS0_12zip_iteratorINS5_IJN6thrust23THRUST_200600_302600_NS6detail15normal_iteratorINSC_10device_ptrIKjEEEESI_EEEEESK_NSA_INS5_IJNSE_INSF_IjEEEESM_EEEEEPS7_SP_SP_NSC_11hip_rocprim7__merge17predicate_wrapperIjjNSC_4lessIjEEEEEE10hipError_tPvRmT0_T1_T2_T3_T4_T5_mmT6_P12ihipStream_tbEUlT_E0_NS1_11comp_targetILNS1_3genE9ELNS1_11target_archE1100ELNS1_3gpuE3ELNS1_3repE0EEENS1_30default_config_static_selectorELNS0_4arch9wavefront6targetE0EEEvS10_,@function
_ZN7rocprim17ROCPRIM_400000_NS6detail17trampoline_kernelINS0_14default_configENS1_21merge_config_selectorINS0_5tupleIJjjEEENS0_10empty_typeEEEZNS1_10merge_implIS3_NS0_12zip_iteratorINS5_IJN6thrust23THRUST_200600_302600_NS6detail15normal_iteratorINSC_10device_ptrIKjEEEESI_EEEEESK_NSA_INS5_IJNSE_INSF_IjEEEESM_EEEEEPS7_SP_SP_NSC_11hip_rocprim7__merge17predicate_wrapperIjjNSC_4lessIjEEEEEE10hipError_tPvRmT0_T1_T2_T3_T4_T5_mmT6_P12ihipStream_tbEUlT_E0_NS1_11comp_targetILNS1_3genE9ELNS1_11target_archE1100ELNS1_3gpuE3ELNS1_3repE0EEENS1_30default_config_static_selectorELNS0_4arch9wavefront6targetE0EEEvS10_: ; @_ZN7rocprim17ROCPRIM_400000_NS6detail17trampoline_kernelINS0_14default_configENS1_21merge_config_selectorINS0_5tupleIJjjEEENS0_10empty_typeEEEZNS1_10merge_implIS3_NS0_12zip_iteratorINS5_IJN6thrust23THRUST_200600_302600_NS6detail15normal_iteratorINSC_10device_ptrIKjEEEESI_EEEEESK_NSA_INS5_IJNSE_INSF_IjEEEESM_EEEEEPS7_SP_SP_NSC_11hip_rocprim7__merge17predicate_wrapperIjjNSC_4lessIjEEEEEE10hipError_tPvRmT0_T1_T2_T3_T4_T5_mmT6_P12ihipStream_tbEUlT_E0_NS1_11comp_targetILNS1_3genE9ELNS1_11target_archE1100ELNS1_3gpuE3ELNS1_3repE0EEENS1_30default_config_static_selectorELNS0_4arch9wavefront6targetE0EEEvS10_
; %bb.0:
	.section	.rodata,"a",@progbits
	.p2align	6, 0x0
	.amdhsa_kernel _ZN7rocprim17ROCPRIM_400000_NS6detail17trampoline_kernelINS0_14default_configENS1_21merge_config_selectorINS0_5tupleIJjjEEENS0_10empty_typeEEEZNS1_10merge_implIS3_NS0_12zip_iteratorINS5_IJN6thrust23THRUST_200600_302600_NS6detail15normal_iteratorINSC_10device_ptrIKjEEEESI_EEEEESK_NSA_INS5_IJNSE_INSF_IjEEEESM_EEEEEPS7_SP_SP_NSC_11hip_rocprim7__merge17predicate_wrapperIjjNSC_4lessIjEEEEEE10hipError_tPvRmT0_T1_T2_T3_T4_T5_mmT6_P12ihipStream_tbEUlT_E0_NS1_11comp_targetILNS1_3genE9ELNS1_11target_archE1100ELNS1_3gpuE3ELNS1_3repE0EEENS1_30default_config_static_selectorELNS0_4arch9wavefront6targetE0EEEvS10_
		.amdhsa_group_segment_fixed_size 0
		.amdhsa_private_segment_fixed_size 0
		.amdhsa_kernarg_size 112
		.amdhsa_user_sgpr_count 2
		.amdhsa_user_sgpr_dispatch_ptr 0
		.amdhsa_user_sgpr_queue_ptr 0
		.amdhsa_user_sgpr_kernarg_segment_ptr 1
		.amdhsa_user_sgpr_dispatch_id 0
		.amdhsa_user_sgpr_kernarg_preload_length 0
		.amdhsa_user_sgpr_kernarg_preload_offset 0
		.amdhsa_user_sgpr_private_segment_size 0
		.amdhsa_wavefront_size32 1
		.amdhsa_uses_dynamic_stack 0
		.amdhsa_enable_private_segment 0
		.amdhsa_system_sgpr_workgroup_id_x 1
		.amdhsa_system_sgpr_workgroup_id_y 0
		.amdhsa_system_sgpr_workgroup_id_z 0
		.amdhsa_system_sgpr_workgroup_info 0
		.amdhsa_system_vgpr_workitem_id 0
		.amdhsa_next_free_vgpr 1
		.amdhsa_next_free_sgpr 1
		.amdhsa_named_barrier_count 0
		.amdhsa_reserve_vcc 0
		.amdhsa_float_round_mode_32 0
		.amdhsa_float_round_mode_16_64 0
		.amdhsa_float_denorm_mode_32 3
		.amdhsa_float_denorm_mode_16_64 3
		.amdhsa_fp16_overflow 0
		.amdhsa_memory_ordered 1
		.amdhsa_forward_progress 1
		.amdhsa_inst_pref_size 0
		.amdhsa_round_robin_scheduling 0
		.amdhsa_exception_fp_ieee_invalid_op 0
		.amdhsa_exception_fp_denorm_src 0
		.amdhsa_exception_fp_ieee_div_zero 0
		.amdhsa_exception_fp_ieee_overflow 0
		.amdhsa_exception_fp_ieee_underflow 0
		.amdhsa_exception_fp_ieee_inexact 0
		.amdhsa_exception_int_div_zero 0
	.end_amdhsa_kernel
	.section	.text._ZN7rocprim17ROCPRIM_400000_NS6detail17trampoline_kernelINS0_14default_configENS1_21merge_config_selectorINS0_5tupleIJjjEEENS0_10empty_typeEEEZNS1_10merge_implIS3_NS0_12zip_iteratorINS5_IJN6thrust23THRUST_200600_302600_NS6detail15normal_iteratorINSC_10device_ptrIKjEEEESI_EEEEESK_NSA_INS5_IJNSE_INSF_IjEEEESM_EEEEEPS7_SP_SP_NSC_11hip_rocprim7__merge17predicate_wrapperIjjNSC_4lessIjEEEEEE10hipError_tPvRmT0_T1_T2_T3_T4_T5_mmT6_P12ihipStream_tbEUlT_E0_NS1_11comp_targetILNS1_3genE9ELNS1_11target_archE1100ELNS1_3gpuE3ELNS1_3repE0EEENS1_30default_config_static_selectorELNS0_4arch9wavefront6targetE0EEEvS10_,"axG",@progbits,_ZN7rocprim17ROCPRIM_400000_NS6detail17trampoline_kernelINS0_14default_configENS1_21merge_config_selectorINS0_5tupleIJjjEEENS0_10empty_typeEEEZNS1_10merge_implIS3_NS0_12zip_iteratorINS5_IJN6thrust23THRUST_200600_302600_NS6detail15normal_iteratorINSC_10device_ptrIKjEEEESI_EEEEESK_NSA_INS5_IJNSE_INSF_IjEEEESM_EEEEEPS7_SP_SP_NSC_11hip_rocprim7__merge17predicate_wrapperIjjNSC_4lessIjEEEEEE10hipError_tPvRmT0_T1_T2_T3_T4_T5_mmT6_P12ihipStream_tbEUlT_E0_NS1_11comp_targetILNS1_3genE9ELNS1_11target_archE1100ELNS1_3gpuE3ELNS1_3repE0EEENS1_30default_config_static_selectorELNS0_4arch9wavefront6targetE0EEEvS10_,comdat
.Lfunc_end149:
	.size	_ZN7rocprim17ROCPRIM_400000_NS6detail17trampoline_kernelINS0_14default_configENS1_21merge_config_selectorINS0_5tupleIJjjEEENS0_10empty_typeEEEZNS1_10merge_implIS3_NS0_12zip_iteratorINS5_IJN6thrust23THRUST_200600_302600_NS6detail15normal_iteratorINSC_10device_ptrIKjEEEESI_EEEEESK_NSA_INS5_IJNSE_INSF_IjEEEESM_EEEEEPS7_SP_SP_NSC_11hip_rocprim7__merge17predicate_wrapperIjjNSC_4lessIjEEEEEE10hipError_tPvRmT0_T1_T2_T3_T4_T5_mmT6_P12ihipStream_tbEUlT_E0_NS1_11comp_targetILNS1_3genE9ELNS1_11target_archE1100ELNS1_3gpuE3ELNS1_3repE0EEENS1_30default_config_static_selectorELNS0_4arch9wavefront6targetE0EEEvS10_, .Lfunc_end149-_ZN7rocprim17ROCPRIM_400000_NS6detail17trampoline_kernelINS0_14default_configENS1_21merge_config_selectorINS0_5tupleIJjjEEENS0_10empty_typeEEEZNS1_10merge_implIS3_NS0_12zip_iteratorINS5_IJN6thrust23THRUST_200600_302600_NS6detail15normal_iteratorINSC_10device_ptrIKjEEEESI_EEEEESK_NSA_INS5_IJNSE_INSF_IjEEEESM_EEEEEPS7_SP_SP_NSC_11hip_rocprim7__merge17predicate_wrapperIjjNSC_4lessIjEEEEEE10hipError_tPvRmT0_T1_T2_T3_T4_T5_mmT6_P12ihipStream_tbEUlT_E0_NS1_11comp_targetILNS1_3genE9ELNS1_11target_archE1100ELNS1_3gpuE3ELNS1_3repE0EEENS1_30default_config_static_selectorELNS0_4arch9wavefront6targetE0EEEvS10_
                                        ; -- End function
	.set _ZN7rocprim17ROCPRIM_400000_NS6detail17trampoline_kernelINS0_14default_configENS1_21merge_config_selectorINS0_5tupleIJjjEEENS0_10empty_typeEEEZNS1_10merge_implIS3_NS0_12zip_iteratorINS5_IJN6thrust23THRUST_200600_302600_NS6detail15normal_iteratorINSC_10device_ptrIKjEEEESI_EEEEESK_NSA_INS5_IJNSE_INSF_IjEEEESM_EEEEEPS7_SP_SP_NSC_11hip_rocprim7__merge17predicate_wrapperIjjNSC_4lessIjEEEEEE10hipError_tPvRmT0_T1_T2_T3_T4_T5_mmT6_P12ihipStream_tbEUlT_E0_NS1_11comp_targetILNS1_3genE9ELNS1_11target_archE1100ELNS1_3gpuE3ELNS1_3repE0EEENS1_30default_config_static_selectorELNS0_4arch9wavefront6targetE0EEEvS10_.num_vgpr, 0
	.set _ZN7rocprim17ROCPRIM_400000_NS6detail17trampoline_kernelINS0_14default_configENS1_21merge_config_selectorINS0_5tupleIJjjEEENS0_10empty_typeEEEZNS1_10merge_implIS3_NS0_12zip_iteratorINS5_IJN6thrust23THRUST_200600_302600_NS6detail15normal_iteratorINSC_10device_ptrIKjEEEESI_EEEEESK_NSA_INS5_IJNSE_INSF_IjEEEESM_EEEEEPS7_SP_SP_NSC_11hip_rocprim7__merge17predicate_wrapperIjjNSC_4lessIjEEEEEE10hipError_tPvRmT0_T1_T2_T3_T4_T5_mmT6_P12ihipStream_tbEUlT_E0_NS1_11comp_targetILNS1_3genE9ELNS1_11target_archE1100ELNS1_3gpuE3ELNS1_3repE0EEENS1_30default_config_static_selectorELNS0_4arch9wavefront6targetE0EEEvS10_.num_agpr, 0
	.set _ZN7rocprim17ROCPRIM_400000_NS6detail17trampoline_kernelINS0_14default_configENS1_21merge_config_selectorINS0_5tupleIJjjEEENS0_10empty_typeEEEZNS1_10merge_implIS3_NS0_12zip_iteratorINS5_IJN6thrust23THRUST_200600_302600_NS6detail15normal_iteratorINSC_10device_ptrIKjEEEESI_EEEEESK_NSA_INS5_IJNSE_INSF_IjEEEESM_EEEEEPS7_SP_SP_NSC_11hip_rocprim7__merge17predicate_wrapperIjjNSC_4lessIjEEEEEE10hipError_tPvRmT0_T1_T2_T3_T4_T5_mmT6_P12ihipStream_tbEUlT_E0_NS1_11comp_targetILNS1_3genE9ELNS1_11target_archE1100ELNS1_3gpuE3ELNS1_3repE0EEENS1_30default_config_static_selectorELNS0_4arch9wavefront6targetE0EEEvS10_.numbered_sgpr, 0
	.set _ZN7rocprim17ROCPRIM_400000_NS6detail17trampoline_kernelINS0_14default_configENS1_21merge_config_selectorINS0_5tupleIJjjEEENS0_10empty_typeEEEZNS1_10merge_implIS3_NS0_12zip_iteratorINS5_IJN6thrust23THRUST_200600_302600_NS6detail15normal_iteratorINSC_10device_ptrIKjEEEESI_EEEEESK_NSA_INS5_IJNSE_INSF_IjEEEESM_EEEEEPS7_SP_SP_NSC_11hip_rocprim7__merge17predicate_wrapperIjjNSC_4lessIjEEEEEE10hipError_tPvRmT0_T1_T2_T3_T4_T5_mmT6_P12ihipStream_tbEUlT_E0_NS1_11comp_targetILNS1_3genE9ELNS1_11target_archE1100ELNS1_3gpuE3ELNS1_3repE0EEENS1_30default_config_static_selectorELNS0_4arch9wavefront6targetE0EEEvS10_.num_named_barrier, 0
	.set _ZN7rocprim17ROCPRIM_400000_NS6detail17trampoline_kernelINS0_14default_configENS1_21merge_config_selectorINS0_5tupleIJjjEEENS0_10empty_typeEEEZNS1_10merge_implIS3_NS0_12zip_iteratorINS5_IJN6thrust23THRUST_200600_302600_NS6detail15normal_iteratorINSC_10device_ptrIKjEEEESI_EEEEESK_NSA_INS5_IJNSE_INSF_IjEEEESM_EEEEEPS7_SP_SP_NSC_11hip_rocprim7__merge17predicate_wrapperIjjNSC_4lessIjEEEEEE10hipError_tPvRmT0_T1_T2_T3_T4_T5_mmT6_P12ihipStream_tbEUlT_E0_NS1_11comp_targetILNS1_3genE9ELNS1_11target_archE1100ELNS1_3gpuE3ELNS1_3repE0EEENS1_30default_config_static_selectorELNS0_4arch9wavefront6targetE0EEEvS10_.private_seg_size, 0
	.set _ZN7rocprim17ROCPRIM_400000_NS6detail17trampoline_kernelINS0_14default_configENS1_21merge_config_selectorINS0_5tupleIJjjEEENS0_10empty_typeEEEZNS1_10merge_implIS3_NS0_12zip_iteratorINS5_IJN6thrust23THRUST_200600_302600_NS6detail15normal_iteratorINSC_10device_ptrIKjEEEESI_EEEEESK_NSA_INS5_IJNSE_INSF_IjEEEESM_EEEEEPS7_SP_SP_NSC_11hip_rocprim7__merge17predicate_wrapperIjjNSC_4lessIjEEEEEE10hipError_tPvRmT0_T1_T2_T3_T4_T5_mmT6_P12ihipStream_tbEUlT_E0_NS1_11comp_targetILNS1_3genE9ELNS1_11target_archE1100ELNS1_3gpuE3ELNS1_3repE0EEENS1_30default_config_static_selectorELNS0_4arch9wavefront6targetE0EEEvS10_.uses_vcc, 0
	.set _ZN7rocprim17ROCPRIM_400000_NS6detail17trampoline_kernelINS0_14default_configENS1_21merge_config_selectorINS0_5tupleIJjjEEENS0_10empty_typeEEEZNS1_10merge_implIS3_NS0_12zip_iteratorINS5_IJN6thrust23THRUST_200600_302600_NS6detail15normal_iteratorINSC_10device_ptrIKjEEEESI_EEEEESK_NSA_INS5_IJNSE_INSF_IjEEEESM_EEEEEPS7_SP_SP_NSC_11hip_rocprim7__merge17predicate_wrapperIjjNSC_4lessIjEEEEEE10hipError_tPvRmT0_T1_T2_T3_T4_T5_mmT6_P12ihipStream_tbEUlT_E0_NS1_11comp_targetILNS1_3genE9ELNS1_11target_archE1100ELNS1_3gpuE3ELNS1_3repE0EEENS1_30default_config_static_selectorELNS0_4arch9wavefront6targetE0EEEvS10_.uses_flat_scratch, 0
	.set _ZN7rocprim17ROCPRIM_400000_NS6detail17trampoline_kernelINS0_14default_configENS1_21merge_config_selectorINS0_5tupleIJjjEEENS0_10empty_typeEEEZNS1_10merge_implIS3_NS0_12zip_iteratorINS5_IJN6thrust23THRUST_200600_302600_NS6detail15normal_iteratorINSC_10device_ptrIKjEEEESI_EEEEESK_NSA_INS5_IJNSE_INSF_IjEEEESM_EEEEEPS7_SP_SP_NSC_11hip_rocprim7__merge17predicate_wrapperIjjNSC_4lessIjEEEEEE10hipError_tPvRmT0_T1_T2_T3_T4_T5_mmT6_P12ihipStream_tbEUlT_E0_NS1_11comp_targetILNS1_3genE9ELNS1_11target_archE1100ELNS1_3gpuE3ELNS1_3repE0EEENS1_30default_config_static_selectorELNS0_4arch9wavefront6targetE0EEEvS10_.has_dyn_sized_stack, 0
	.set _ZN7rocprim17ROCPRIM_400000_NS6detail17trampoline_kernelINS0_14default_configENS1_21merge_config_selectorINS0_5tupleIJjjEEENS0_10empty_typeEEEZNS1_10merge_implIS3_NS0_12zip_iteratorINS5_IJN6thrust23THRUST_200600_302600_NS6detail15normal_iteratorINSC_10device_ptrIKjEEEESI_EEEEESK_NSA_INS5_IJNSE_INSF_IjEEEESM_EEEEEPS7_SP_SP_NSC_11hip_rocprim7__merge17predicate_wrapperIjjNSC_4lessIjEEEEEE10hipError_tPvRmT0_T1_T2_T3_T4_T5_mmT6_P12ihipStream_tbEUlT_E0_NS1_11comp_targetILNS1_3genE9ELNS1_11target_archE1100ELNS1_3gpuE3ELNS1_3repE0EEENS1_30default_config_static_selectorELNS0_4arch9wavefront6targetE0EEEvS10_.has_recursion, 0
	.set _ZN7rocprim17ROCPRIM_400000_NS6detail17trampoline_kernelINS0_14default_configENS1_21merge_config_selectorINS0_5tupleIJjjEEENS0_10empty_typeEEEZNS1_10merge_implIS3_NS0_12zip_iteratorINS5_IJN6thrust23THRUST_200600_302600_NS6detail15normal_iteratorINSC_10device_ptrIKjEEEESI_EEEEESK_NSA_INS5_IJNSE_INSF_IjEEEESM_EEEEEPS7_SP_SP_NSC_11hip_rocprim7__merge17predicate_wrapperIjjNSC_4lessIjEEEEEE10hipError_tPvRmT0_T1_T2_T3_T4_T5_mmT6_P12ihipStream_tbEUlT_E0_NS1_11comp_targetILNS1_3genE9ELNS1_11target_archE1100ELNS1_3gpuE3ELNS1_3repE0EEENS1_30default_config_static_selectorELNS0_4arch9wavefront6targetE0EEEvS10_.has_indirect_call, 0
	.section	.AMDGPU.csdata,"",@progbits
; Kernel info:
; codeLenInByte = 0
; TotalNumSgprs: 0
; NumVgprs: 0
; ScratchSize: 0
; MemoryBound: 0
; FloatMode: 240
; IeeeMode: 1
; LDSByteSize: 0 bytes/workgroup (compile time only)
; SGPRBlocks: 0
; VGPRBlocks: 0
; NumSGPRsForWavesPerEU: 1
; NumVGPRsForWavesPerEU: 1
; NamedBarCnt: 0
; Occupancy: 16
; WaveLimiterHint : 0
; COMPUTE_PGM_RSRC2:SCRATCH_EN: 0
; COMPUTE_PGM_RSRC2:USER_SGPR: 2
; COMPUTE_PGM_RSRC2:TRAP_HANDLER: 0
; COMPUTE_PGM_RSRC2:TGID_X_EN: 1
; COMPUTE_PGM_RSRC2:TGID_Y_EN: 0
; COMPUTE_PGM_RSRC2:TGID_Z_EN: 0
; COMPUTE_PGM_RSRC2:TIDIG_COMP_CNT: 0
	.section	.text._ZN7rocprim17ROCPRIM_400000_NS6detail17trampoline_kernelINS0_14default_configENS1_21merge_config_selectorINS0_5tupleIJjjEEENS0_10empty_typeEEEZNS1_10merge_implIS3_NS0_12zip_iteratorINS5_IJN6thrust23THRUST_200600_302600_NS6detail15normal_iteratorINSC_10device_ptrIKjEEEESI_EEEEESK_NSA_INS5_IJNSE_INSF_IjEEEESM_EEEEEPS7_SP_SP_NSC_11hip_rocprim7__merge17predicate_wrapperIjjNSC_4lessIjEEEEEE10hipError_tPvRmT0_T1_T2_T3_T4_T5_mmT6_P12ihipStream_tbEUlT_E0_NS1_11comp_targetILNS1_3genE8ELNS1_11target_archE1030ELNS1_3gpuE2ELNS1_3repE0EEENS1_30default_config_static_selectorELNS0_4arch9wavefront6targetE0EEEvS10_,"axG",@progbits,_ZN7rocprim17ROCPRIM_400000_NS6detail17trampoline_kernelINS0_14default_configENS1_21merge_config_selectorINS0_5tupleIJjjEEENS0_10empty_typeEEEZNS1_10merge_implIS3_NS0_12zip_iteratorINS5_IJN6thrust23THRUST_200600_302600_NS6detail15normal_iteratorINSC_10device_ptrIKjEEEESI_EEEEESK_NSA_INS5_IJNSE_INSF_IjEEEESM_EEEEEPS7_SP_SP_NSC_11hip_rocprim7__merge17predicate_wrapperIjjNSC_4lessIjEEEEEE10hipError_tPvRmT0_T1_T2_T3_T4_T5_mmT6_P12ihipStream_tbEUlT_E0_NS1_11comp_targetILNS1_3genE8ELNS1_11target_archE1030ELNS1_3gpuE2ELNS1_3repE0EEENS1_30default_config_static_selectorELNS0_4arch9wavefront6targetE0EEEvS10_,comdat
	.protected	_ZN7rocprim17ROCPRIM_400000_NS6detail17trampoline_kernelINS0_14default_configENS1_21merge_config_selectorINS0_5tupleIJjjEEENS0_10empty_typeEEEZNS1_10merge_implIS3_NS0_12zip_iteratorINS5_IJN6thrust23THRUST_200600_302600_NS6detail15normal_iteratorINSC_10device_ptrIKjEEEESI_EEEEESK_NSA_INS5_IJNSE_INSF_IjEEEESM_EEEEEPS7_SP_SP_NSC_11hip_rocprim7__merge17predicate_wrapperIjjNSC_4lessIjEEEEEE10hipError_tPvRmT0_T1_T2_T3_T4_T5_mmT6_P12ihipStream_tbEUlT_E0_NS1_11comp_targetILNS1_3genE8ELNS1_11target_archE1030ELNS1_3gpuE2ELNS1_3repE0EEENS1_30default_config_static_selectorELNS0_4arch9wavefront6targetE0EEEvS10_ ; -- Begin function _ZN7rocprim17ROCPRIM_400000_NS6detail17trampoline_kernelINS0_14default_configENS1_21merge_config_selectorINS0_5tupleIJjjEEENS0_10empty_typeEEEZNS1_10merge_implIS3_NS0_12zip_iteratorINS5_IJN6thrust23THRUST_200600_302600_NS6detail15normal_iteratorINSC_10device_ptrIKjEEEESI_EEEEESK_NSA_INS5_IJNSE_INSF_IjEEEESM_EEEEEPS7_SP_SP_NSC_11hip_rocprim7__merge17predicate_wrapperIjjNSC_4lessIjEEEEEE10hipError_tPvRmT0_T1_T2_T3_T4_T5_mmT6_P12ihipStream_tbEUlT_E0_NS1_11comp_targetILNS1_3genE8ELNS1_11target_archE1030ELNS1_3gpuE2ELNS1_3repE0EEENS1_30default_config_static_selectorELNS0_4arch9wavefront6targetE0EEEvS10_
	.globl	_ZN7rocprim17ROCPRIM_400000_NS6detail17trampoline_kernelINS0_14default_configENS1_21merge_config_selectorINS0_5tupleIJjjEEENS0_10empty_typeEEEZNS1_10merge_implIS3_NS0_12zip_iteratorINS5_IJN6thrust23THRUST_200600_302600_NS6detail15normal_iteratorINSC_10device_ptrIKjEEEESI_EEEEESK_NSA_INS5_IJNSE_INSF_IjEEEESM_EEEEEPS7_SP_SP_NSC_11hip_rocprim7__merge17predicate_wrapperIjjNSC_4lessIjEEEEEE10hipError_tPvRmT0_T1_T2_T3_T4_T5_mmT6_P12ihipStream_tbEUlT_E0_NS1_11comp_targetILNS1_3genE8ELNS1_11target_archE1030ELNS1_3gpuE2ELNS1_3repE0EEENS1_30default_config_static_selectorELNS0_4arch9wavefront6targetE0EEEvS10_
	.p2align	8
	.type	_ZN7rocprim17ROCPRIM_400000_NS6detail17trampoline_kernelINS0_14default_configENS1_21merge_config_selectorINS0_5tupleIJjjEEENS0_10empty_typeEEEZNS1_10merge_implIS3_NS0_12zip_iteratorINS5_IJN6thrust23THRUST_200600_302600_NS6detail15normal_iteratorINSC_10device_ptrIKjEEEESI_EEEEESK_NSA_INS5_IJNSE_INSF_IjEEEESM_EEEEEPS7_SP_SP_NSC_11hip_rocprim7__merge17predicate_wrapperIjjNSC_4lessIjEEEEEE10hipError_tPvRmT0_T1_T2_T3_T4_T5_mmT6_P12ihipStream_tbEUlT_E0_NS1_11comp_targetILNS1_3genE8ELNS1_11target_archE1030ELNS1_3gpuE2ELNS1_3repE0EEENS1_30default_config_static_selectorELNS0_4arch9wavefront6targetE0EEEvS10_,@function
_ZN7rocprim17ROCPRIM_400000_NS6detail17trampoline_kernelINS0_14default_configENS1_21merge_config_selectorINS0_5tupleIJjjEEENS0_10empty_typeEEEZNS1_10merge_implIS3_NS0_12zip_iteratorINS5_IJN6thrust23THRUST_200600_302600_NS6detail15normal_iteratorINSC_10device_ptrIKjEEEESI_EEEEESK_NSA_INS5_IJNSE_INSF_IjEEEESM_EEEEEPS7_SP_SP_NSC_11hip_rocprim7__merge17predicate_wrapperIjjNSC_4lessIjEEEEEE10hipError_tPvRmT0_T1_T2_T3_T4_T5_mmT6_P12ihipStream_tbEUlT_E0_NS1_11comp_targetILNS1_3genE8ELNS1_11target_archE1030ELNS1_3gpuE2ELNS1_3repE0EEENS1_30default_config_static_selectorELNS0_4arch9wavefront6targetE0EEEvS10_: ; @_ZN7rocprim17ROCPRIM_400000_NS6detail17trampoline_kernelINS0_14default_configENS1_21merge_config_selectorINS0_5tupleIJjjEEENS0_10empty_typeEEEZNS1_10merge_implIS3_NS0_12zip_iteratorINS5_IJN6thrust23THRUST_200600_302600_NS6detail15normal_iteratorINSC_10device_ptrIKjEEEESI_EEEEESK_NSA_INS5_IJNSE_INSF_IjEEEESM_EEEEEPS7_SP_SP_NSC_11hip_rocprim7__merge17predicate_wrapperIjjNSC_4lessIjEEEEEE10hipError_tPvRmT0_T1_T2_T3_T4_T5_mmT6_P12ihipStream_tbEUlT_E0_NS1_11comp_targetILNS1_3genE8ELNS1_11target_archE1030ELNS1_3gpuE2ELNS1_3repE0EEENS1_30default_config_static_selectorELNS0_4arch9wavefront6targetE0EEEvS10_
; %bb.0:
	.section	.rodata,"a",@progbits
	.p2align	6, 0x0
	.amdhsa_kernel _ZN7rocprim17ROCPRIM_400000_NS6detail17trampoline_kernelINS0_14default_configENS1_21merge_config_selectorINS0_5tupleIJjjEEENS0_10empty_typeEEEZNS1_10merge_implIS3_NS0_12zip_iteratorINS5_IJN6thrust23THRUST_200600_302600_NS6detail15normal_iteratorINSC_10device_ptrIKjEEEESI_EEEEESK_NSA_INS5_IJNSE_INSF_IjEEEESM_EEEEEPS7_SP_SP_NSC_11hip_rocprim7__merge17predicate_wrapperIjjNSC_4lessIjEEEEEE10hipError_tPvRmT0_T1_T2_T3_T4_T5_mmT6_P12ihipStream_tbEUlT_E0_NS1_11comp_targetILNS1_3genE8ELNS1_11target_archE1030ELNS1_3gpuE2ELNS1_3repE0EEENS1_30default_config_static_selectorELNS0_4arch9wavefront6targetE0EEEvS10_
		.amdhsa_group_segment_fixed_size 0
		.amdhsa_private_segment_fixed_size 0
		.amdhsa_kernarg_size 112
		.amdhsa_user_sgpr_count 2
		.amdhsa_user_sgpr_dispatch_ptr 0
		.amdhsa_user_sgpr_queue_ptr 0
		.amdhsa_user_sgpr_kernarg_segment_ptr 1
		.amdhsa_user_sgpr_dispatch_id 0
		.amdhsa_user_sgpr_kernarg_preload_length 0
		.amdhsa_user_sgpr_kernarg_preload_offset 0
		.amdhsa_user_sgpr_private_segment_size 0
		.amdhsa_wavefront_size32 1
		.amdhsa_uses_dynamic_stack 0
		.amdhsa_enable_private_segment 0
		.amdhsa_system_sgpr_workgroup_id_x 1
		.amdhsa_system_sgpr_workgroup_id_y 0
		.amdhsa_system_sgpr_workgroup_id_z 0
		.amdhsa_system_sgpr_workgroup_info 0
		.amdhsa_system_vgpr_workitem_id 0
		.amdhsa_next_free_vgpr 1
		.amdhsa_next_free_sgpr 1
		.amdhsa_named_barrier_count 0
		.amdhsa_reserve_vcc 0
		.amdhsa_float_round_mode_32 0
		.amdhsa_float_round_mode_16_64 0
		.amdhsa_float_denorm_mode_32 3
		.amdhsa_float_denorm_mode_16_64 3
		.amdhsa_fp16_overflow 0
		.amdhsa_memory_ordered 1
		.amdhsa_forward_progress 1
		.amdhsa_inst_pref_size 0
		.amdhsa_round_robin_scheduling 0
		.amdhsa_exception_fp_ieee_invalid_op 0
		.amdhsa_exception_fp_denorm_src 0
		.amdhsa_exception_fp_ieee_div_zero 0
		.amdhsa_exception_fp_ieee_overflow 0
		.amdhsa_exception_fp_ieee_underflow 0
		.amdhsa_exception_fp_ieee_inexact 0
		.amdhsa_exception_int_div_zero 0
	.end_amdhsa_kernel
	.section	.text._ZN7rocprim17ROCPRIM_400000_NS6detail17trampoline_kernelINS0_14default_configENS1_21merge_config_selectorINS0_5tupleIJjjEEENS0_10empty_typeEEEZNS1_10merge_implIS3_NS0_12zip_iteratorINS5_IJN6thrust23THRUST_200600_302600_NS6detail15normal_iteratorINSC_10device_ptrIKjEEEESI_EEEEESK_NSA_INS5_IJNSE_INSF_IjEEEESM_EEEEEPS7_SP_SP_NSC_11hip_rocprim7__merge17predicate_wrapperIjjNSC_4lessIjEEEEEE10hipError_tPvRmT0_T1_T2_T3_T4_T5_mmT6_P12ihipStream_tbEUlT_E0_NS1_11comp_targetILNS1_3genE8ELNS1_11target_archE1030ELNS1_3gpuE2ELNS1_3repE0EEENS1_30default_config_static_selectorELNS0_4arch9wavefront6targetE0EEEvS10_,"axG",@progbits,_ZN7rocprim17ROCPRIM_400000_NS6detail17trampoline_kernelINS0_14default_configENS1_21merge_config_selectorINS0_5tupleIJjjEEENS0_10empty_typeEEEZNS1_10merge_implIS3_NS0_12zip_iteratorINS5_IJN6thrust23THRUST_200600_302600_NS6detail15normal_iteratorINSC_10device_ptrIKjEEEESI_EEEEESK_NSA_INS5_IJNSE_INSF_IjEEEESM_EEEEEPS7_SP_SP_NSC_11hip_rocprim7__merge17predicate_wrapperIjjNSC_4lessIjEEEEEE10hipError_tPvRmT0_T1_T2_T3_T4_T5_mmT6_P12ihipStream_tbEUlT_E0_NS1_11comp_targetILNS1_3genE8ELNS1_11target_archE1030ELNS1_3gpuE2ELNS1_3repE0EEENS1_30default_config_static_selectorELNS0_4arch9wavefront6targetE0EEEvS10_,comdat
.Lfunc_end150:
	.size	_ZN7rocprim17ROCPRIM_400000_NS6detail17trampoline_kernelINS0_14default_configENS1_21merge_config_selectorINS0_5tupleIJjjEEENS0_10empty_typeEEEZNS1_10merge_implIS3_NS0_12zip_iteratorINS5_IJN6thrust23THRUST_200600_302600_NS6detail15normal_iteratorINSC_10device_ptrIKjEEEESI_EEEEESK_NSA_INS5_IJNSE_INSF_IjEEEESM_EEEEEPS7_SP_SP_NSC_11hip_rocprim7__merge17predicate_wrapperIjjNSC_4lessIjEEEEEE10hipError_tPvRmT0_T1_T2_T3_T4_T5_mmT6_P12ihipStream_tbEUlT_E0_NS1_11comp_targetILNS1_3genE8ELNS1_11target_archE1030ELNS1_3gpuE2ELNS1_3repE0EEENS1_30default_config_static_selectorELNS0_4arch9wavefront6targetE0EEEvS10_, .Lfunc_end150-_ZN7rocprim17ROCPRIM_400000_NS6detail17trampoline_kernelINS0_14default_configENS1_21merge_config_selectorINS0_5tupleIJjjEEENS0_10empty_typeEEEZNS1_10merge_implIS3_NS0_12zip_iteratorINS5_IJN6thrust23THRUST_200600_302600_NS6detail15normal_iteratorINSC_10device_ptrIKjEEEESI_EEEEESK_NSA_INS5_IJNSE_INSF_IjEEEESM_EEEEEPS7_SP_SP_NSC_11hip_rocprim7__merge17predicate_wrapperIjjNSC_4lessIjEEEEEE10hipError_tPvRmT0_T1_T2_T3_T4_T5_mmT6_P12ihipStream_tbEUlT_E0_NS1_11comp_targetILNS1_3genE8ELNS1_11target_archE1030ELNS1_3gpuE2ELNS1_3repE0EEENS1_30default_config_static_selectorELNS0_4arch9wavefront6targetE0EEEvS10_
                                        ; -- End function
	.set _ZN7rocprim17ROCPRIM_400000_NS6detail17trampoline_kernelINS0_14default_configENS1_21merge_config_selectorINS0_5tupleIJjjEEENS0_10empty_typeEEEZNS1_10merge_implIS3_NS0_12zip_iteratorINS5_IJN6thrust23THRUST_200600_302600_NS6detail15normal_iteratorINSC_10device_ptrIKjEEEESI_EEEEESK_NSA_INS5_IJNSE_INSF_IjEEEESM_EEEEEPS7_SP_SP_NSC_11hip_rocprim7__merge17predicate_wrapperIjjNSC_4lessIjEEEEEE10hipError_tPvRmT0_T1_T2_T3_T4_T5_mmT6_P12ihipStream_tbEUlT_E0_NS1_11comp_targetILNS1_3genE8ELNS1_11target_archE1030ELNS1_3gpuE2ELNS1_3repE0EEENS1_30default_config_static_selectorELNS0_4arch9wavefront6targetE0EEEvS10_.num_vgpr, 0
	.set _ZN7rocprim17ROCPRIM_400000_NS6detail17trampoline_kernelINS0_14default_configENS1_21merge_config_selectorINS0_5tupleIJjjEEENS0_10empty_typeEEEZNS1_10merge_implIS3_NS0_12zip_iteratorINS5_IJN6thrust23THRUST_200600_302600_NS6detail15normal_iteratorINSC_10device_ptrIKjEEEESI_EEEEESK_NSA_INS5_IJNSE_INSF_IjEEEESM_EEEEEPS7_SP_SP_NSC_11hip_rocprim7__merge17predicate_wrapperIjjNSC_4lessIjEEEEEE10hipError_tPvRmT0_T1_T2_T3_T4_T5_mmT6_P12ihipStream_tbEUlT_E0_NS1_11comp_targetILNS1_3genE8ELNS1_11target_archE1030ELNS1_3gpuE2ELNS1_3repE0EEENS1_30default_config_static_selectorELNS0_4arch9wavefront6targetE0EEEvS10_.num_agpr, 0
	.set _ZN7rocprim17ROCPRIM_400000_NS6detail17trampoline_kernelINS0_14default_configENS1_21merge_config_selectorINS0_5tupleIJjjEEENS0_10empty_typeEEEZNS1_10merge_implIS3_NS0_12zip_iteratorINS5_IJN6thrust23THRUST_200600_302600_NS6detail15normal_iteratorINSC_10device_ptrIKjEEEESI_EEEEESK_NSA_INS5_IJNSE_INSF_IjEEEESM_EEEEEPS7_SP_SP_NSC_11hip_rocprim7__merge17predicate_wrapperIjjNSC_4lessIjEEEEEE10hipError_tPvRmT0_T1_T2_T3_T4_T5_mmT6_P12ihipStream_tbEUlT_E0_NS1_11comp_targetILNS1_3genE8ELNS1_11target_archE1030ELNS1_3gpuE2ELNS1_3repE0EEENS1_30default_config_static_selectorELNS0_4arch9wavefront6targetE0EEEvS10_.numbered_sgpr, 0
	.set _ZN7rocprim17ROCPRIM_400000_NS6detail17trampoline_kernelINS0_14default_configENS1_21merge_config_selectorINS0_5tupleIJjjEEENS0_10empty_typeEEEZNS1_10merge_implIS3_NS0_12zip_iteratorINS5_IJN6thrust23THRUST_200600_302600_NS6detail15normal_iteratorINSC_10device_ptrIKjEEEESI_EEEEESK_NSA_INS5_IJNSE_INSF_IjEEEESM_EEEEEPS7_SP_SP_NSC_11hip_rocprim7__merge17predicate_wrapperIjjNSC_4lessIjEEEEEE10hipError_tPvRmT0_T1_T2_T3_T4_T5_mmT6_P12ihipStream_tbEUlT_E0_NS1_11comp_targetILNS1_3genE8ELNS1_11target_archE1030ELNS1_3gpuE2ELNS1_3repE0EEENS1_30default_config_static_selectorELNS0_4arch9wavefront6targetE0EEEvS10_.num_named_barrier, 0
	.set _ZN7rocprim17ROCPRIM_400000_NS6detail17trampoline_kernelINS0_14default_configENS1_21merge_config_selectorINS0_5tupleIJjjEEENS0_10empty_typeEEEZNS1_10merge_implIS3_NS0_12zip_iteratorINS5_IJN6thrust23THRUST_200600_302600_NS6detail15normal_iteratorINSC_10device_ptrIKjEEEESI_EEEEESK_NSA_INS5_IJNSE_INSF_IjEEEESM_EEEEEPS7_SP_SP_NSC_11hip_rocprim7__merge17predicate_wrapperIjjNSC_4lessIjEEEEEE10hipError_tPvRmT0_T1_T2_T3_T4_T5_mmT6_P12ihipStream_tbEUlT_E0_NS1_11comp_targetILNS1_3genE8ELNS1_11target_archE1030ELNS1_3gpuE2ELNS1_3repE0EEENS1_30default_config_static_selectorELNS0_4arch9wavefront6targetE0EEEvS10_.private_seg_size, 0
	.set _ZN7rocprim17ROCPRIM_400000_NS6detail17trampoline_kernelINS0_14default_configENS1_21merge_config_selectorINS0_5tupleIJjjEEENS0_10empty_typeEEEZNS1_10merge_implIS3_NS0_12zip_iteratorINS5_IJN6thrust23THRUST_200600_302600_NS6detail15normal_iteratorINSC_10device_ptrIKjEEEESI_EEEEESK_NSA_INS5_IJNSE_INSF_IjEEEESM_EEEEEPS7_SP_SP_NSC_11hip_rocprim7__merge17predicate_wrapperIjjNSC_4lessIjEEEEEE10hipError_tPvRmT0_T1_T2_T3_T4_T5_mmT6_P12ihipStream_tbEUlT_E0_NS1_11comp_targetILNS1_3genE8ELNS1_11target_archE1030ELNS1_3gpuE2ELNS1_3repE0EEENS1_30default_config_static_selectorELNS0_4arch9wavefront6targetE0EEEvS10_.uses_vcc, 0
	.set _ZN7rocprim17ROCPRIM_400000_NS6detail17trampoline_kernelINS0_14default_configENS1_21merge_config_selectorINS0_5tupleIJjjEEENS0_10empty_typeEEEZNS1_10merge_implIS3_NS0_12zip_iteratorINS5_IJN6thrust23THRUST_200600_302600_NS6detail15normal_iteratorINSC_10device_ptrIKjEEEESI_EEEEESK_NSA_INS5_IJNSE_INSF_IjEEEESM_EEEEEPS7_SP_SP_NSC_11hip_rocprim7__merge17predicate_wrapperIjjNSC_4lessIjEEEEEE10hipError_tPvRmT0_T1_T2_T3_T4_T5_mmT6_P12ihipStream_tbEUlT_E0_NS1_11comp_targetILNS1_3genE8ELNS1_11target_archE1030ELNS1_3gpuE2ELNS1_3repE0EEENS1_30default_config_static_selectorELNS0_4arch9wavefront6targetE0EEEvS10_.uses_flat_scratch, 0
	.set _ZN7rocprim17ROCPRIM_400000_NS6detail17trampoline_kernelINS0_14default_configENS1_21merge_config_selectorINS0_5tupleIJjjEEENS0_10empty_typeEEEZNS1_10merge_implIS3_NS0_12zip_iteratorINS5_IJN6thrust23THRUST_200600_302600_NS6detail15normal_iteratorINSC_10device_ptrIKjEEEESI_EEEEESK_NSA_INS5_IJNSE_INSF_IjEEEESM_EEEEEPS7_SP_SP_NSC_11hip_rocprim7__merge17predicate_wrapperIjjNSC_4lessIjEEEEEE10hipError_tPvRmT0_T1_T2_T3_T4_T5_mmT6_P12ihipStream_tbEUlT_E0_NS1_11comp_targetILNS1_3genE8ELNS1_11target_archE1030ELNS1_3gpuE2ELNS1_3repE0EEENS1_30default_config_static_selectorELNS0_4arch9wavefront6targetE0EEEvS10_.has_dyn_sized_stack, 0
	.set _ZN7rocprim17ROCPRIM_400000_NS6detail17trampoline_kernelINS0_14default_configENS1_21merge_config_selectorINS0_5tupleIJjjEEENS0_10empty_typeEEEZNS1_10merge_implIS3_NS0_12zip_iteratorINS5_IJN6thrust23THRUST_200600_302600_NS6detail15normal_iteratorINSC_10device_ptrIKjEEEESI_EEEEESK_NSA_INS5_IJNSE_INSF_IjEEEESM_EEEEEPS7_SP_SP_NSC_11hip_rocprim7__merge17predicate_wrapperIjjNSC_4lessIjEEEEEE10hipError_tPvRmT0_T1_T2_T3_T4_T5_mmT6_P12ihipStream_tbEUlT_E0_NS1_11comp_targetILNS1_3genE8ELNS1_11target_archE1030ELNS1_3gpuE2ELNS1_3repE0EEENS1_30default_config_static_selectorELNS0_4arch9wavefront6targetE0EEEvS10_.has_recursion, 0
	.set _ZN7rocprim17ROCPRIM_400000_NS6detail17trampoline_kernelINS0_14default_configENS1_21merge_config_selectorINS0_5tupleIJjjEEENS0_10empty_typeEEEZNS1_10merge_implIS3_NS0_12zip_iteratorINS5_IJN6thrust23THRUST_200600_302600_NS6detail15normal_iteratorINSC_10device_ptrIKjEEEESI_EEEEESK_NSA_INS5_IJNSE_INSF_IjEEEESM_EEEEEPS7_SP_SP_NSC_11hip_rocprim7__merge17predicate_wrapperIjjNSC_4lessIjEEEEEE10hipError_tPvRmT0_T1_T2_T3_T4_T5_mmT6_P12ihipStream_tbEUlT_E0_NS1_11comp_targetILNS1_3genE8ELNS1_11target_archE1030ELNS1_3gpuE2ELNS1_3repE0EEENS1_30default_config_static_selectorELNS0_4arch9wavefront6targetE0EEEvS10_.has_indirect_call, 0
	.section	.AMDGPU.csdata,"",@progbits
; Kernel info:
; codeLenInByte = 0
; TotalNumSgprs: 0
; NumVgprs: 0
; ScratchSize: 0
; MemoryBound: 0
; FloatMode: 240
; IeeeMode: 1
; LDSByteSize: 0 bytes/workgroup (compile time only)
; SGPRBlocks: 0
; VGPRBlocks: 0
; NumSGPRsForWavesPerEU: 1
; NumVGPRsForWavesPerEU: 1
; NamedBarCnt: 0
; Occupancy: 16
; WaveLimiterHint : 0
; COMPUTE_PGM_RSRC2:SCRATCH_EN: 0
; COMPUTE_PGM_RSRC2:USER_SGPR: 2
; COMPUTE_PGM_RSRC2:TRAP_HANDLER: 0
; COMPUTE_PGM_RSRC2:TGID_X_EN: 1
; COMPUTE_PGM_RSRC2:TGID_Y_EN: 0
; COMPUTE_PGM_RSRC2:TGID_Z_EN: 0
; COMPUTE_PGM_RSRC2:TIDIG_COMP_CNT: 0
	.section	.text._ZN7rocprim17ROCPRIM_400000_NS6detail17trampoline_kernelINS0_14default_configENS1_22reduce_config_selectorIN6thrust23THRUST_200600_302600_NS5tupleIblNS6_9null_typeES8_S8_S8_S8_S8_S8_S8_EEEEZNS1_11reduce_implILb1ES3_NS6_12zip_iteratorINS7_INS6_11hip_rocprim26transform_input_iterator_tIbNSD_35transform_pair_of_input_iterators_tIbNS6_6detail15normal_iteratorINS6_10device_ptrIKjEEEESL_NS6_8equal_toIjEEEENSG_9not_fun_tINSD_8identityEEEEENSD_19counting_iterator_tIlEES8_S8_S8_S8_S8_S8_S8_S8_EEEEPS9_S9_NSD_9__find_if7functorIS9_EEEE10hipError_tPvRmT1_T2_T3_mT4_P12ihipStream_tbEUlT_E0_NS1_11comp_targetILNS1_3genE0ELNS1_11target_archE4294967295ELNS1_3gpuE0ELNS1_3repE0EEENS1_30default_config_static_selectorELNS0_4arch9wavefront6targetE0EEEvS14_,"axG",@progbits,_ZN7rocprim17ROCPRIM_400000_NS6detail17trampoline_kernelINS0_14default_configENS1_22reduce_config_selectorIN6thrust23THRUST_200600_302600_NS5tupleIblNS6_9null_typeES8_S8_S8_S8_S8_S8_S8_EEEEZNS1_11reduce_implILb1ES3_NS6_12zip_iteratorINS7_INS6_11hip_rocprim26transform_input_iterator_tIbNSD_35transform_pair_of_input_iterators_tIbNS6_6detail15normal_iteratorINS6_10device_ptrIKjEEEESL_NS6_8equal_toIjEEEENSG_9not_fun_tINSD_8identityEEEEENSD_19counting_iterator_tIlEES8_S8_S8_S8_S8_S8_S8_S8_EEEEPS9_S9_NSD_9__find_if7functorIS9_EEEE10hipError_tPvRmT1_T2_T3_mT4_P12ihipStream_tbEUlT_E0_NS1_11comp_targetILNS1_3genE0ELNS1_11target_archE4294967295ELNS1_3gpuE0ELNS1_3repE0EEENS1_30default_config_static_selectorELNS0_4arch9wavefront6targetE0EEEvS14_,comdat
	.protected	_ZN7rocprim17ROCPRIM_400000_NS6detail17trampoline_kernelINS0_14default_configENS1_22reduce_config_selectorIN6thrust23THRUST_200600_302600_NS5tupleIblNS6_9null_typeES8_S8_S8_S8_S8_S8_S8_EEEEZNS1_11reduce_implILb1ES3_NS6_12zip_iteratorINS7_INS6_11hip_rocprim26transform_input_iterator_tIbNSD_35transform_pair_of_input_iterators_tIbNS6_6detail15normal_iteratorINS6_10device_ptrIKjEEEESL_NS6_8equal_toIjEEEENSG_9not_fun_tINSD_8identityEEEEENSD_19counting_iterator_tIlEES8_S8_S8_S8_S8_S8_S8_S8_EEEEPS9_S9_NSD_9__find_if7functorIS9_EEEE10hipError_tPvRmT1_T2_T3_mT4_P12ihipStream_tbEUlT_E0_NS1_11comp_targetILNS1_3genE0ELNS1_11target_archE4294967295ELNS1_3gpuE0ELNS1_3repE0EEENS1_30default_config_static_selectorELNS0_4arch9wavefront6targetE0EEEvS14_ ; -- Begin function _ZN7rocprim17ROCPRIM_400000_NS6detail17trampoline_kernelINS0_14default_configENS1_22reduce_config_selectorIN6thrust23THRUST_200600_302600_NS5tupleIblNS6_9null_typeES8_S8_S8_S8_S8_S8_S8_EEEEZNS1_11reduce_implILb1ES3_NS6_12zip_iteratorINS7_INS6_11hip_rocprim26transform_input_iterator_tIbNSD_35transform_pair_of_input_iterators_tIbNS6_6detail15normal_iteratorINS6_10device_ptrIKjEEEESL_NS6_8equal_toIjEEEENSG_9not_fun_tINSD_8identityEEEEENSD_19counting_iterator_tIlEES8_S8_S8_S8_S8_S8_S8_S8_EEEEPS9_S9_NSD_9__find_if7functorIS9_EEEE10hipError_tPvRmT1_T2_T3_mT4_P12ihipStream_tbEUlT_E0_NS1_11comp_targetILNS1_3genE0ELNS1_11target_archE4294967295ELNS1_3gpuE0ELNS1_3repE0EEENS1_30default_config_static_selectorELNS0_4arch9wavefront6targetE0EEEvS14_
	.globl	_ZN7rocprim17ROCPRIM_400000_NS6detail17trampoline_kernelINS0_14default_configENS1_22reduce_config_selectorIN6thrust23THRUST_200600_302600_NS5tupleIblNS6_9null_typeES8_S8_S8_S8_S8_S8_S8_EEEEZNS1_11reduce_implILb1ES3_NS6_12zip_iteratorINS7_INS6_11hip_rocprim26transform_input_iterator_tIbNSD_35transform_pair_of_input_iterators_tIbNS6_6detail15normal_iteratorINS6_10device_ptrIKjEEEESL_NS6_8equal_toIjEEEENSG_9not_fun_tINSD_8identityEEEEENSD_19counting_iterator_tIlEES8_S8_S8_S8_S8_S8_S8_S8_EEEEPS9_S9_NSD_9__find_if7functorIS9_EEEE10hipError_tPvRmT1_T2_T3_mT4_P12ihipStream_tbEUlT_E0_NS1_11comp_targetILNS1_3genE0ELNS1_11target_archE4294967295ELNS1_3gpuE0ELNS1_3repE0EEENS1_30default_config_static_selectorELNS0_4arch9wavefront6targetE0EEEvS14_
	.p2align	8
	.type	_ZN7rocprim17ROCPRIM_400000_NS6detail17trampoline_kernelINS0_14default_configENS1_22reduce_config_selectorIN6thrust23THRUST_200600_302600_NS5tupleIblNS6_9null_typeES8_S8_S8_S8_S8_S8_S8_EEEEZNS1_11reduce_implILb1ES3_NS6_12zip_iteratorINS7_INS6_11hip_rocprim26transform_input_iterator_tIbNSD_35transform_pair_of_input_iterators_tIbNS6_6detail15normal_iteratorINS6_10device_ptrIKjEEEESL_NS6_8equal_toIjEEEENSG_9not_fun_tINSD_8identityEEEEENSD_19counting_iterator_tIlEES8_S8_S8_S8_S8_S8_S8_S8_EEEEPS9_S9_NSD_9__find_if7functorIS9_EEEE10hipError_tPvRmT1_T2_T3_mT4_P12ihipStream_tbEUlT_E0_NS1_11comp_targetILNS1_3genE0ELNS1_11target_archE4294967295ELNS1_3gpuE0ELNS1_3repE0EEENS1_30default_config_static_selectorELNS0_4arch9wavefront6targetE0EEEvS14_,@function
_ZN7rocprim17ROCPRIM_400000_NS6detail17trampoline_kernelINS0_14default_configENS1_22reduce_config_selectorIN6thrust23THRUST_200600_302600_NS5tupleIblNS6_9null_typeES8_S8_S8_S8_S8_S8_S8_EEEEZNS1_11reduce_implILb1ES3_NS6_12zip_iteratorINS7_INS6_11hip_rocprim26transform_input_iterator_tIbNSD_35transform_pair_of_input_iterators_tIbNS6_6detail15normal_iteratorINS6_10device_ptrIKjEEEESL_NS6_8equal_toIjEEEENSG_9not_fun_tINSD_8identityEEEEENSD_19counting_iterator_tIlEES8_S8_S8_S8_S8_S8_S8_S8_EEEEPS9_S9_NSD_9__find_if7functorIS9_EEEE10hipError_tPvRmT1_T2_T3_mT4_P12ihipStream_tbEUlT_E0_NS1_11comp_targetILNS1_3genE0ELNS1_11target_archE4294967295ELNS1_3gpuE0ELNS1_3repE0EEENS1_30default_config_static_selectorELNS0_4arch9wavefront6targetE0EEEvS14_: ; @_ZN7rocprim17ROCPRIM_400000_NS6detail17trampoline_kernelINS0_14default_configENS1_22reduce_config_selectorIN6thrust23THRUST_200600_302600_NS5tupleIblNS6_9null_typeES8_S8_S8_S8_S8_S8_S8_EEEEZNS1_11reduce_implILb1ES3_NS6_12zip_iteratorINS7_INS6_11hip_rocprim26transform_input_iterator_tIbNSD_35transform_pair_of_input_iterators_tIbNS6_6detail15normal_iteratorINS6_10device_ptrIKjEEEESL_NS6_8equal_toIjEEEENSG_9not_fun_tINSD_8identityEEEEENSD_19counting_iterator_tIlEES8_S8_S8_S8_S8_S8_S8_S8_EEEEPS9_S9_NSD_9__find_if7functorIS9_EEEE10hipError_tPvRmT1_T2_T3_mT4_P12ihipStream_tbEUlT_E0_NS1_11comp_targetILNS1_3genE0ELNS1_11target_archE4294967295ELNS1_3gpuE0ELNS1_3repE0EEENS1_30default_config_static_selectorELNS0_4arch9wavefront6targetE0EEEvS14_
; %bb.0:
	s_clause 0x2
	s_load_b256 s[4:11], s[0:1], 0x20
	s_load_b128 s[24:27], s[0:1], 0x0
	s_load_b128 s[12:15], s[0:1], 0x40
	s_bfe_u32 s3, ttmp6, 0x4000c
	s_and_b32 s2, ttmp6, 15
	s_add_co_i32 s3, s3, 1
	s_getreg_b32 s16, hwreg(HW_REG_IB_STS2, 6, 4)
	s_mul_i32 s3, ttmp9, s3
	s_mov_b32 s23, 0
	s_add_co_i32 s20, s2, s3
	v_mbcnt_lo_u32_b32 v8, -1, 0
	s_mov_b32 s17, s23
	s_wait_kmcnt 0x0
	s_lshl_b64 s[2:3], s[6:7], 2
	s_cmp_eq_u32 s16, 0
	s_add_nc_u64 s[18:19], s[24:25], s[2:3]
	s_cselect_b32 s16, ttmp9, s20
	s_add_nc_u64 s[2:3], s[26:27], s[2:3]
	s_lshl_b32 s22, s16, 8
	s_lshr_b64 s[20:21], s[8:9], 8
	s_lshl_b64 s[24:25], s[22:23], 2
	s_add_nc_u64 s[4:5], s[4:5], s[22:23]
	s_cmp_lg_u64 s[20:21], s[16:17]
	s_add_nc_u64 s[18:19], s[18:19], s[24:25]
	s_add_nc_u64 s[20:21], s[2:3], s[24:25]
	;; [unrolled: 1-line block ×3, first 2 shown]
	s_cbranch_scc0 .LBB151_10
; %bb.1:
	s_clause 0x3
	global_load_b32 v6, v0, s[18:19] scale_offset
	global_load_b32 v7, v0, s[20:21] scale_offset
	global_load_b32 v9, v0, s[20:21] offset:512 scale_offset
	global_load_b32 v10, v0, s[18:19] offset:512 scale_offset
	s_wait_loadcnt 0x2
	v_cmp_ne_u32_e32 vcc_lo, v6, v7
	v_mov_b32_e32 v1, 0
	s_wait_loadcnt 0x0
	v_cmp_ne_u32_e64 s2, v10, v9
	s_delay_alu instid0(VALU_DEP_2) | instskip(NEXT) | instid1(VALU_DEP_1)
	v_add_nc_u64_e32 v[2:3], s[6:7], v[0:1]
	v_add_nc_u64_e32 v[4:5], 0x80, v[2:3]
	s_delay_alu instid0(VALU_DEP_1) | instskip(NEXT) | instid1(VALU_DEP_1)
	v_cndmask_b32_e32 v3, v5, v3, vcc_lo
	v_mov_b32_dpp v5, v3 quad_perm:[1,0,3,2] row_mask:0xf bank_mask:0xf
	s_delay_alu instid0(VALU_DEP_3) | instskip(SKIP_3) | instid1(VALU_DEP_2)
	v_cndmask_b32_e32 v2, v4, v2, vcc_lo
	s_or_b32 vcc_lo, vcc_lo, s2
	s_mov_b32 s2, exec_lo
	v_cndmask_b32_e64 v9, 0, 1, vcc_lo
	v_mov_b32_dpp v4, v2 quad_perm:[1,0,3,2] row_mask:0xf bank_mask:0xf
	s_delay_alu instid0(VALU_DEP_2) | instskip(NEXT) | instid1(VALU_DEP_2)
	v_mov_b32_dpp v10, v9 quad_perm:[1,0,3,2] row_mask:0xf bank_mask:0xf
	v_min_i64 v[6:7], v[2:3], v[4:5]
	s_delay_alu instid0(VALU_DEP_1) | instskip(NEXT) | instid1(VALU_DEP_2)
	v_dual_cndmask_b32 v5, v5, v7, vcc_lo :: v_dual_bitop2_b32 v10, 1, v10 bitop3:0x40
	v_cndmask_b32_e32 v4, v4, v6, vcc_lo
	s_delay_alu instid0(VALU_DEP_2) | instskip(SKIP_1) | instid1(VALU_DEP_4)
	v_cmp_eq_u32_e32 vcc_lo, 1, v10
	v_cndmask_b32_e64 v9, v9, 1, vcc_lo
	v_cndmask_b32_e32 v3, v3, v5, vcc_lo
	s_delay_alu instid0(VALU_DEP_2) | instskip(SKIP_2) | instid1(VALU_DEP_4)
	v_and_b32_e32 v10, 1, v9
	v_mov_b32_dpp v11, v9 quad_perm:[2,3,0,1] row_mask:0xf bank_mask:0xf
	v_cndmask_b32_e32 v2, v2, v4, vcc_lo
	v_mov_b32_dpp v5, v3 quad_perm:[2,3,0,1] row_mask:0xf bank_mask:0xf
	s_delay_alu instid0(VALU_DEP_4) | instskip(NEXT) | instid1(VALU_DEP_4)
	v_cmp_eq_u32_e32 vcc_lo, 1, v10
	v_and_b32_e32 v10, 1, v11
	s_delay_alu instid0(VALU_DEP_4) | instskip(NEXT) | instid1(VALU_DEP_1)
	v_mov_b32_dpp v4, v2 quad_perm:[2,3,0,1] row_mask:0xf bank_mask:0xf
	v_min_i64 v[6:7], v[2:3], v[4:5]
	s_delay_alu instid0(VALU_DEP_1) | instskip(NEXT) | instid1(VALU_DEP_4)
	v_dual_cndmask_b32 v4, v4, v6 :: v_dual_cndmask_b32 v5, v5, v7
	v_cmp_eq_u32_e32 vcc_lo, 1, v10
	s_delay_alu instid0(VALU_DEP_2) | instskip(SKIP_1) | instid1(VALU_DEP_2)
	v_dual_cndmask_b32 v3, v3, v5 :: v_dual_cndmask_b32 v2, v2, v4
	v_cndmask_b32_e64 v9, v9, 1, vcc_lo
	v_mov_b32_dpp v5, v3 row_ror:4 row_mask:0xf bank_mask:0xf
	s_delay_alu instid0(VALU_DEP_3) | instskip(NEXT) | instid1(VALU_DEP_3)
	v_mov_b32_dpp v4, v2 row_ror:4 row_mask:0xf bank_mask:0xf
	v_mov_b32_dpp v11, v9 row_ror:4 row_mask:0xf bank_mask:0xf
	s_delay_alu instid0(VALU_DEP_2) | instskip(SKIP_1) | instid1(VALU_DEP_1)
	v_min_i64 v[6:7], v[2:3], v[4:5]
	v_and_b32_e32 v10, 1, v9
	v_cmp_eq_u32_e32 vcc_lo, 1, v10
	s_delay_alu instid0(VALU_DEP_3) | instskip(SKIP_1) | instid1(VALU_DEP_1)
	v_dual_cndmask_b32 v4, v4, v6 :: v_dual_cndmask_b32 v5, v5, v7
	v_and_b32_e32 v10, 1, v11
	v_cmp_eq_u32_e32 vcc_lo, 1, v10
	s_delay_alu instid0(VALU_DEP_3) | instskip(SKIP_1) | instid1(VALU_DEP_2)
	v_dual_cndmask_b32 v2, v2, v4 :: v_dual_cndmask_b32 v3, v3, v5
	v_cndmask_b32_e64 v9, v9, 1, vcc_lo
	v_mov_b32_dpp v4, v2 row_ror:8 row_mask:0xf bank_mask:0xf
	s_delay_alu instid0(VALU_DEP_3) | instskip(NEXT) | instid1(VALU_DEP_3)
	v_mov_b32_dpp v5, v3 row_ror:8 row_mask:0xf bank_mask:0xf
	v_mov_b32_dpp v11, v9 row_ror:8 row_mask:0xf bank_mask:0xf
	s_delay_alu instid0(VALU_DEP_2) | instskip(SKIP_1) | instid1(VALU_DEP_1)
	v_min_i64 v[6:7], v[2:3], v[4:5]
	v_and_b32_e32 v10, 1, v9
	v_cmp_eq_u32_e32 vcc_lo, 1, v10
	s_delay_alu instid0(VALU_DEP_3) | instskip(SKIP_1) | instid1(VALU_DEP_1)
	v_dual_cndmask_b32 v4, v4, v6 :: v_dual_cndmask_b32 v5, v5, v7
	v_and_b32_e32 v10, 1, v11
	v_cmp_eq_u32_e32 vcc_lo, 1, v10
	s_delay_alu instid0(VALU_DEP_3)
	v_dual_cndmask_b32 v2, v2, v4 :: v_dual_cndmask_b32 v3, v3, v5
	v_cndmask_b32_e64 v9, v9, 1, vcc_lo
	ds_swizzle_b32 v4, v2 offset:swizzle(BROADCAST,32,15)
	ds_swizzle_b32 v5, v3 offset:swizzle(BROADCAST,32,15)
	;; [unrolled: 1-line block ×3, first 2 shown]
	s_wait_dscnt 0x1
	v_min_i64 v[6:7], v[2:3], v[4:5]
	v_and_b32_e32 v11, 1, v9
	s_delay_alu instid0(VALU_DEP_1) | instskip(SKIP_1) | instid1(VALU_DEP_3)
	v_cmp_eq_u32_e32 vcc_lo, 1, v11
	s_wait_dscnt 0x0
	v_dual_cndmask_b32 v5, v5, v7, vcc_lo :: v_dual_bitop2_b32 v10, 1, v10 bitop3:0x40
	s_delay_alu instid0(VALU_DEP_4) | instskip(NEXT) | instid1(VALU_DEP_2)
	v_cndmask_b32_e32 v4, v4, v6, vcc_lo
	v_cmp_eq_u32_e32 vcc_lo, 1, v10
	s_delay_alu instid0(VALU_DEP_2)
	v_dual_cndmask_b32 v3, v3, v5 :: v_dual_cndmask_b32 v2, v2, v4
	v_cndmask_b32_e64 v5, v9, 1, vcc_lo
	ds_bpermute_b32 v3, v1, v3 offset:124
	ds_bpermute_b32 v2, v1, v2 offset:124
	;; [unrolled: 1-line block ×3, first 2 shown]
	v_cmpx_eq_u32_e32 0, v8
	s_cbranch_execz .LBB151_3
; %bb.2:
	v_lshrrev_b32_e32 v1, 1, v0
	s_delay_alu instid0(VALU_DEP_1)
	v_and_b32_e32 v1, 48, v1
	s_wait_dscnt 0x0
	ds_store_b8 v1, v6
	ds_store_b64 v1, v[2:3] offset:8
.LBB151_3:
	s_or_b32 exec_lo, exec_lo, s2
	s_delay_alu instid0(SALU_CYCLE_1)
	s_mov_b32 s2, exec_lo
	s_wait_dscnt 0x0
	s_barrier_signal -1
	s_barrier_wait -1
	v_cmpx_gt_u32_e32 32, v0
	s_cbranch_execz .LBB151_9
; %bb.4:
	v_and_b32_e32 v2, 3, v8
	s_delay_alu instid0(VALU_DEP_1) | instskip(SKIP_2) | instid1(VALU_DEP_1)
	v_cmp_ne_u32_e32 vcc_lo, 3, v2
	v_lshlrev_b32_e32 v3, 4, v2
	v_add_co_ci_u32_e64 v2, null, 0, v8, vcc_lo
	v_lshlrev_b32_e32 v2, 2, v2
	ds_load_u8 v1, v3
	ds_load_b64 v[4:5], v3 offset:8
	s_wait_dscnt 0x1
	v_and_b32_e32 v3, 0xff, v1
	s_wait_dscnt 0x0
	ds_bpermute_b32 v6, v2, v4
	ds_bpermute_b32 v7, v2, v5
	;; [unrolled: 1-line block ×3, first 2 shown]
	s_wait_dscnt 0x0
	v_and_b32_e32 v2, v1, v9
	s_delay_alu instid0(VALU_DEP_1) | instskip(NEXT) | instid1(VALU_DEP_1)
	v_and_b32_e32 v2, 1, v2
	v_cmp_eq_u32_e32 vcc_lo, 1, v2
                                        ; implicit-def: $vgpr2_vgpr3
	s_and_saveexec_b32 s3, vcc_lo
	s_delay_alu instid0(SALU_CYCLE_1)
	s_xor_b32 s3, exec_lo, s3
; %bb.5:
	v_min_i64 v[2:3], v[6:7], v[4:5]
                                        ; implicit-def: $vgpr1
                                        ; implicit-def: $vgpr6_vgpr7
                                        ; implicit-def: $vgpr4_vgpr5
                                        ; implicit-def: $vgpr9
; %bb.6:
	s_or_saveexec_b32 s3, s3
	v_dual_mov_b32 v11, 1 :: v_dual_lshlrev_b32 v10, 2, v8
	s_xor_b32 exec_lo, exec_lo, s3
; %bb.7:
	v_and_b32_e32 v1, 1, v1
	s_delay_alu instid0(VALU_DEP_1) | instskip(SKIP_2) | instid1(VALU_DEP_2)
	v_cmp_eq_u32_e32 vcc_lo, 1, v1
	v_and_b32_e32 v1, 0xff, v9
	v_dual_cndmask_b32 v3, v7, v5 :: v_dual_cndmask_b32 v2, v6, v4
	v_cndmask_b32_e64 v11, v1, 1, vcc_lo
; %bb.8:
	s_or_b32 exec_lo, exec_lo, s3
	s_delay_alu instid0(VALU_DEP_1) | instskip(NEXT) | instid1(VALU_DEP_1)
	v_and_b32_e32 v6, 1, v11
	v_cmp_eq_u32_e32 vcc_lo, 1, v6
	v_or_b32_e32 v1, 8, v10
	ds_bpermute_b32 v4, v1, v2
	ds_bpermute_b32 v5, v1, v3
	s_wait_dscnt 0x0
	v_min_i64 v[12:13], v[4:5], v[2:3]
	v_cndmask_b32_e32 v3, v5, v3, vcc_lo
	ds_bpermute_b32 v1, v1, v11
	v_cndmask_b32_e32 v2, v4, v2, vcc_lo
	s_wait_dscnt 0x0
	v_bitop3_b32 v6, v11, 1, v1 bitop3:0x80
	v_cndmask_b32_e64 v1, v1, 1, vcc_lo
	s_delay_alu instid0(VALU_DEP_2) | instskip(NEXT) | instid1(VALU_DEP_2)
	v_cmp_eq_u32_e32 vcc_lo, 0, v6
	v_dual_cndmask_b32 v6, 1, v1 :: v_dual_cndmask_b32 v3, v13, v3
	v_cndmask_b32_e32 v2, v12, v2, vcc_lo
.LBB151_9:
	s_or_b32 exec_lo, exec_lo, s2
	s_load_b64 s[4:5], s[0:1], 0x58
	s_branch .LBB151_34
.LBB151_10:
                                        ; implicit-def: $vgpr2_vgpr3
                                        ; implicit-def: $vgpr6
	s_load_b64 s[4:5], s[0:1], 0x58
	s_cbranch_execz .LBB151_34
; %bb.11:
	v_mov_b64_e32 v[4:5], 0
	v_mov_b64_e32 v[2:3], 0
	v_dual_mov_b32 v7, 0 :: v_dual_mov_b32 v1, 0
	s_sub_co_i32 s22, s8, s22
	s_mov_b32 s2, exec_lo
	v_cmpx_gt_u32_e64 s22, v0
	s_cbranch_execz .LBB151_13
; %bb.12:
	s_clause 0x1
	global_load_b32 v6, v0, s[18:19] scale_offset
	global_load_b32 v9, v0, s[20:21] scale_offset
	v_mov_b32_e32 v1, 0
	s_delay_alu instid0(VALU_DEP_1)
	v_add_nc_u64_e32 v[2:3], s[6:7], v[0:1]
	s_wait_loadcnt 0x0
	v_cmp_ne_u32_e32 vcc_lo, v6, v9
	v_cndmask_b32_e64 v1, 0, 1, vcc_lo
.LBB151_13:
	s_or_b32 exec_lo, exec_lo, s2
	v_or_b32_e32 v6, 0x80, v0
	s_delay_alu instid0(VALU_DEP_1)
	v_cmp_gt_u32_e32 vcc_lo, s22, v6
	s_and_saveexec_b32 s3, vcc_lo
	s_cbranch_execz .LBB151_15
; %bb.14:
	s_clause 0x1
	global_load_b32 v9, v0, s[18:19] offset:512 scale_offset
	global_load_b32 v10, v0, s[20:21] offset:512 scale_offset
	v_mov_b32_e32 v7, 0
	s_delay_alu instid0(VALU_DEP_1) | instskip(SKIP_2) | instid1(VALU_DEP_1)
	v_add_nc_u64_e32 v[4:5], s[6:7], v[6:7]
	s_wait_loadcnt 0x0
	v_cmp_ne_u32_e64 s2, v9, v10
	v_cndmask_b32_e64 v7, 0, 1, s2
.LBB151_15:
	s_or_b32 exec_lo, exec_lo, s3
	s_delay_alu instid0(VALU_DEP_3) | instskip(NEXT) | instid1(VALU_DEP_2)
	v_min_i64 v[10:11], v[4:5], v[2:3]
	v_and_b32_e32 v6, 1, v7
	s_mov_b32 s6, exec_lo
	s_delay_alu instid0(VALU_DEP_1) | instskip(SKIP_3) | instid1(VALU_DEP_4)
	v_cmp_eq_u32_e64 s2, 1, v6
	v_and_b32_e32 v9, 1, v1
	v_and_b32_e32 v6, 0xffff, v7
	;; [unrolled: 1-line block ×3, first 2 shown]
	v_cndmask_b32_e64 v7, v3, v11, s2
	s_delay_alu instid0(VALU_DEP_4) | instskip(SKIP_2) | instid1(VALU_DEP_3)
	v_cmp_eq_u32_e64 s3, 1, v9
	v_cndmask_b32_e64 v9, v2, v10, s2
	v_cmp_ne_u32_e64 s2, 31, v8
	v_cndmask_b32_e64 v6, v6, 1, s3
	s_delay_alu instid0(VALU_DEP_3) | instskip(NEXT) | instid1(VALU_DEP_3)
	v_dual_cndmask_b32 v4, v4, v9, s3 :: v_dual_cndmask_b32 v5, v5, v7, s3
	v_add_co_ci_u32_e64 v10, null, 0, v8, s2
	s_delay_alu instid0(VALU_DEP_2) | instskip(NEXT) | instid1(VALU_DEP_2)
	v_dual_cndmask_b32 v6, v1, v6, vcc_lo :: v_dual_cndmask_b32 v2, v2, v4, vcc_lo
	v_dual_cndmask_b32 v3, v3, v5, vcc_lo :: v_dual_lshlrev_b32 v9, 2, v10
	v_and_b32_e32 v1, 0x60, v0
	s_min_u32 s3, s22, 0x80
	ds_bpermute_b32 v7, v9, v6
	ds_bpermute_b32 v4, v9, v2
	;; [unrolled: 1-line block ×3, first 2 shown]
	v_sub_nc_u32_e64 v1, s3, v1 clamp
	v_add_nc_u32_e32 v9, 1, v8
	s_delay_alu instid0(VALU_DEP_1)
	v_cmpx_lt_u32_e64 v9, v1
	s_cbranch_execz .LBB151_17
; %bb.16:
	s_wait_dscnt 0x0
	v_min_i64 v[10:11], v[4:5], v[2:3]
	v_and_b32_e32 v9, 1, v6
	s_delay_alu instid0(VALU_DEP_1) | instskip(SKIP_3) | instid1(VALU_DEP_3)
	v_cmp_eq_u32_e32 vcc_lo, 1, v9
	v_and_b32_e32 v6, v6, v7
	v_and_b32_e32 v7, 0xff, v7
	v_dual_cndmask_b32 v2, v4, v2 :: v_dual_cndmask_b32 v3, v5, v3
	v_cmp_eq_u32_e64 s2, 0, v6
	s_delay_alu instid0(VALU_DEP_3) | instskip(NEXT) | instid1(VALU_DEP_1)
	v_cndmask_b32_e64 v4, v7, 1, vcc_lo
	v_dual_cndmask_b32 v6, 1, v4, s2 :: v_dual_cndmask_b32 v3, v11, v3, s2
	s_delay_alu instid0(VALU_DEP_4)
	v_cndmask_b32_e64 v2, v10, v2, s2
.LBB151_17:
	s_or_b32 exec_lo, exec_lo, s6
	v_cmp_gt_u32_e32 vcc_lo, 30, v8
	v_add_nc_u32_e32 v9, 2, v8
	s_mov_b32 s6, exec_lo
	s_wait_dscnt 0x1
	v_cndmask_b32_e64 v4, 0, 2, vcc_lo
	s_wait_dscnt 0x0
	s_delay_alu instid0(VALU_DEP_1)
	v_add_lshl_u32 v5, v4, v8, 2
	ds_bpermute_b32 v7, v5, v6
	ds_bpermute_b32 v4, v5, v2
	ds_bpermute_b32 v5, v5, v3
	v_cmpx_lt_u32_e64 v9, v1
	s_cbranch_execz .LBB151_19
; %bb.18:
	s_wait_dscnt 0x0
	v_min_i64 v[10:11], v[4:5], v[2:3]
	v_and_b32_e32 v9, 1, v6
	v_bitop3_b32 v6, v6, 1, v7 bitop3:0x80
	v_and_b32_e32 v7, 0xff, v7
	s_delay_alu instid0(VALU_DEP_3) | instskip(NEXT) | instid1(VALU_DEP_3)
	v_cmp_eq_u32_e32 vcc_lo, 1, v9
	v_cmp_eq_u32_e64 s2, 0, v6
	v_dual_cndmask_b32 v3, v5, v3 :: v_dual_cndmask_b32 v2, v4, v2
	s_delay_alu instid0(VALU_DEP_4) | instskip(NEXT) | instid1(VALU_DEP_1)
	v_cndmask_b32_e64 v4, v7, 1, vcc_lo
	v_dual_cndmask_b32 v6, 1, v4, s2 :: v_dual_cndmask_b32 v3, v11, v3, s2
	s_delay_alu instid0(VALU_DEP_3)
	v_cndmask_b32_e64 v2, v10, v2, s2
.LBB151_19:
	s_or_b32 exec_lo, exec_lo, s6
	v_cmp_gt_u32_e32 vcc_lo, 28, v8
	v_add_nc_u32_e32 v9, 4, v8
	s_mov_b32 s6, exec_lo
	s_wait_dscnt 0x1
	v_cndmask_b32_e64 v4, 0, 4, vcc_lo
	s_wait_dscnt 0x0
	s_delay_alu instid0(VALU_DEP_1)
	v_add_lshl_u32 v5, v4, v8, 2
	ds_bpermute_b32 v7, v5, v6
	ds_bpermute_b32 v4, v5, v2
	ds_bpermute_b32 v5, v5, v3
	v_cmpx_lt_u32_e64 v9, v1
	s_cbranch_execz .LBB151_21
; %bb.20:
	s_wait_dscnt 0x0
	v_min_i64 v[10:11], v[4:5], v[2:3]
	v_and_b32_e32 v9, 1, v6
	v_bitop3_b32 v6, v6, 1, v7 bitop3:0x80
	v_and_b32_e32 v7, 0xff, v7
	s_delay_alu instid0(VALU_DEP_3) | instskip(NEXT) | instid1(VALU_DEP_3)
	v_cmp_eq_u32_e32 vcc_lo, 1, v9
	v_cmp_eq_u32_e64 s2, 0, v6
	v_dual_cndmask_b32 v3, v5, v3 :: v_dual_cndmask_b32 v2, v4, v2
	s_delay_alu instid0(VALU_DEP_4) | instskip(NEXT) | instid1(VALU_DEP_1)
	v_cndmask_b32_e64 v4, v7, 1, vcc_lo
	v_dual_cndmask_b32 v6, 1, v4, s2 :: v_dual_cndmask_b32 v3, v11, v3, s2
	s_delay_alu instid0(VALU_DEP_3)
	v_cndmask_b32_e64 v2, v10, v2, s2
.LBB151_21:
	s_or_b32 exec_lo, exec_lo, s6
	v_cmp_gt_u32_e32 vcc_lo, 24, v8
	v_add_nc_u32_e32 v9, 8, v8
	s_mov_b32 s6, exec_lo
	s_wait_dscnt 0x1
	v_cndmask_b32_e64 v4, 0, 8, vcc_lo
	s_wait_dscnt 0x0
	s_delay_alu instid0(VALU_DEP_1)
	v_add_lshl_u32 v5, v4, v8, 2
	ds_bpermute_b32 v7, v5, v6
	ds_bpermute_b32 v4, v5, v2
	ds_bpermute_b32 v5, v5, v3
	v_cmpx_lt_u32_e64 v9, v1
	s_cbranch_execz .LBB151_23
; %bb.22:
	s_wait_dscnt 0x0
	v_min_i64 v[10:11], v[4:5], v[2:3]
	v_and_b32_e32 v9, 1, v6
	v_bitop3_b32 v6, v6, 1, v7 bitop3:0x80
	v_and_b32_e32 v7, 0xff, v7
	s_delay_alu instid0(VALU_DEP_3) | instskip(NEXT) | instid1(VALU_DEP_3)
	v_cmp_eq_u32_e32 vcc_lo, 1, v9
	v_cmp_eq_u32_e64 s2, 0, v6
	v_dual_cndmask_b32 v3, v5, v3 :: v_dual_cndmask_b32 v2, v4, v2
	s_delay_alu instid0(VALU_DEP_4) | instskip(NEXT) | instid1(VALU_DEP_1)
	v_cndmask_b32_e64 v4, v7, 1, vcc_lo
	v_dual_cndmask_b32 v6, 1, v4, s2 :: v_dual_cndmask_b32 v3, v11, v3, s2
	s_delay_alu instid0(VALU_DEP_3)
	v_cndmask_b32_e64 v2, v10, v2, s2
.LBB151_23:
	s_or_b32 exec_lo, exec_lo, s6
	s_wait_dscnt 0x2
	v_dual_lshlrev_b32 v7, 2, v8 :: v_dual_add_nc_u32 v10, 16, v8
	s_wait_dscnt 0x0
	s_delay_alu instid0(VALU_DEP_1) | instskip(NEXT) | instid1(VALU_DEP_2)
	v_or_b32_e32 v5, 64, v7
	v_cmp_lt_u32_e32 vcc_lo, v10, v1
	v_mov_b32_e32 v1, v6
	ds_bpermute_b32 v9, v5, v6
	ds_bpermute_b32 v4, v5, v2
	;; [unrolled: 1-line block ×3, first 2 shown]
	s_and_saveexec_b32 s6, vcc_lo
	s_cbranch_execz .LBB151_25
; %bb.24:
	s_wait_dscnt 0x0
	v_min_i64 v[10:11], v[4:5], v[2:3]
	v_and_b32_e32 v1, 1, v6
	v_bitop3_b32 v6, v6, 1, v9 bitop3:0x80
	s_delay_alu instid0(VALU_DEP_2) | instskip(NEXT) | instid1(VALU_DEP_2)
	v_cmp_eq_u32_e32 vcc_lo, 1, v1
	v_cmp_eq_u32_e64 s2, 0, v6
	v_cndmask_b32_e64 v1, v9, 1, vcc_lo
	v_dual_cndmask_b32 v3, v5, v3 :: v_dual_cndmask_b32 v2, v4, v2
	s_delay_alu instid0(VALU_DEP_2) | instskip(NEXT) | instid1(VALU_DEP_1)
	v_cndmask_b32_e64 v1, 1, v1, s2
	v_and_b32_e32 v6, 0xff, v1
	s_delay_alu instid0(VALU_DEP_3)
	v_dual_cndmask_b32 v3, v11, v3, s2 :: v_dual_cndmask_b32 v2, v10, v2, s2
.LBB151_25:
	s_or_b32 exec_lo, exec_lo, s6
	s_delay_alu instid0(SALU_CYCLE_1)
	s_mov_b32 s2, exec_lo
	v_cmpx_eq_u32_e32 0, v8
	s_cbranch_execz .LBB151_27
; %bb.26:
	s_wait_dscnt 0x1
	v_lshrrev_b32_e32 v4, 1, v0
	s_delay_alu instid0(VALU_DEP_1)
	v_and_b32_e32 v4, 48, v4
	ds_store_b8 v4, v1 offset:64
	ds_store_b64 v4, v[2:3] offset:72
.LBB151_27:
	s_or_b32 exec_lo, exec_lo, s2
	s_delay_alu instid0(SALU_CYCLE_1)
	s_mov_b32 s6, exec_lo
	s_wait_dscnt 0x0
	s_barrier_signal -1
	s_barrier_wait -1
	v_cmpx_gt_u32_e32 4, v0
	s_cbranch_execz .LBB151_33
; %bb.28:
	v_lshlrev_b32_e32 v1, 4, v8
	s_add_co_i32 s3, s3, 31
	s_mov_b32 s7, exec_lo
	s_lshr_b32 s3, s3, 5
	ds_load_u8 v9, v1 offset:64
	ds_load_b64 v[2:3], v1 offset:72
	v_and_b32_e32 v1, 3, v8
	s_delay_alu instid0(VALU_DEP_1) | instskip(SKIP_2) | instid1(VALU_DEP_1)
	v_cmp_ne_u32_e32 vcc_lo, 3, v1
	v_add_nc_u32_e32 v10, 1, v1
	v_add_co_ci_u32_e64 v4, null, 0, v8, vcc_lo
	v_lshlrev_b32_e32 v5, 2, v4
	s_wait_dscnt 0x1
	v_and_b32_e32 v6, 0xff, v9
	s_wait_dscnt 0x0
	ds_bpermute_b32 v4, v5, v2
	ds_bpermute_b32 v8, v5, v6
	;; [unrolled: 1-line block ×3, first 2 shown]
	v_cmpx_gt_u32_e64 s3, v10
	s_cbranch_execz .LBB151_30
; %bb.29:
	s_wait_dscnt 0x0
	v_min_i64 v[10:11], v[4:5], v[2:3]
	v_and_b32_e32 v9, 1, v9
	v_bitop3_b32 v6, v6, 1, v8 bitop3:0x80
	v_and_b32_e32 v8, 0xff, v8
	s_delay_alu instid0(VALU_DEP_3) | instskip(NEXT) | instid1(VALU_DEP_3)
	v_cmp_eq_u32_e32 vcc_lo, 1, v9
	v_cmp_eq_u32_e64 s2, 0, v6
	v_dual_cndmask_b32 v2, v4, v2 :: v_dual_cndmask_b32 v3, v5, v3
	s_delay_alu instid0(VALU_DEP_4) | instskip(NEXT) | instid1(VALU_DEP_1)
	v_cndmask_b32_e64 v4, v8, 1, vcc_lo
	v_dual_cndmask_b32 v6, 1, v4, s2 :: v_dual_cndmask_b32 v2, v10, v2, s2
	s_delay_alu instid0(VALU_DEP_3)
	v_cndmask_b32_e64 v3, v11, v3, s2
.LBB151_30:
	s_or_b32 exec_lo, exec_lo, s7
	s_wait_dscnt 0x0
	v_dual_add_nc_u32 v1, 2, v1 :: v_dual_bitop2_b32 v5, 8, v7 bitop3:0x54
	ds_bpermute_b32 v7, v5, v6
	ds_bpermute_b32 v4, v5, v2
	;; [unrolled: 1-line block ×3, first 2 shown]
	v_cmp_gt_u32_e32 vcc_lo, s3, v1
	s_and_saveexec_b32 s3, vcc_lo
	s_cbranch_execz .LBB151_32
; %bb.31:
	s_wait_dscnt 0x0
	v_min_i64 v[8:9], v[4:5], v[2:3]
	v_and_b32_e32 v1, 1, v6
	s_delay_alu instid0(VALU_DEP_1) | instskip(SKIP_2) | instid1(VALU_DEP_2)
	v_cmp_eq_u32_e32 vcc_lo, 1, v1
	v_bitop3_b32 v1, v6, 1, v7 bitop3:0x80
	v_cndmask_b32_e32 v3, v5, v3, vcc_lo
	v_cmp_eq_u32_e64 s2, 0, v1
	v_cndmask_b32_e32 v2, v4, v2, vcc_lo
	v_cndmask_b32_e64 v1, v7, 1, vcc_lo
	s_delay_alu instid0(VALU_DEP_1) | instskip(NEXT) | instid1(VALU_DEP_3)
	v_dual_cndmask_b32 v6, 1, v1, s2 :: v_dual_cndmask_b32 v3, v9, v3, s2
	v_cndmask_b32_e64 v2, v8, v2, s2
.LBB151_32:
	s_or_b32 exec_lo, exec_lo, s3
.LBB151_33:
	s_delay_alu instid0(SALU_CYCLE_1)
	s_or_b32 exec_lo, exec_lo, s6
.LBB151_34:
	s_wait_xcnt 0x0
	s_load_b32 s0, s[0:1], 0x50
	s_wait_xcnt 0x0
	s_mov_b32 s1, exec_lo
	v_cmpx_eq_u32_e32 0, v0
	s_cbranch_execz .LBB151_36
; %bb.35:
	s_mul_u64 s[2:3], s[14:15], s[12:13]
	s_delay_alu instid0(SALU_CYCLE_1)
	s_lshl_b64 s[2:3], s[2:3], 4
	s_cmp_eq_u64 s[8:9], 0
	s_add_nc_u64 s[2:3], s[10:11], s[2:3]
	s_cselect_b32 s1, -1, 0
	s_wait_kmcnt 0x0
	v_cndmask_b32_e64 v1, v3, s5, s1
	v_cndmask_b32_e64 v0, v2, s4, s1
	v_cndmask_b32_e64 v2, v6, s0, s1
	v_mov_b32_e32 v3, 0
	s_lshl_b64 s[0:1], s[16:17], 4
	s_delay_alu instid0(SALU_CYCLE_1)
	s_add_nc_u64 s[0:1], s[2:3], s[0:1]
	s_clause 0x1
	global_store_b8 v3, v2, s[0:1]
	global_store_b64 v3, v[0:1], s[0:1] offset:8
.LBB151_36:
	s_endpgm
	.section	.rodata,"a",@progbits
	.p2align	6, 0x0
	.amdhsa_kernel _ZN7rocprim17ROCPRIM_400000_NS6detail17trampoline_kernelINS0_14default_configENS1_22reduce_config_selectorIN6thrust23THRUST_200600_302600_NS5tupleIblNS6_9null_typeES8_S8_S8_S8_S8_S8_S8_EEEEZNS1_11reduce_implILb1ES3_NS6_12zip_iteratorINS7_INS6_11hip_rocprim26transform_input_iterator_tIbNSD_35transform_pair_of_input_iterators_tIbNS6_6detail15normal_iteratorINS6_10device_ptrIKjEEEESL_NS6_8equal_toIjEEEENSG_9not_fun_tINSD_8identityEEEEENSD_19counting_iterator_tIlEES8_S8_S8_S8_S8_S8_S8_S8_EEEEPS9_S9_NSD_9__find_if7functorIS9_EEEE10hipError_tPvRmT1_T2_T3_mT4_P12ihipStream_tbEUlT_E0_NS1_11comp_targetILNS1_3genE0ELNS1_11target_archE4294967295ELNS1_3gpuE0ELNS1_3repE0EEENS1_30default_config_static_selectorELNS0_4arch9wavefront6targetE0EEEvS14_
		.amdhsa_group_segment_fixed_size 128
		.amdhsa_private_segment_fixed_size 0
		.amdhsa_kernarg_size 104
		.amdhsa_user_sgpr_count 2
		.amdhsa_user_sgpr_dispatch_ptr 0
		.amdhsa_user_sgpr_queue_ptr 0
		.amdhsa_user_sgpr_kernarg_segment_ptr 1
		.amdhsa_user_sgpr_dispatch_id 0
		.amdhsa_user_sgpr_kernarg_preload_length 0
		.amdhsa_user_sgpr_kernarg_preload_offset 0
		.amdhsa_user_sgpr_private_segment_size 0
		.amdhsa_wavefront_size32 1
		.amdhsa_uses_dynamic_stack 0
		.amdhsa_enable_private_segment 0
		.amdhsa_system_sgpr_workgroup_id_x 1
		.amdhsa_system_sgpr_workgroup_id_y 0
		.amdhsa_system_sgpr_workgroup_id_z 0
		.amdhsa_system_sgpr_workgroup_info 0
		.amdhsa_system_vgpr_workitem_id 0
		.amdhsa_next_free_vgpr 14
		.amdhsa_next_free_sgpr 28
		.amdhsa_named_barrier_count 0
		.amdhsa_reserve_vcc 1
		.amdhsa_float_round_mode_32 0
		.amdhsa_float_round_mode_16_64 0
		.amdhsa_float_denorm_mode_32 3
		.amdhsa_float_denorm_mode_16_64 3
		.amdhsa_fp16_overflow 0
		.amdhsa_memory_ordered 1
		.amdhsa_forward_progress 1
		.amdhsa_inst_pref_size 23
		.amdhsa_round_robin_scheduling 0
		.amdhsa_exception_fp_ieee_invalid_op 0
		.amdhsa_exception_fp_denorm_src 0
		.amdhsa_exception_fp_ieee_div_zero 0
		.amdhsa_exception_fp_ieee_overflow 0
		.amdhsa_exception_fp_ieee_underflow 0
		.amdhsa_exception_fp_ieee_inexact 0
		.amdhsa_exception_int_div_zero 0
	.end_amdhsa_kernel
	.section	.text._ZN7rocprim17ROCPRIM_400000_NS6detail17trampoline_kernelINS0_14default_configENS1_22reduce_config_selectorIN6thrust23THRUST_200600_302600_NS5tupleIblNS6_9null_typeES8_S8_S8_S8_S8_S8_S8_EEEEZNS1_11reduce_implILb1ES3_NS6_12zip_iteratorINS7_INS6_11hip_rocprim26transform_input_iterator_tIbNSD_35transform_pair_of_input_iterators_tIbNS6_6detail15normal_iteratorINS6_10device_ptrIKjEEEESL_NS6_8equal_toIjEEEENSG_9not_fun_tINSD_8identityEEEEENSD_19counting_iterator_tIlEES8_S8_S8_S8_S8_S8_S8_S8_EEEEPS9_S9_NSD_9__find_if7functorIS9_EEEE10hipError_tPvRmT1_T2_T3_mT4_P12ihipStream_tbEUlT_E0_NS1_11comp_targetILNS1_3genE0ELNS1_11target_archE4294967295ELNS1_3gpuE0ELNS1_3repE0EEENS1_30default_config_static_selectorELNS0_4arch9wavefront6targetE0EEEvS14_,"axG",@progbits,_ZN7rocprim17ROCPRIM_400000_NS6detail17trampoline_kernelINS0_14default_configENS1_22reduce_config_selectorIN6thrust23THRUST_200600_302600_NS5tupleIblNS6_9null_typeES8_S8_S8_S8_S8_S8_S8_EEEEZNS1_11reduce_implILb1ES3_NS6_12zip_iteratorINS7_INS6_11hip_rocprim26transform_input_iterator_tIbNSD_35transform_pair_of_input_iterators_tIbNS6_6detail15normal_iteratorINS6_10device_ptrIKjEEEESL_NS6_8equal_toIjEEEENSG_9not_fun_tINSD_8identityEEEEENSD_19counting_iterator_tIlEES8_S8_S8_S8_S8_S8_S8_S8_EEEEPS9_S9_NSD_9__find_if7functorIS9_EEEE10hipError_tPvRmT1_T2_T3_mT4_P12ihipStream_tbEUlT_E0_NS1_11comp_targetILNS1_3genE0ELNS1_11target_archE4294967295ELNS1_3gpuE0ELNS1_3repE0EEENS1_30default_config_static_selectorELNS0_4arch9wavefront6targetE0EEEvS14_,comdat
.Lfunc_end151:
	.size	_ZN7rocprim17ROCPRIM_400000_NS6detail17trampoline_kernelINS0_14default_configENS1_22reduce_config_selectorIN6thrust23THRUST_200600_302600_NS5tupleIblNS6_9null_typeES8_S8_S8_S8_S8_S8_S8_EEEEZNS1_11reduce_implILb1ES3_NS6_12zip_iteratorINS7_INS6_11hip_rocprim26transform_input_iterator_tIbNSD_35transform_pair_of_input_iterators_tIbNS6_6detail15normal_iteratorINS6_10device_ptrIKjEEEESL_NS6_8equal_toIjEEEENSG_9not_fun_tINSD_8identityEEEEENSD_19counting_iterator_tIlEES8_S8_S8_S8_S8_S8_S8_S8_EEEEPS9_S9_NSD_9__find_if7functorIS9_EEEE10hipError_tPvRmT1_T2_T3_mT4_P12ihipStream_tbEUlT_E0_NS1_11comp_targetILNS1_3genE0ELNS1_11target_archE4294967295ELNS1_3gpuE0ELNS1_3repE0EEENS1_30default_config_static_selectorELNS0_4arch9wavefront6targetE0EEEvS14_, .Lfunc_end151-_ZN7rocprim17ROCPRIM_400000_NS6detail17trampoline_kernelINS0_14default_configENS1_22reduce_config_selectorIN6thrust23THRUST_200600_302600_NS5tupleIblNS6_9null_typeES8_S8_S8_S8_S8_S8_S8_EEEEZNS1_11reduce_implILb1ES3_NS6_12zip_iteratorINS7_INS6_11hip_rocprim26transform_input_iterator_tIbNSD_35transform_pair_of_input_iterators_tIbNS6_6detail15normal_iteratorINS6_10device_ptrIKjEEEESL_NS6_8equal_toIjEEEENSG_9not_fun_tINSD_8identityEEEEENSD_19counting_iterator_tIlEES8_S8_S8_S8_S8_S8_S8_S8_EEEEPS9_S9_NSD_9__find_if7functorIS9_EEEE10hipError_tPvRmT1_T2_T3_mT4_P12ihipStream_tbEUlT_E0_NS1_11comp_targetILNS1_3genE0ELNS1_11target_archE4294967295ELNS1_3gpuE0ELNS1_3repE0EEENS1_30default_config_static_selectorELNS0_4arch9wavefront6targetE0EEEvS14_
                                        ; -- End function
	.set _ZN7rocprim17ROCPRIM_400000_NS6detail17trampoline_kernelINS0_14default_configENS1_22reduce_config_selectorIN6thrust23THRUST_200600_302600_NS5tupleIblNS6_9null_typeES8_S8_S8_S8_S8_S8_S8_EEEEZNS1_11reduce_implILb1ES3_NS6_12zip_iteratorINS7_INS6_11hip_rocprim26transform_input_iterator_tIbNSD_35transform_pair_of_input_iterators_tIbNS6_6detail15normal_iteratorINS6_10device_ptrIKjEEEESL_NS6_8equal_toIjEEEENSG_9not_fun_tINSD_8identityEEEEENSD_19counting_iterator_tIlEES8_S8_S8_S8_S8_S8_S8_S8_EEEEPS9_S9_NSD_9__find_if7functorIS9_EEEE10hipError_tPvRmT1_T2_T3_mT4_P12ihipStream_tbEUlT_E0_NS1_11comp_targetILNS1_3genE0ELNS1_11target_archE4294967295ELNS1_3gpuE0ELNS1_3repE0EEENS1_30default_config_static_selectorELNS0_4arch9wavefront6targetE0EEEvS14_.num_vgpr, 14
	.set _ZN7rocprim17ROCPRIM_400000_NS6detail17trampoline_kernelINS0_14default_configENS1_22reduce_config_selectorIN6thrust23THRUST_200600_302600_NS5tupleIblNS6_9null_typeES8_S8_S8_S8_S8_S8_S8_EEEEZNS1_11reduce_implILb1ES3_NS6_12zip_iteratorINS7_INS6_11hip_rocprim26transform_input_iterator_tIbNSD_35transform_pair_of_input_iterators_tIbNS6_6detail15normal_iteratorINS6_10device_ptrIKjEEEESL_NS6_8equal_toIjEEEENSG_9not_fun_tINSD_8identityEEEEENSD_19counting_iterator_tIlEES8_S8_S8_S8_S8_S8_S8_S8_EEEEPS9_S9_NSD_9__find_if7functorIS9_EEEE10hipError_tPvRmT1_T2_T3_mT4_P12ihipStream_tbEUlT_E0_NS1_11comp_targetILNS1_3genE0ELNS1_11target_archE4294967295ELNS1_3gpuE0ELNS1_3repE0EEENS1_30default_config_static_selectorELNS0_4arch9wavefront6targetE0EEEvS14_.num_agpr, 0
	.set _ZN7rocprim17ROCPRIM_400000_NS6detail17trampoline_kernelINS0_14default_configENS1_22reduce_config_selectorIN6thrust23THRUST_200600_302600_NS5tupleIblNS6_9null_typeES8_S8_S8_S8_S8_S8_S8_EEEEZNS1_11reduce_implILb1ES3_NS6_12zip_iteratorINS7_INS6_11hip_rocprim26transform_input_iterator_tIbNSD_35transform_pair_of_input_iterators_tIbNS6_6detail15normal_iteratorINS6_10device_ptrIKjEEEESL_NS6_8equal_toIjEEEENSG_9not_fun_tINSD_8identityEEEEENSD_19counting_iterator_tIlEES8_S8_S8_S8_S8_S8_S8_S8_EEEEPS9_S9_NSD_9__find_if7functorIS9_EEEE10hipError_tPvRmT1_T2_T3_mT4_P12ihipStream_tbEUlT_E0_NS1_11comp_targetILNS1_3genE0ELNS1_11target_archE4294967295ELNS1_3gpuE0ELNS1_3repE0EEENS1_30default_config_static_selectorELNS0_4arch9wavefront6targetE0EEEvS14_.numbered_sgpr, 28
	.set _ZN7rocprim17ROCPRIM_400000_NS6detail17trampoline_kernelINS0_14default_configENS1_22reduce_config_selectorIN6thrust23THRUST_200600_302600_NS5tupleIblNS6_9null_typeES8_S8_S8_S8_S8_S8_S8_EEEEZNS1_11reduce_implILb1ES3_NS6_12zip_iteratorINS7_INS6_11hip_rocprim26transform_input_iterator_tIbNSD_35transform_pair_of_input_iterators_tIbNS6_6detail15normal_iteratorINS6_10device_ptrIKjEEEESL_NS6_8equal_toIjEEEENSG_9not_fun_tINSD_8identityEEEEENSD_19counting_iterator_tIlEES8_S8_S8_S8_S8_S8_S8_S8_EEEEPS9_S9_NSD_9__find_if7functorIS9_EEEE10hipError_tPvRmT1_T2_T3_mT4_P12ihipStream_tbEUlT_E0_NS1_11comp_targetILNS1_3genE0ELNS1_11target_archE4294967295ELNS1_3gpuE0ELNS1_3repE0EEENS1_30default_config_static_selectorELNS0_4arch9wavefront6targetE0EEEvS14_.num_named_barrier, 0
	.set _ZN7rocprim17ROCPRIM_400000_NS6detail17trampoline_kernelINS0_14default_configENS1_22reduce_config_selectorIN6thrust23THRUST_200600_302600_NS5tupleIblNS6_9null_typeES8_S8_S8_S8_S8_S8_S8_EEEEZNS1_11reduce_implILb1ES3_NS6_12zip_iteratorINS7_INS6_11hip_rocprim26transform_input_iterator_tIbNSD_35transform_pair_of_input_iterators_tIbNS6_6detail15normal_iteratorINS6_10device_ptrIKjEEEESL_NS6_8equal_toIjEEEENSG_9not_fun_tINSD_8identityEEEEENSD_19counting_iterator_tIlEES8_S8_S8_S8_S8_S8_S8_S8_EEEEPS9_S9_NSD_9__find_if7functorIS9_EEEE10hipError_tPvRmT1_T2_T3_mT4_P12ihipStream_tbEUlT_E0_NS1_11comp_targetILNS1_3genE0ELNS1_11target_archE4294967295ELNS1_3gpuE0ELNS1_3repE0EEENS1_30default_config_static_selectorELNS0_4arch9wavefront6targetE0EEEvS14_.private_seg_size, 0
	.set _ZN7rocprim17ROCPRIM_400000_NS6detail17trampoline_kernelINS0_14default_configENS1_22reduce_config_selectorIN6thrust23THRUST_200600_302600_NS5tupleIblNS6_9null_typeES8_S8_S8_S8_S8_S8_S8_EEEEZNS1_11reduce_implILb1ES3_NS6_12zip_iteratorINS7_INS6_11hip_rocprim26transform_input_iterator_tIbNSD_35transform_pair_of_input_iterators_tIbNS6_6detail15normal_iteratorINS6_10device_ptrIKjEEEESL_NS6_8equal_toIjEEEENSG_9not_fun_tINSD_8identityEEEEENSD_19counting_iterator_tIlEES8_S8_S8_S8_S8_S8_S8_S8_EEEEPS9_S9_NSD_9__find_if7functorIS9_EEEE10hipError_tPvRmT1_T2_T3_mT4_P12ihipStream_tbEUlT_E0_NS1_11comp_targetILNS1_3genE0ELNS1_11target_archE4294967295ELNS1_3gpuE0ELNS1_3repE0EEENS1_30default_config_static_selectorELNS0_4arch9wavefront6targetE0EEEvS14_.uses_vcc, 1
	.set _ZN7rocprim17ROCPRIM_400000_NS6detail17trampoline_kernelINS0_14default_configENS1_22reduce_config_selectorIN6thrust23THRUST_200600_302600_NS5tupleIblNS6_9null_typeES8_S8_S8_S8_S8_S8_S8_EEEEZNS1_11reduce_implILb1ES3_NS6_12zip_iteratorINS7_INS6_11hip_rocprim26transform_input_iterator_tIbNSD_35transform_pair_of_input_iterators_tIbNS6_6detail15normal_iteratorINS6_10device_ptrIKjEEEESL_NS6_8equal_toIjEEEENSG_9not_fun_tINSD_8identityEEEEENSD_19counting_iterator_tIlEES8_S8_S8_S8_S8_S8_S8_S8_EEEEPS9_S9_NSD_9__find_if7functorIS9_EEEE10hipError_tPvRmT1_T2_T3_mT4_P12ihipStream_tbEUlT_E0_NS1_11comp_targetILNS1_3genE0ELNS1_11target_archE4294967295ELNS1_3gpuE0ELNS1_3repE0EEENS1_30default_config_static_selectorELNS0_4arch9wavefront6targetE0EEEvS14_.uses_flat_scratch, 0
	.set _ZN7rocprim17ROCPRIM_400000_NS6detail17trampoline_kernelINS0_14default_configENS1_22reduce_config_selectorIN6thrust23THRUST_200600_302600_NS5tupleIblNS6_9null_typeES8_S8_S8_S8_S8_S8_S8_EEEEZNS1_11reduce_implILb1ES3_NS6_12zip_iteratorINS7_INS6_11hip_rocprim26transform_input_iterator_tIbNSD_35transform_pair_of_input_iterators_tIbNS6_6detail15normal_iteratorINS6_10device_ptrIKjEEEESL_NS6_8equal_toIjEEEENSG_9not_fun_tINSD_8identityEEEEENSD_19counting_iterator_tIlEES8_S8_S8_S8_S8_S8_S8_S8_EEEEPS9_S9_NSD_9__find_if7functorIS9_EEEE10hipError_tPvRmT1_T2_T3_mT4_P12ihipStream_tbEUlT_E0_NS1_11comp_targetILNS1_3genE0ELNS1_11target_archE4294967295ELNS1_3gpuE0ELNS1_3repE0EEENS1_30default_config_static_selectorELNS0_4arch9wavefront6targetE0EEEvS14_.has_dyn_sized_stack, 0
	.set _ZN7rocprim17ROCPRIM_400000_NS6detail17trampoline_kernelINS0_14default_configENS1_22reduce_config_selectorIN6thrust23THRUST_200600_302600_NS5tupleIblNS6_9null_typeES8_S8_S8_S8_S8_S8_S8_EEEEZNS1_11reduce_implILb1ES3_NS6_12zip_iteratorINS7_INS6_11hip_rocprim26transform_input_iterator_tIbNSD_35transform_pair_of_input_iterators_tIbNS6_6detail15normal_iteratorINS6_10device_ptrIKjEEEESL_NS6_8equal_toIjEEEENSG_9not_fun_tINSD_8identityEEEEENSD_19counting_iterator_tIlEES8_S8_S8_S8_S8_S8_S8_S8_EEEEPS9_S9_NSD_9__find_if7functorIS9_EEEE10hipError_tPvRmT1_T2_T3_mT4_P12ihipStream_tbEUlT_E0_NS1_11comp_targetILNS1_3genE0ELNS1_11target_archE4294967295ELNS1_3gpuE0ELNS1_3repE0EEENS1_30default_config_static_selectorELNS0_4arch9wavefront6targetE0EEEvS14_.has_recursion, 0
	.set _ZN7rocprim17ROCPRIM_400000_NS6detail17trampoline_kernelINS0_14default_configENS1_22reduce_config_selectorIN6thrust23THRUST_200600_302600_NS5tupleIblNS6_9null_typeES8_S8_S8_S8_S8_S8_S8_EEEEZNS1_11reduce_implILb1ES3_NS6_12zip_iteratorINS7_INS6_11hip_rocprim26transform_input_iterator_tIbNSD_35transform_pair_of_input_iterators_tIbNS6_6detail15normal_iteratorINS6_10device_ptrIKjEEEESL_NS6_8equal_toIjEEEENSG_9not_fun_tINSD_8identityEEEEENSD_19counting_iterator_tIlEES8_S8_S8_S8_S8_S8_S8_S8_EEEEPS9_S9_NSD_9__find_if7functorIS9_EEEE10hipError_tPvRmT1_T2_T3_mT4_P12ihipStream_tbEUlT_E0_NS1_11comp_targetILNS1_3genE0ELNS1_11target_archE4294967295ELNS1_3gpuE0ELNS1_3repE0EEENS1_30default_config_static_selectorELNS0_4arch9wavefront6targetE0EEEvS14_.has_indirect_call, 0
	.section	.AMDGPU.csdata,"",@progbits
; Kernel info:
; codeLenInByte = 2840
; TotalNumSgprs: 30
; NumVgprs: 14
; ScratchSize: 0
; MemoryBound: 0
; FloatMode: 240
; IeeeMode: 1
; LDSByteSize: 128 bytes/workgroup (compile time only)
; SGPRBlocks: 0
; VGPRBlocks: 0
; NumSGPRsForWavesPerEU: 30
; NumVGPRsForWavesPerEU: 14
; NamedBarCnt: 0
; Occupancy: 16
; WaveLimiterHint : 0
; COMPUTE_PGM_RSRC2:SCRATCH_EN: 0
; COMPUTE_PGM_RSRC2:USER_SGPR: 2
; COMPUTE_PGM_RSRC2:TRAP_HANDLER: 0
; COMPUTE_PGM_RSRC2:TGID_X_EN: 1
; COMPUTE_PGM_RSRC2:TGID_Y_EN: 0
; COMPUTE_PGM_RSRC2:TGID_Z_EN: 0
; COMPUTE_PGM_RSRC2:TIDIG_COMP_CNT: 0
	.section	.text._ZN7rocprim17ROCPRIM_400000_NS6detail17trampoline_kernelINS0_14default_configENS1_22reduce_config_selectorIN6thrust23THRUST_200600_302600_NS5tupleIblNS6_9null_typeES8_S8_S8_S8_S8_S8_S8_EEEEZNS1_11reduce_implILb1ES3_NS6_12zip_iteratorINS7_INS6_11hip_rocprim26transform_input_iterator_tIbNSD_35transform_pair_of_input_iterators_tIbNS6_6detail15normal_iteratorINS6_10device_ptrIKjEEEESL_NS6_8equal_toIjEEEENSG_9not_fun_tINSD_8identityEEEEENSD_19counting_iterator_tIlEES8_S8_S8_S8_S8_S8_S8_S8_EEEEPS9_S9_NSD_9__find_if7functorIS9_EEEE10hipError_tPvRmT1_T2_T3_mT4_P12ihipStream_tbEUlT_E0_NS1_11comp_targetILNS1_3genE5ELNS1_11target_archE942ELNS1_3gpuE9ELNS1_3repE0EEENS1_30default_config_static_selectorELNS0_4arch9wavefront6targetE0EEEvS14_,"axG",@progbits,_ZN7rocprim17ROCPRIM_400000_NS6detail17trampoline_kernelINS0_14default_configENS1_22reduce_config_selectorIN6thrust23THRUST_200600_302600_NS5tupleIblNS6_9null_typeES8_S8_S8_S8_S8_S8_S8_EEEEZNS1_11reduce_implILb1ES3_NS6_12zip_iteratorINS7_INS6_11hip_rocprim26transform_input_iterator_tIbNSD_35transform_pair_of_input_iterators_tIbNS6_6detail15normal_iteratorINS6_10device_ptrIKjEEEESL_NS6_8equal_toIjEEEENSG_9not_fun_tINSD_8identityEEEEENSD_19counting_iterator_tIlEES8_S8_S8_S8_S8_S8_S8_S8_EEEEPS9_S9_NSD_9__find_if7functorIS9_EEEE10hipError_tPvRmT1_T2_T3_mT4_P12ihipStream_tbEUlT_E0_NS1_11comp_targetILNS1_3genE5ELNS1_11target_archE942ELNS1_3gpuE9ELNS1_3repE0EEENS1_30default_config_static_selectorELNS0_4arch9wavefront6targetE0EEEvS14_,comdat
	.protected	_ZN7rocprim17ROCPRIM_400000_NS6detail17trampoline_kernelINS0_14default_configENS1_22reduce_config_selectorIN6thrust23THRUST_200600_302600_NS5tupleIblNS6_9null_typeES8_S8_S8_S8_S8_S8_S8_EEEEZNS1_11reduce_implILb1ES3_NS6_12zip_iteratorINS7_INS6_11hip_rocprim26transform_input_iterator_tIbNSD_35transform_pair_of_input_iterators_tIbNS6_6detail15normal_iteratorINS6_10device_ptrIKjEEEESL_NS6_8equal_toIjEEEENSG_9not_fun_tINSD_8identityEEEEENSD_19counting_iterator_tIlEES8_S8_S8_S8_S8_S8_S8_S8_EEEEPS9_S9_NSD_9__find_if7functorIS9_EEEE10hipError_tPvRmT1_T2_T3_mT4_P12ihipStream_tbEUlT_E0_NS1_11comp_targetILNS1_3genE5ELNS1_11target_archE942ELNS1_3gpuE9ELNS1_3repE0EEENS1_30default_config_static_selectorELNS0_4arch9wavefront6targetE0EEEvS14_ ; -- Begin function _ZN7rocprim17ROCPRIM_400000_NS6detail17trampoline_kernelINS0_14default_configENS1_22reduce_config_selectorIN6thrust23THRUST_200600_302600_NS5tupleIblNS6_9null_typeES8_S8_S8_S8_S8_S8_S8_EEEEZNS1_11reduce_implILb1ES3_NS6_12zip_iteratorINS7_INS6_11hip_rocprim26transform_input_iterator_tIbNSD_35transform_pair_of_input_iterators_tIbNS6_6detail15normal_iteratorINS6_10device_ptrIKjEEEESL_NS6_8equal_toIjEEEENSG_9not_fun_tINSD_8identityEEEEENSD_19counting_iterator_tIlEES8_S8_S8_S8_S8_S8_S8_S8_EEEEPS9_S9_NSD_9__find_if7functorIS9_EEEE10hipError_tPvRmT1_T2_T3_mT4_P12ihipStream_tbEUlT_E0_NS1_11comp_targetILNS1_3genE5ELNS1_11target_archE942ELNS1_3gpuE9ELNS1_3repE0EEENS1_30default_config_static_selectorELNS0_4arch9wavefront6targetE0EEEvS14_
	.globl	_ZN7rocprim17ROCPRIM_400000_NS6detail17trampoline_kernelINS0_14default_configENS1_22reduce_config_selectorIN6thrust23THRUST_200600_302600_NS5tupleIblNS6_9null_typeES8_S8_S8_S8_S8_S8_S8_EEEEZNS1_11reduce_implILb1ES3_NS6_12zip_iteratorINS7_INS6_11hip_rocprim26transform_input_iterator_tIbNSD_35transform_pair_of_input_iterators_tIbNS6_6detail15normal_iteratorINS6_10device_ptrIKjEEEESL_NS6_8equal_toIjEEEENSG_9not_fun_tINSD_8identityEEEEENSD_19counting_iterator_tIlEES8_S8_S8_S8_S8_S8_S8_S8_EEEEPS9_S9_NSD_9__find_if7functorIS9_EEEE10hipError_tPvRmT1_T2_T3_mT4_P12ihipStream_tbEUlT_E0_NS1_11comp_targetILNS1_3genE5ELNS1_11target_archE942ELNS1_3gpuE9ELNS1_3repE0EEENS1_30default_config_static_selectorELNS0_4arch9wavefront6targetE0EEEvS14_
	.p2align	8
	.type	_ZN7rocprim17ROCPRIM_400000_NS6detail17trampoline_kernelINS0_14default_configENS1_22reduce_config_selectorIN6thrust23THRUST_200600_302600_NS5tupleIblNS6_9null_typeES8_S8_S8_S8_S8_S8_S8_EEEEZNS1_11reduce_implILb1ES3_NS6_12zip_iteratorINS7_INS6_11hip_rocprim26transform_input_iterator_tIbNSD_35transform_pair_of_input_iterators_tIbNS6_6detail15normal_iteratorINS6_10device_ptrIKjEEEESL_NS6_8equal_toIjEEEENSG_9not_fun_tINSD_8identityEEEEENSD_19counting_iterator_tIlEES8_S8_S8_S8_S8_S8_S8_S8_EEEEPS9_S9_NSD_9__find_if7functorIS9_EEEE10hipError_tPvRmT1_T2_T3_mT4_P12ihipStream_tbEUlT_E0_NS1_11comp_targetILNS1_3genE5ELNS1_11target_archE942ELNS1_3gpuE9ELNS1_3repE0EEENS1_30default_config_static_selectorELNS0_4arch9wavefront6targetE0EEEvS14_,@function
_ZN7rocprim17ROCPRIM_400000_NS6detail17trampoline_kernelINS0_14default_configENS1_22reduce_config_selectorIN6thrust23THRUST_200600_302600_NS5tupleIblNS6_9null_typeES8_S8_S8_S8_S8_S8_S8_EEEEZNS1_11reduce_implILb1ES3_NS6_12zip_iteratorINS7_INS6_11hip_rocprim26transform_input_iterator_tIbNSD_35transform_pair_of_input_iterators_tIbNS6_6detail15normal_iteratorINS6_10device_ptrIKjEEEESL_NS6_8equal_toIjEEEENSG_9not_fun_tINSD_8identityEEEEENSD_19counting_iterator_tIlEES8_S8_S8_S8_S8_S8_S8_S8_EEEEPS9_S9_NSD_9__find_if7functorIS9_EEEE10hipError_tPvRmT1_T2_T3_mT4_P12ihipStream_tbEUlT_E0_NS1_11comp_targetILNS1_3genE5ELNS1_11target_archE942ELNS1_3gpuE9ELNS1_3repE0EEENS1_30default_config_static_selectorELNS0_4arch9wavefront6targetE0EEEvS14_: ; @_ZN7rocprim17ROCPRIM_400000_NS6detail17trampoline_kernelINS0_14default_configENS1_22reduce_config_selectorIN6thrust23THRUST_200600_302600_NS5tupleIblNS6_9null_typeES8_S8_S8_S8_S8_S8_S8_EEEEZNS1_11reduce_implILb1ES3_NS6_12zip_iteratorINS7_INS6_11hip_rocprim26transform_input_iterator_tIbNSD_35transform_pair_of_input_iterators_tIbNS6_6detail15normal_iteratorINS6_10device_ptrIKjEEEESL_NS6_8equal_toIjEEEENSG_9not_fun_tINSD_8identityEEEEENSD_19counting_iterator_tIlEES8_S8_S8_S8_S8_S8_S8_S8_EEEEPS9_S9_NSD_9__find_if7functorIS9_EEEE10hipError_tPvRmT1_T2_T3_mT4_P12ihipStream_tbEUlT_E0_NS1_11comp_targetILNS1_3genE5ELNS1_11target_archE942ELNS1_3gpuE9ELNS1_3repE0EEENS1_30default_config_static_selectorELNS0_4arch9wavefront6targetE0EEEvS14_
; %bb.0:
	.section	.rodata,"a",@progbits
	.p2align	6, 0x0
	.amdhsa_kernel _ZN7rocprim17ROCPRIM_400000_NS6detail17trampoline_kernelINS0_14default_configENS1_22reduce_config_selectorIN6thrust23THRUST_200600_302600_NS5tupleIblNS6_9null_typeES8_S8_S8_S8_S8_S8_S8_EEEEZNS1_11reduce_implILb1ES3_NS6_12zip_iteratorINS7_INS6_11hip_rocprim26transform_input_iterator_tIbNSD_35transform_pair_of_input_iterators_tIbNS6_6detail15normal_iteratorINS6_10device_ptrIKjEEEESL_NS6_8equal_toIjEEEENSG_9not_fun_tINSD_8identityEEEEENSD_19counting_iterator_tIlEES8_S8_S8_S8_S8_S8_S8_S8_EEEEPS9_S9_NSD_9__find_if7functorIS9_EEEE10hipError_tPvRmT1_T2_T3_mT4_P12ihipStream_tbEUlT_E0_NS1_11comp_targetILNS1_3genE5ELNS1_11target_archE942ELNS1_3gpuE9ELNS1_3repE0EEENS1_30default_config_static_selectorELNS0_4arch9wavefront6targetE0EEEvS14_
		.amdhsa_group_segment_fixed_size 0
		.amdhsa_private_segment_fixed_size 0
		.amdhsa_kernarg_size 104
		.amdhsa_user_sgpr_count 2
		.amdhsa_user_sgpr_dispatch_ptr 0
		.amdhsa_user_sgpr_queue_ptr 0
		.amdhsa_user_sgpr_kernarg_segment_ptr 1
		.amdhsa_user_sgpr_dispatch_id 0
		.amdhsa_user_sgpr_kernarg_preload_length 0
		.amdhsa_user_sgpr_kernarg_preload_offset 0
		.amdhsa_user_sgpr_private_segment_size 0
		.amdhsa_wavefront_size32 1
		.amdhsa_uses_dynamic_stack 0
		.amdhsa_enable_private_segment 0
		.amdhsa_system_sgpr_workgroup_id_x 1
		.amdhsa_system_sgpr_workgroup_id_y 0
		.amdhsa_system_sgpr_workgroup_id_z 0
		.amdhsa_system_sgpr_workgroup_info 0
		.amdhsa_system_vgpr_workitem_id 0
		.amdhsa_next_free_vgpr 1
		.amdhsa_next_free_sgpr 1
		.amdhsa_named_barrier_count 0
		.amdhsa_reserve_vcc 0
		.amdhsa_float_round_mode_32 0
		.amdhsa_float_round_mode_16_64 0
		.amdhsa_float_denorm_mode_32 3
		.amdhsa_float_denorm_mode_16_64 3
		.amdhsa_fp16_overflow 0
		.amdhsa_memory_ordered 1
		.amdhsa_forward_progress 1
		.amdhsa_inst_pref_size 0
		.amdhsa_round_robin_scheduling 0
		.amdhsa_exception_fp_ieee_invalid_op 0
		.amdhsa_exception_fp_denorm_src 0
		.amdhsa_exception_fp_ieee_div_zero 0
		.amdhsa_exception_fp_ieee_overflow 0
		.amdhsa_exception_fp_ieee_underflow 0
		.amdhsa_exception_fp_ieee_inexact 0
		.amdhsa_exception_int_div_zero 0
	.end_amdhsa_kernel
	.section	.text._ZN7rocprim17ROCPRIM_400000_NS6detail17trampoline_kernelINS0_14default_configENS1_22reduce_config_selectorIN6thrust23THRUST_200600_302600_NS5tupleIblNS6_9null_typeES8_S8_S8_S8_S8_S8_S8_EEEEZNS1_11reduce_implILb1ES3_NS6_12zip_iteratorINS7_INS6_11hip_rocprim26transform_input_iterator_tIbNSD_35transform_pair_of_input_iterators_tIbNS6_6detail15normal_iteratorINS6_10device_ptrIKjEEEESL_NS6_8equal_toIjEEEENSG_9not_fun_tINSD_8identityEEEEENSD_19counting_iterator_tIlEES8_S8_S8_S8_S8_S8_S8_S8_EEEEPS9_S9_NSD_9__find_if7functorIS9_EEEE10hipError_tPvRmT1_T2_T3_mT4_P12ihipStream_tbEUlT_E0_NS1_11comp_targetILNS1_3genE5ELNS1_11target_archE942ELNS1_3gpuE9ELNS1_3repE0EEENS1_30default_config_static_selectorELNS0_4arch9wavefront6targetE0EEEvS14_,"axG",@progbits,_ZN7rocprim17ROCPRIM_400000_NS6detail17trampoline_kernelINS0_14default_configENS1_22reduce_config_selectorIN6thrust23THRUST_200600_302600_NS5tupleIblNS6_9null_typeES8_S8_S8_S8_S8_S8_S8_EEEEZNS1_11reduce_implILb1ES3_NS6_12zip_iteratorINS7_INS6_11hip_rocprim26transform_input_iterator_tIbNSD_35transform_pair_of_input_iterators_tIbNS6_6detail15normal_iteratorINS6_10device_ptrIKjEEEESL_NS6_8equal_toIjEEEENSG_9not_fun_tINSD_8identityEEEEENSD_19counting_iterator_tIlEES8_S8_S8_S8_S8_S8_S8_S8_EEEEPS9_S9_NSD_9__find_if7functorIS9_EEEE10hipError_tPvRmT1_T2_T3_mT4_P12ihipStream_tbEUlT_E0_NS1_11comp_targetILNS1_3genE5ELNS1_11target_archE942ELNS1_3gpuE9ELNS1_3repE0EEENS1_30default_config_static_selectorELNS0_4arch9wavefront6targetE0EEEvS14_,comdat
.Lfunc_end152:
	.size	_ZN7rocprim17ROCPRIM_400000_NS6detail17trampoline_kernelINS0_14default_configENS1_22reduce_config_selectorIN6thrust23THRUST_200600_302600_NS5tupleIblNS6_9null_typeES8_S8_S8_S8_S8_S8_S8_EEEEZNS1_11reduce_implILb1ES3_NS6_12zip_iteratorINS7_INS6_11hip_rocprim26transform_input_iterator_tIbNSD_35transform_pair_of_input_iterators_tIbNS6_6detail15normal_iteratorINS6_10device_ptrIKjEEEESL_NS6_8equal_toIjEEEENSG_9not_fun_tINSD_8identityEEEEENSD_19counting_iterator_tIlEES8_S8_S8_S8_S8_S8_S8_S8_EEEEPS9_S9_NSD_9__find_if7functorIS9_EEEE10hipError_tPvRmT1_T2_T3_mT4_P12ihipStream_tbEUlT_E0_NS1_11comp_targetILNS1_3genE5ELNS1_11target_archE942ELNS1_3gpuE9ELNS1_3repE0EEENS1_30default_config_static_selectorELNS0_4arch9wavefront6targetE0EEEvS14_, .Lfunc_end152-_ZN7rocprim17ROCPRIM_400000_NS6detail17trampoline_kernelINS0_14default_configENS1_22reduce_config_selectorIN6thrust23THRUST_200600_302600_NS5tupleIblNS6_9null_typeES8_S8_S8_S8_S8_S8_S8_EEEEZNS1_11reduce_implILb1ES3_NS6_12zip_iteratorINS7_INS6_11hip_rocprim26transform_input_iterator_tIbNSD_35transform_pair_of_input_iterators_tIbNS6_6detail15normal_iteratorINS6_10device_ptrIKjEEEESL_NS6_8equal_toIjEEEENSG_9not_fun_tINSD_8identityEEEEENSD_19counting_iterator_tIlEES8_S8_S8_S8_S8_S8_S8_S8_EEEEPS9_S9_NSD_9__find_if7functorIS9_EEEE10hipError_tPvRmT1_T2_T3_mT4_P12ihipStream_tbEUlT_E0_NS1_11comp_targetILNS1_3genE5ELNS1_11target_archE942ELNS1_3gpuE9ELNS1_3repE0EEENS1_30default_config_static_selectorELNS0_4arch9wavefront6targetE0EEEvS14_
                                        ; -- End function
	.set _ZN7rocprim17ROCPRIM_400000_NS6detail17trampoline_kernelINS0_14default_configENS1_22reduce_config_selectorIN6thrust23THRUST_200600_302600_NS5tupleIblNS6_9null_typeES8_S8_S8_S8_S8_S8_S8_EEEEZNS1_11reduce_implILb1ES3_NS6_12zip_iteratorINS7_INS6_11hip_rocprim26transform_input_iterator_tIbNSD_35transform_pair_of_input_iterators_tIbNS6_6detail15normal_iteratorINS6_10device_ptrIKjEEEESL_NS6_8equal_toIjEEEENSG_9not_fun_tINSD_8identityEEEEENSD_19counting_iterator_tIlEES8_S8_S8_S8_S8_S8_S8_S8_EEEEPS9_S9_NSD_9__find_if7functorIS9_EEEE10hipError_tPvRmT1_T2_T3_mT4_P12ihipStream_tbEUlT_E0_NS1_11comp_targetILNS1_3genE5ELNS1_11target_archE942ELNS1_3gpuE9ELNS1_3repE0EEENS1_30default_config_static_selectorELNS0_4arch9wavefront6targetE0EEEvS14_.num_vgpr, 0
	.set _ZN7rocprim17ROCPRIM_400000_NS6detail17trampoline_kernelINS0_14default_configENS1_22reduce_config_selectorIN6thrust23THRUST_200600_302600_NS5tupleIblNS6_9null_typeES8_S8_S8_S8_S8_S8_S8_EEEEZNS1_11reduce_implILb1ES3_NS6_12zip_iteratorINS7_INS6_11hip_rocprim26transform_input_iterator_tIbNSD_35transform_pair_of_input_iterators_tIbNS6_6detail15normal_iteratorINS6_10device_ptrIKjEEEESL_NS6_8equal_toIjEEEENSG_9not_fun_tINSD_8identityEEEEENSD_19counting_iterator_tIlEES8_S8_S8_S8_S8_S8_S8_S8_EEEEPS9_S9_NSD_9__find_if7functorIS9_EEEE10hipError_tPvRmT1_T2_T3_mT4_P12ihipStream_tbEUlT_E0_NS1_11comp_targetILNS1_3genE5ELNS1_11target_archE942ELNS1_3gpuE9ELNS1_3repE0EEENS1_30default_config_static_selectorELNS0_4arch9wavefront6targetE0EEEvS14_.num_agpr, 0
	.set _ZN7rocprim17ROCPRIM_400000_NS6detail17trampoline_kernelINS0_14default_configENS1_22reduce_config_selectorIN6thrust23THRUST_200600_302600_NS5tupleIblNS6_9null_typeES8_S8_S8_S8_S8_S8_S8_EEEEZNS1_11reduce_implILb1ES3_NS6_12zip_iteratorINS7_INS6_11hip_rocprim26transform_input_iterator_tIbNSD_35transform_pair_of_input_iterators_tIbNS6_6detail15normal_iteratorINS6_10device_ptrIKjEEEESL_NS6_8equal_toIjEEEENSG_9not_fun_tINSD_8identityEEEEENSD_19counting_iterator_tIlEES8_S8_S8_S8_S8_S8_S8_S8_EEEEPS9_S9_NSD_9__find_if7functorIS9_EEEE10hipError_tPvRmT1_T2_T3_mT4_P12ihipStream_tbEUlT_E0_NS1_11comp_targetILNS1_3genE5ELNS1_11target_archE942ELNS1_3gpuE9ELNS1_3repE0EEENS1_30default_config_static_selectorELNS0_4arch9wavefront6targetE0EEEvS14_.numbered_sgpr, 0
	.set _ZN7rocprim17ROCPRIM_400000_NS6detail17trampoline_kernelINS0_14default_configENS1_22reduce_config_selectorIN6thrust23THRUST_200600_302600_NS5tupleIblNS6_9null_typeES8_S8_S8_S8_S8_S8_S8_EEEEZNS1_11reduce_implILb1ES3_NS6_12zip_iteratorINS7_INS6_11hip_rocprim26transform_input_iterator_tIbNSD_35transform_pair_of_input_iterators_tIbNS6_6detail15normal_iteratorINS6_10device_ptrIKjEEEESL_NS6_8equal_toIjEEEENSG_9not_fun_tINSD_8identityEEEEENSD_19counting_iterator_tIlEES8_S8_S8_S8_S8_S8_S8_S8_EEEEPS9_S9_NSD_9__find_if7functorIS9_EEEE10hipError_tPvRmT1_T2_T3_mT4_P12ihipStream_tbEUlT_E0_NS1_11comp_targetILNS1_3genE5ELNS1_11target_archE942ELNS1_3gpuE9ELNS1_3repE0EEENS1_30default_config_static_selectorELNS0_4arch9wavefront6targetE0EEEvS14_.num_named_barrier, 0
	.set _ZN7rocprim17ROCPRIM_400000_NS6detail17trampoline_kernelINS0_14default_configENS1_22reduce_config_selectorIN6thrust23THRUST_200600_302600_NS5tupleIblNS6_9null_typeES8_S8_S8_S8_S8_S8_S8_EEEEZNS1_11reduce_implILb1ES3_NS6_12zip_iteratorINS7_INS6_11hip_rocprim26transform_input_iterator_tIbNSD_35transform_pair_of_input_iterators_tIbNS6_6detail15normal_iteratorINS6_10device_ptrIKjEEEESL_NS6_8equal_toIjEEEENSG_9not_fun_tINSD_8identityEEEEENSD_19counting_iterator_tIlEES8_S8_S8_S8_S8_S8_S8_S8_EEEEPS9_S9_NSD_9__find_if7functorIS9_EEEE10hipError_tPvRmT1_T2_T3_mT4_P12ihipStream_tbEUlT_E0_NS1_11comp_targetILNS1_3genE5ELNS1_11target_archE942ELNS1_3gpuE9ELNS1_3repE0EEENS1_30default_config_static_selectorELNS0_4arch9wavefront6targetE0EEEvS14_.private_seg_size, 0
	.set _ZN7rocprim17ROCPRIM_400000_NS6detail17trampoline_kernelINS0_14default_configENS1_22reduce_config_selectorIN6thrust23THRUST_200600_302600_NS5tupleIblNS6_9null_typeES8_S8_S8_S8_S8_S8_S8_EEEEZNS1_11reduce_implILb1ES3_NS6_12zip_iteratorINS7_INS6_11hip_rocprim26transform_input_iterator_tIbNSD_35transform_pair_of_input_iterators_tIbNS6_6detail15normal_iteratorINS6_10device_ptrIKjEEEESL_NS6_8equal_toIjEEEENSG_9not_fun_tINSD_8identityEEEEENSD_19counting_iterator_tIlEES8_S8_S8_S8_S8_S8_S8_S8_EEEEPS9_S9_NSD_9__find_if7functorIS9_EEEE10hipError_tPvRmT1_T2_T3_mT4_P12ihipStream_tbEUlT_E0_NS1_11comp_targetILNS1_3genE5ELNS1_11target_archE942ELNS1_3gpuE9ELNS1_3repE0EEENS1_30default_config_static_selectorELNS0_4arch9wavefront6targetE0EEEvS14_.uses_vcc, 0
	.set _ZN7rocprim17ROCPRIM_400000_NS6detail17trampoline_kernelINS0_14default_configENS1_22reduce_config_selectorIN6thrust23THRUST_200600_302600_NS5tupleIblNS6_9null_typeES8_S8_S8_S8_S8_S8_S8_EEEEZNS1_11reduce_implILb1ES3_NS6_12zip_iteratorINS7_INS6_11hip_rocprim26transform_input_iterator_tIbNSD_35transform_pair_of_input_iterators_tIbNS6_6detail15normal_iteratorINS6_10device_ptrIKjEEEESL_NS6_8equal_toIjEEEENSG_9not_fun_tINSD_8identityEEEEENSD_19counting_iterator_tIlEES8_S8_S8_S8_S8_S8_S8_S8_EEEEPS9_S9_NSD_9__find_if7functorIS9_EEEE10hipError_tPvRmT1_T2_T3_mT4_P12ihipStream_tbEUlT_E0_NS1_11comp_targetILNS1_3genE5ELNS1_11target_archE942ELNS1_3gpuE9ELNS1_3repE0EEENS1_30default_config_static_selectorELNS0_4arch9wavefront6targetE0EEEvS14_.uses_flat_scratch, 0
	.set _ZN7rocprim17ROCPRIM_400000_NS6detail17trampoline_kernelINS0_14default_configENS1_22reduce_config_selectorIN6thrust23THRUST_200600_302600_NS5tupleIblNS6_9null_typeES8_S8_S8_S8_S8_S8_S8_EEEEZNS1_11reduce_implILb1ES3_NS6_12zip_iteratorINS7_INS6_11hip_rocprim26transform_input_iterator_tIbNSD_35transform_pair_of_input_iterators_tIbNS6_6detail15normal_iteratorINS6_10device_ptrIKjEEEESL_NS6_8equal_toIjEEEENSG_9not_fun_tINSD_8identityEEEEENSD_19counting_iterator_tIlEES8_S8_S8_S8_S8_S8_S8_S8_EEEEPS9_S9_NSD_9__find_if7functorIS9_EEEE10hipError_tPvRmT1_T2_T3_mT4_P12ihipStream_tbEUlT_E0_NS1_11comp_targetILNS1_3genE5ELNS1_11target_archE942ELNS1_3gpuE9ELNS1_3repE0EEENS1_30default_config_static_selectorELNS0_4arch9wavefront6targetE0EEEvS14_.has_dyn_sized_stack, 0
	.set _ZN7rocprim17ROCPRIM_400000_NS6detail17trampoline_kernelINS0_14default_configENS1_22reduce_config_selectorIN6thrust23THRUST_200600_302600_NS5tupleIblNS6_9null_typeES8_S8_S8_S8_S8_S8_S8_EEEEZNS1_11reduce_implILb1ES3_NS6_12zip_iteratorINS7_INS6_11hip_rocprim26transform_input_iterator_tIbNSD_35transform_pair_of_input_iterators_tIbNS6_6detail15normal_iteratorINS6_10device_ptrIKjEEEESL_NS6_8equal_toIjEEEENSG_9not_fun_tINSD_8identityEEEEENSD_19counting_iterator_tIlEES8_S8_S8_S8_S8_S8_S8_S8_EEEEPS9_S9_NSD_9__find_if7functorIS9_EEEE10hipError_tPvRmT1_T2_T3_mT4_P12ihipStream_tbEUlT_E0_NS1_11comp_targetILNS1_3genE5ELNS1_11target_archE942ELNS1_3gpuE9ELNS1_3repE0EEENS1_30default_config_static_selectorELNS0_4arch9wavefront6targetE0EEEvS14_.has_recursion, 0
	.set _ZN7rocprim17ROCPRIM_400000_NS6detail17trampoline_kernelINS0_14default_configENS1_22reduce_config_selectorIN6thrust23THRUST_200600_302600_NS5tupleIblNS6_9null_typeES8_S8_S8_S8_S8_S8_S8_EEEEZNS1_11reduce_implILb1ES3_NS6_12zip_iteratorINS7_INS6_11hip_rocprim26transform_input_iterator_tIbNSD_35transform_pair_of_input_iterators_tIbNS6_6detail15normal_iteratorINS6_10device_ptrIKjEEEESL_NS6_8equal_toIjEEEENSG_9not_fun_tINSD_8identityEEEEENSD_19counting_iterator_tIlEES8_S8_S8_S8_S8_S8_S8_S8_EEEEPS9_S9_NSD_9__find_if7functorIS9_EEEE10hipError_tPvRmT1_T2_T3_mT4_P12ihipStream_tbEUlT_E0_NS1_11comp_targetILNS1_3genE5ELNS1_11target_archE942ELNS1_3gpuE9ELNS1_3repE0EEENS1_30default_config_static_selectorELNS0_4arch9wavefront6targetE0EEEvS14_.has_indirect_call, 0
	.section	.AMDGPU.csdata,"",@progbits
; Kernel info:
; codeLenInByte = 0
; TotalNumSgprs: 0
; NumVgprs: 0
; ScratchSize: 0
; MemoryBound: 0
; FloatMode: 240
; IeeeMode: 1
; LDSByteSize: 0 bytes/workgroup (compile time only)
; SGPRBlocks: 0
; VGPRBlocks: 0
; NumSGPRsForWavesPerEU: 1
; NumVGPRsForWavesPerEU: 1
; NamedBarCnt: 0
; Occupancy: 16
; WaveLimiterHint : 0
; COMPUTE_PGM_RSRC2:SCRATCH_EN: 0
; COMPUTE_PGM_RSRC2:USER_SGPR: 2
; COMPUTE_PGM_RSRC2:TRAP_HANDLER: 0
; COMPUTE_PGM_RSRC2:TGID_X_EN: 1
; COMPUTE_PGM_RSRC2:TGID_Y_EN: 0
; COMPUTE_PGM_RSRC2:TGID_Z_EN: 0
; COMPUTE_PGM_RSRC2:TIDIG_COMP_CNT: 0
	.section	.text._ZN7rocprim17ROCPRIM_400000_NS6detail17trampoline_kernelINS0_14default_configENS1_22reduce_config_selectorIN6thrust23THRUST_200600_302600_NS5tupleIblNS6_9null_typeES8_S8_S8_S8_S8_S8_S8_EEEEZNS1_11reduce_implILb1ES3_NS6_12zip_iteratorINS7_INS6_11hip_rocprim26transform_input_iterator_tIbNSD_35transform_pair_of_input_iterators_tIbNS6_6detail15normal_iteratorINS6_10device_ptrIKjEEEESL_NS6_8equal_toIjEEEENSG_9not_fun_tINSD_8identityEEEEENSD_19counting_iterator_tIlEES8_S8_S8_S8_S8_S8_S8_S8_EEEEPS9_S9_NSD_9__find_if7functorIS9_EEEE10hipError_tPvRmT1_T2_T3_mT4_P12ihipStream_tbEUlT_E0_NS1_11comp_targetILNS1_3genE4ELNS1_11target_archE910ELNS1_3gpuE8ELNS1_3repE0EEENS1_30default_config_static_selectorELNS0_4arch9wavefront6targetE0EEEvS14_,"axG",@progbits,_ZN7rocprim17ROCPRIM_400000_NS6detail17trampoline_kernelINS0_14default_configENS1_22reduce_config_selectorIN6thrust23THRUST_200600_302600_NS5tupleIblNS6_9null_typeES8_S8_S8_S8_S8_S8_S8_EEEEZNS1_11reduce_implILb1ES3_NS6_12zip_iteratorINS7_INS6_11hip_rocprim26transform_input_iterator_tIbNSD_35transform_pair_of_input_iterators_tIbNS6_6detail15normal_iteratorINS6_10device_ptrIKjEEEESL_NS6_8equal_toIjEEEENSG_9not_fun_tINSD_8identityEEEEENSD_19counting_iterator_tIlEES8_S8_S8_S8_S8_S8_S8_S8_EEEEPS9_S9_NSD_9__find_if7functorIS9_EEEE10hipError_tPvRmT1_T2_T3_mT4_P12ihipStream_tbEUlT_E0_NS1_11comp_targetILNS1_3genE4ELNS1_11target_archE910ELNS1_3gpuE8ELNS1_3repE0EEENS1_30default_config_static_selectorELNS0_4arch9wavefront6targetE0EEEvS14_,comdat
	.protected	_ZN7rocprim17ROCPRIM_400000_NS6detail17trampoline_kernelINS0_14default_configENS1_22reduce_config_selectorIN6thrust23THRUST_200600_302600_NS5tupleIblNS6_9null_typeES8_S8_S8_S8_S8_S8_S8_EEEEZNS1_11reduce_implILb1ES3_NS6_12zip_iteratorINS7_INS6_11hip_rocprim26transform_input_iterator_tIbNSD_35transform_pair_of_input_iterators_tIbNS6_6detail15normal_iteratorINS6_10device_ptrIKjEEEESL_NS6_8equal_toIjEEEENSG_9not_fun_tINSD_8identityEEEEENSD_19counting_iterator_tIlEES8_S8_S8_S8_S8_S8_S8_S8_EEEEPS9_S9_NSD_9__find_if7functorIS9_EEEE10hipError_tPvRmT1_T2_T3_mT4_P12ihipStream_tbEUlT_E0_NS1_11comp_targetILNS1_3genE4ELNS1_11target_archE910ELNS1_3gpuE8ELNS1_3repE0EEENS1_30default_config_static_selectorELNS0_4arch9wavefront6targetE0EEEvS14_ ; -- Begin function _ZN7rocprim17ROCPRIM_400000_NS6detail17trampoline_kernelINS0_14default_configENS1_22reduce_config_selectorIN6thrust23THRUST_200600_302600_NS5tupleIblNS6_9null_typeES8_S8_S8_S8_S8_S8_S8_EEEEZNS1_11reduce_implILb1ES3_NS6_12zip_iteratorINS7_INS6_11hip_rocprim26transform_input_iterator_tIbNSD_35transform_pair_of_input_iterators_tIbNS6_6detail15normal_iteratorINS6_10device_ptrIKjEEEESL_NS6_8equal_toIjEEEENSG_9not_fun_tINSD_8identityEEEEENSD_19counting_iterator_tIlEES8_S8_S8_S8_S8_S8_S8_S8_EEEEPS9_S9_NSD_9__find_if7functorIS9_EEEE10hipError_tPvRmT1_T2_T3_mT4_P12ihipStream_tbEUlT_E0_NS1_11comp_targetILNS1_3genE4ELNS1_11target_archE910ELNS1_3gpuE8ELNS1_3repE0EEENS1_30default_config_static_selectorELNS0_4arch9wavefront6targetE0EEEvS14_
	.globl	_ZN7rocprim17ROCPRIM_400000_NS6detail17trampoline_kernelINS0_14default_configENS1_22reduce_config_selectorIN6thrust23THRUST_200600_302600_NS5tupleIblNS6_9null_typeES8_S8_S8_S8_S8_S8_S8_EEEEZNS1_11reduce_implILb1ES3_NS6_12zip_iteratorINS7_INS6_11hip_rocprim26transform_input_iterator_tIbNSD_35transform_pair_of_input_iterators_tIbNS6_6detail15normal_iteratorINS6_10device_ptrIKjEEEESL_NS6_8equal_toIjEEEENSG_9not_fun_tINSD_8identityEEEEENSD_19counting_iterator_tIlEES8_S8_S8_S8_S8_S8_S8_S8_EEEEPS9_S9_NSD_9__find_if7functorIS9_EEEE10hipError_tPvRmT1_T2_T3_mT4_P12ihipStream_tbEUlT_E0_NS1_11comp_targetILNS1_3genE4ELNS1_11target_archE910ELNS1_3gpuE8ELNS1_3repE0EEENS1_30default_config_static_selectorELNS0_4arch9wavefront6targetE0EEEvS14_
	.p2align	8
	.type	_ZN7rocprim17ROCPRIM_400000_NS6detail17trampoline_kernelINS0_14default_configENS1_22reduce_config_selectorIN6thrust23THRUST_200600_302600_NS5tupleIblNS6_9null_typeES8_S8_S8_S8_S8_S8_S8_EEEEZNS1_11reduce_implILb1ES3_NS6_12zip_iteratorINS7_INS6_11hip_rocprim26transform_input_iterator_tIbNSD_35transform_pair_of_input_iterators_tIbNS6_6detail15normal_iteratorINS6_10device_ptrIKjEEEESL_NS6_8equal_toIjEEEENSG_9not_fun_tINSD_8identityEEEEENSD_19counting_iterator_tIlEES8_S8_S8_S8_S8_S8_S8_S8_EEEEPS9_S9_NSD_9__find_if7functorIS9_EEEE10hipError_tPvRmT1_T2_T3_mT4_P12ihipStream_tbEUlT_E0_NS1_11comp_targetILNS1_3genE4ELNS1_11target_archE910ELNS1_3gpuE8ELNS1_3repE0EEENS1_30default_config_static_selectorELNS0_4arch9wavefront6targetE0EEEvS14_,@function
_ZN7rocprim17ROCPRIM_400000_NS6detail17trampoline_kernelINS0_14default_configENS1_22reduce_config_selectorIN6thrust23THRUST_200600_302600_NS5tupleIblNS6_9null_typeES8_S8_S8_S8_S8_S8_S8_EEEEZNS1_11reduce_implILb1ES3_NS6_12zip_iteratorINS7_INS6_11hip_rocprim26transform_input_iterator_tIbNSD_35transform_pair_of_input_iterators_tIbNS6_6detail15normal_iteratorINS6_10device_ptrIKjEEEESL_NS6_8equal_toIjEEEENSG_9not_fun_tINSD_8identityEEEEENSD_19counting_iterator_tIlEES8_S8_S8_S8_S8_S8_S8_S8_EEEEPS9_S9_NSD_9__find_if7functorIS9_EEEE10hipError_tPvRmT1_T2_T3_mT4_P12ihipStream_tbEUlT_E0_NS1_11comp_targetILNS1_3genE4ELNS1_11target_archE910ELNS1_3gpuE8ELNS1_3repE0EEENS1_30default_config_static_selectorELNS0_4arch9wavefront6targetE0EEEvS14_: ; @_ZN7rocprim17ROCPRIM_400000_NS6detail17trampoline_kernelINS0_14default_configENS1_22reduce_config_selectorIN6thrust23THRUST_200600_302600_NS5tupleIblNS6_9null_typeES8_S8_S8_S8_S8_S8_S8_EEEEZNS1_11reduce_implILb1ES3_NS6_12zip_iteratorINS7_INS6_11hip_rocprim26transform_input_iterator_tIbNSD_35transform_pair_of_input_iterators_tIbNS6_6detail15normal_iteratorINS6_10device_ptrIKjEEEESL_NS6_8equal_toIjEEEENSG_9not_fun_tINSD_8identityEEEEENSD_19counting_iterator_tIlEES8_S8_S8_S8_S8_S8_S8_S8_EEEEPS9_S9_NSD_9__find_if7functorIS9_EEEE10hipError_tPvRmT1_T2_T3_mT4_P12ihipStream_tbEUlT_E0_NS1_11comp_targetILNS1_3genE4ELNS1_11target_archE910ELNS1_3gpuE8ELNS1_3repE0EEENS1_30default_config_static_selectorELNS0_4arch9wavefront6targetE0EEEvS14_
; %bb.0:
	.section	.rodata,"a",@progbits
	.p2align	6, 0x0
	.amdhsa_kernel _ZN7rocprim17ROCPRIM_400000_NS6detail17trampoline_kernelINS0_14default_configENS1_22reduce_config_selectorIN6thrust23THRUST_200600_302600_NS5tupleIblNS6_9null_typeES8_S8_S8_S8_S8_S8_S8_EEEEZNS1_11reduce_implILb1ES3_NS6_12zip_iteratorINS7_INS6_11hip_rocprim26transform_input_iterator_tIbNSD_35transform_pair_of_input_iterators_tIbNS6_6detail15normal_iteratorINS6_10device_ptrIKjEEEESL_NS6_8equal_toIjEEEENSG_9not_fun_tINSD_8identityEEEEENSD_19counting_iterator_tIlEES8_S8_S8_S8_S8_S8_S8_S8_EEEEPS9_S9_NSD_9__find_if7functorIS9_EEEE10hipError_tPvRmT1_T2_T3_mT4_P12ihipStream_tbEUlT_E0_NS1_11comp_targetILNS1_3genE4ELNS1_11target_archE910ELNS1_3gpuE8ELNS1_3repE0EEENS1_30default_config_static_selectorELNS0_4arch9wavefront6targetE0EEEvS14_
		.amdhsa_group_segment_fixed_size 0
		.amdhsa_private_segment_fixed_size 0
		.amdhsa_kernarg_size 104
		.amdhsa_user_sgpr_count 2
		.amdhsa_user_sgpr_dispatch_ptr 0
		.amdhsa_user_sgpr_queue_ptr 0
		.amdhsa_user_sgpr_kernarg_segment_ptr 1
		.amdhsa_user_sgpr_dispatch_id 0
		.amdhsa_user_sgpr_kernarg_preload_length 0
		.amdhsa_user_sgpr_kernarg_preload_offset 0
		.amdhsa_user_sgpr_private_segment_size 0
		.amdhsa_wavefront_size32 1
		.amdhsa_uses_dynamic_stack 0
		.amdhsa_enable_private_segment 0
		.amdhsa_system_sgpr_workgroup_id_x 1
		.amdhsa_system_sgpr_workgroup_id_y 0
		.amdhsa_system_sgpr_workgroup_id_z 0
		.amdhsa_system_sgpr_workgroup_info 0
		.amdhsa_system_vgpr_workitem_id 0
		.amdhsa_next_free_vgpr 1
		.amdhsa_next_free_sgpr 1
		.amdhsa_named_barrier_count 0
		.amdhsa_reserve_vcc 0
		.amdhsa_float_round_mode_32 0
		.amdhsa_float_round_mode_16_64 0
		.amdhsa_float_denorm_mode_32 3
		.amdhsa_float_denorm_mode_16_64 3
		.amdhsa_fp16_overflow 0
		.amdhsa_memory_ordered 1
		.amdhsa_forward_progress 1
		.amdhsa_inst_pref_size 0
		.amdhsa_round_robin_scheduling 0
		.amdhsa_exception_fp_ieee_invalid_op 0
		.amdhsa_exception_fp_denorm_src 0
		.amdhsa_exception_fp_ieee_div_zero 0
		.amdhsa_exception_fp_ieee_overflow 0
		.amdhsa_exception_fp_ieee_underflow 0
		.amdhsa_exception_fp_ieee_inexact 0
		.amdhsa_exception_int_div_zero 0
	.end_amdhsa_kernel
	.section	.text._ZN7rocprim17ROCPRIM_400000_NS6detail17trampoline_kernelINS0_14default_configENS1_22reduce_config_selectorIN6thrust23THRUST_200600_302600_NS5tupleIblNS6_9null_typeES8_S8_S8_S8_S8_S8_S8_EEEEZNS1_11reduce_implILb1ES3_NS6_12zip_iteratorINS7_INS6_11hip_rocprim26transform_input_iterator_tIbNSD_35transform_pair_of_input_iterators_tIbNS6_6detail15normal_iteratorINS6_10device_ptrIKjEEEESL_NS6_8equal_toIjEEEENSG_9not_fun_tINSD_8identityEEEEENSD_19counting_iterator_tIlEES8_S8_S8_S8_S8_S8_S8_S8_EEEEPS9_S9_NSD_9__find_if7functorIS9_EEEE10hipError_tPvRmT1_T2_T3_mT4_P12ihipStream_tbEUlT_E0_NS1_11comp_targetILNS1_3genE4ELNS1_11target_archE910ELNS1_3gpuE8ELNS1_3repE0EEENS1_30default_config_static_selectorELNS0_4arch9wavefront6targetE0EEEvS14_,"axG",@progbits,_ZN7rocprim17ROCPRIM_400000_NS6detail17trampoline_kernelINS0_14default_configENS1_22reduce_config_selectorIN6thrust23THRUST_200600_302600_NS5tupleIblNS6_9null_typeES8_S8_S8_S8_S8_S8_S8_EEEEZNS1_11reduce_implILb1ES3_NS6_12zip_iteratorINS7_INS6_11hip_rocprim26transform_input_iterator_tIbNSD_35transform_pair_of_input_iterators_tIbNS6_6detail15normal_iteratorINS6_10device_ptrIKjEEEESL_NS6_8equal_toIjEEEENSG_9not_fun_tINSD_8identityEEEEENSD_19counting_iterator_tIlEES8_S8_S8_S8_S8_S8_S8_S8_EEEEPS9_S9_NSD_9__find_if7functorIS9_EEEE10hipError_tPvRmT1_T2_T3_mT4_P12ihipStream_tbEUlT_E0_NS1_11comp_targetILNS1_3genE4ELNS1_11target_archE910ELNS1_3gpuE8ELNS1_3repE0EEENS1_30default_config_static_selectorELNS0_4arch9wavefront6targetE0EEEvS14_,comdat
.Lfunc_end153:
	.size	_ZN7rocprim17ROCPRIM_400000_NS6detail17trampoline_kernelINS0_14default_configENS1_22reduce_config_selectorIN6thrust23THRUST_200600_302600_NS5tupleIblNS6_9null_typeES8_S8_S8_S8_S8_S8_S8_EEEEZNS1_11reduce_implILb1ES3_NS6_12zip_iteratorINS7_INS6_11hip_rocprim26transform_input_iterator_tIbNSD_35transform_pair_of_input_iterators_tIbNS6_6detail15normal_iteratorINS6_10device_ptrIKjEEEESL_NS6_8equal_toIjEEEENSG_9not_fun_tINSD_8identityEEEEENSD_19counting_iterator_tIlEES8_S8_S8_S8_S8_S8_S8_S8_EEEEPS9_S9_NSD_9__find_if7functorIS9_EEEE10hipError_tPvRmT1_T2_T3_mT4_P12ihipStream_tbEUlT_E0_NS1_11comp_targetILNS1_3genE4ELNS1_11target_archE910ELNS1_3gpuE8ELNS1_3repE0EEENS1_30default_config_static_selectorELNS0_4arch9wavefront6targetE0EEEvS14_, .Lfunc_end153-_ZN7rocprim17ROCPRIM_400000_NS6detail17trampoline_kernelINS0_14default_configENS1_22reduce_config_selectorIN6thrust23THRUST_200600_302600_NS5tupleIblNS6_9null_typeES8_S8_S8_S8_S8_S8_S8_EEEEZNS1_11reduce_implILb1ES3_NS6_12zip_iteratorINS7_INS6_11hip_rocprim26transform_input_iterator_tIbNSD_35transform_pair_of_input_iterators_tIbNS6_6detail15normal_iteratorINS6_10device_ptrIKjEEEESL_NS6_8equal_toIjEEEENSG_9not_fun_tINSD_8identityEEEEENSD_19counting_iterator_tIlEES8_S8_S8_S8_S8_S8_S8_S8_EEEEPS9_S9_NSD_9__find_if7functorIS9_EEEE10hipError_tPvRmT1_T2_T3_mT4_P12ihipStream_tbEUlT_E0_NS1_11comp_targetILNS1_3genE4ELNS1_11target_archE910ELNS1_3gpuE8ELNS1_3repE0EEENS1_30default_config_static_selectorELNS0_4arch9wavefront6targetE0EEEvS14_
                                        ; -- End function
	.set _ZN7rocprim17ROCPRIM_400000_NS6detail17trampoline_kernelINS0_14default_configENS1_22reduce_config_selectorIN6thrust23THRUST_200600_302600_NS5tupleIblNS6_9null_typeES8_S8_S8_S8_S8_S8_S8_EEEEZNS1_11reduce_implILb1ES3_NS6_12zip_iteratorINS7_INS6_11hip_rocprim26transform_input_iterator_tIbNSD_35transform_pair_of_input_iterators_tIbNS6_6detail15normal_iteratorINS6_10device_ptrIKjEEEESL_NS6_8equal_toIjEEEENSG_9not_fun_tINSD_8identityEEEEENSD_19counting_iterator_tIlEES8_S8_S8_S8_S8_S8_S8_S8_EEEEPS9_S9_NSD_9__find_if7functorIS9_EEEE10hipError_tPvRmT1_T2_T3_mT4_P12ihipStream_tbEUlT_E0_NS1_11comp_targetILNS1_3genE4ELNS1_11target_archE910ELNS1_3gpuE8ELNS1_3repE0EEENS1_30default_config_static_selectorELNS0_4arch9wavefront6targetE0EEEvS14_.num_vgpr, 0
	.set _ZN7rocprim17ROCPRIM_400000_NS6detail17trampoline_kernelINS0_14default_configENS1_22reduce_config_selectorIN6thrust23THRUST_200600_302600_NS5tupleIblNS6_9null_typeES8_S8_S8_S8_S8_S8_S8_EEEEZNS1_11reduce_implILb1ES3_NS6_12zip_iteratorINS7_INS6_11hip_rocprim26transform_input_iterator_tIbNSD_35transform_pair_of_input_iterators_tIbNS6_6detail15normal_iteratorINS6_10device_ptrIKjEEEESL_NS6_8equal_toIjEEEENSG_9not_fun_tINSD_8identityEEEEENSD_19counting_iterator_tIlEES8_S8_S8_S8_S8_S8_S8_S8_EEEEPS9_S9_NSD_9__find_if7functorIS9_EEEE10hipError_tPvRmT1_T2_T3_mT4_P12ihipStream_tbEUlT_E0_NS1_11comp_targetILNS1_3genE4ELNS1_11target_archE910ELNS1_3gpuE8ELNS1_3repE0EEENS1_30default_config_static_selectorELNS0_4arch9wavefront6targetE0EEEvS14_.num_agpr, 0
	.set _ZN7rocprim17ROCPRIM_400000_NS6detail17trampoline_kernelINS0_14default_configENS1_22reduce_config_selectorIN6thrust23THRUST_200600_302600_NS5tupleIblNS6_9null_typeES8_S8_S8_S8_S8_S8_S8_EEEEZNS1_11reduce_implILb1ES3_NS6_12zip_iteratorINS7_INS6_11hip_rocprim26transform_input_iterator_tIbNSD_35transform_pair_of_input_iterators_tIbNS6_6detail15normal_iteratorINS6_10device_ptrIKjEEEESL_NS6_8equal_toIjEEEENSG_9not_fun_tINSD_8identityEEEEENSD_19counting_iterator_tIlEES8_S8_S8_S8_S8_S8_S8_S8_EEEEPS9_S9_NSD_9__find_if7functorIS9_EEEE10hipError_tPvRmT1_T2_T3_mT4_P12ihipStream_tbEUlT_E0_NS1_11comp_targetILNS1_3genE4ELNS1_11target_archE910ELNS1_3gpuE8ELNS1_3repE0EEENS1_30default_config_static_selectorELNS0_4arch9wavefront6targetE0EEEvS14_.numbered_sgpr, 0
	.set _ZN7rocprim17ROCPRIM_400000_NS6detail17trampoline_kernelINS0_14default_configENS1_22reduce_config_selectorIN6thrust23THRUST_200600_302600_NS5tupleIblNS6_9null_typeES8_S8_S8_S8_S8_S8_S8_EEEEZNS1_11reduce_implILb1ES3_NS6_12zip_iteratorINS7_INS6_11hip_rocprim26transform_input_iterator_tIbNSD_35transform_pair_of_input_iterators_tIbNS6_6detail15normal_iteratorINS6_10device_ptrIKjEEEESL_NS6_8equal_toIjEEEENSG_9not_fun_tINSD_8identityEEEEENSD_19counting_iterator_tIlEES8_S8_S8_S8_S8_S8_S8_S8_EEEEPS9_S9_NSD_9__find_if7functorIS9_EEEE10hipError_tPvRmT1_T2_T3_mT4_P12ihipStream_tbEUlT_E0_NS1_11comp_targetILNS1_3genE4ELNS1_11target_archE910ELNS1_3gpuE8ELNS1_3repE0EEENS1_30default_config_static_selectorELNS0_4arch9wavefront6targetE0EEEvS14_.num_named_barrier, 0
	.set _ZN7rocprim17ROCPRIM_400000_NS6detail17trampoline_kernelINS0_14default_configENS1_22reduce_config_selectorIN6thrust23THRUST_200600_302600_NS5tupleIblNS6_9null_typeES8_S8_S8_S8_S8_S8_S8_EEEEZNS1_11reduce_implILb1ES3_NS6_12zip_iteratorINS7_INS6_11hip_rocprim26transform_input_iterator_tIbNSD_35transform_pair_of_input_iterators_tIbNS6_6detail15normal_iteratorINS6_10device_ptrIKjEEEESL_NS6_8equal_toIjEEEENSG_9not_fun_tINSD_8identityEEEEENSD_19counting_iterator_tIlEES8_S8_S8_S8_S8_S8_S8_S8_EEEEPS9_S9_NSD_9__find_if7functorIS9_EEEE10hipError_tPvRmT1_T2_T3_mT4_P12ihipStream_tbEUlT_E0_NS1_11comp_targetILNS1_3genE4ELNS1_11target_archE910ELNS1_3gpuE8ELNS1_3repE0EEENS1_30default_config_static_selectorELNS0_4arch9wavefront6targetE0EEEvS14_.private_seg_size, 0
	.set _ZN7rocprim17ROCPRIM_400000_NS6detail17trampoline_kernelINS0_14default_configENS1_22reduce_config_selectorIN6thrust23THRUST_200600_302600_NS5tupleIblNS6_9null_typeES8_S8_S8_S8_S8_S8_S8_EEEEZNS1_11reduce_implILb1ES3_NS6_12zip_iteratorINS7_INS6_11hip_rocprim26transform_input_iterator_tIbNSD_35transform_pair_of_input_iterators_tIbNS6_6detail15normal_iteratorINS6_10device_ptrIKjEEEESL_NS6_8equal_toIjEEEENSG_9not_fun_tINSD_8identityEEEEENSD_19counting_iterator_tIlEES8_S8_S8_S8_S8_S8_S8_S8_EEEEPS9_S9_NSD_9__find_if7functorIS9_EEEE10hipError_tPvRmT1_T2_T3_mT4_P12ihipStream_tbEUlT_E0_NS1_11comp_targetILNS1_3genE4ELNS1_11target_archE910ELNS1_3gpuE8ELNS1_3repE0EEENS1_30default_config_static_selectorELNS0_4arch9wavefront6targetE0EEEvS14_.uses_vcc, 0
	.set _ZN7rocprim17ROCPRIM_400000_NS6detail17trampoline_kernelINS0_14default_configENS1_22reduce_config_selectorIN6thrust23THRUST_200600_302600_NS5tupleIblNS6_9null_typeES8_S8_S8_S8_S8_S8_S8_EEEEZNS1_11reduce_implILb1ES3_NS6_12zip_iteratorINS7_INS6_11hip_rocprim26transform_input_iterator_tIbNSD_35transform_pair_of_input_iterators_tIbNS6_6detail15normal_iteratorINS6_10device_ptrIKjEEEESL_NS6_8equal_toIjEEEENSG_9not_fun_tINSD_8identityEEEEENSD_19counting_iterator_tIlEES8_S8_S8_S8_S8_S8_S8_S8_EEEEPS9_S9_NSD_9__find_if7functorIS9_EEEE10hipError_tPvRmT1_T2_T3_mT4_P12ihipStream_tbEUlT_E0_NS1_11comp_targetILNS1_3genE4ELNS1_11target_archE910ELNS1_3gpuE8ELNS1_3repE0EEENS1_30default_config_static_selectorELNS0_4arch9wavefront6targetE0EEEvS14_.uses_flat_scratch, 0
	.set _ZN7rocprim17ROCPRIM_400000_NS6detail17trampoline_kernelINS0_14default_configENS1_22reduce_config_selectorIN6thrust23THRUST_200600_302600_NS5tupleIblNS6_9null_typeES8_S8_S8_S8_S8_S8_S8_EEEEZNS1_11reduce_implILb1ES3_NS6_12zip_iteratorINS7_INS6_11hip_rocprim26transform_input_iterator_tIbNSD_35transform_pair_of_input_iterators_tIbNS6_6detail15normal_iteratorINS6_10device_ptrIKjEEEESL_NS6_8equal_toIjEEEENSG_9not_fun_tINSD_8identityEEEEENSD_19counting_iterator_tIlEES8_S8_S8_S8_S8_S8_S8_S8_EEEEPS9_S9_NSD_9__find_if7functorIS9_EEEE10hipError_tPvRmT1_T2_T3_mT4_P12ihipStream_tbEUlT_E0_NS1_11comp_targetILNS1_3genE4ELNS1_11target_archE910ELNS1_3gpuE8ELNS1_3repE0EEENS1_30default_config_static_selectorELNS0_4arch9wavefront6targetE0EEEvS14_.has_dyn_sized_stack, 0
	.set _ZN7rocprim17ROCPRIM_400000_NS6detail17trampoline_kernelINS0_14default_configENS1_22reduce_config_selectorIN6thrust23THRUST_200600_302600_NS5tupleIblNS6_9null_typeES8_S8_S8_S8_S8_S8_S8_EEEEZNS1_11reduce_implILb1ES3_NS6_12zip_iteratorINS7_INS6_11hip_rocprim26transform_input_iterator_tIbNSD_35transform_pair_of_input_iterators_tIbNS6_6detail15normal_iteratorINS6_10device_ptrIKjEEEESL_NS6_8equal_toIjEEEENSG_9not_fun_tINSD_8identityEEEEENSD_19counting_iterator_tIlEES8_S8_S8_S8_S8_S8_S8_S8_EEEEPS9_S9_NSD_9__find_if7functorIS9_EEEE10hipError_tPvRmT1_T2_T3_mT4_P12ihipStream_tbEUlT_E0_NS1_11comp_targetILNS1_3genE4ELNS1_11target_archE910ELNS1_3gpuE8ELNS1_3repE0EEENS1_30default_config_static_selectorELNS0_4arch9wavefront6targetE0EEEvS14_.has_recursion, 0
	.set _ZN7rocprim17ROCPRIM_400000_NS6detail17trampoline_kernelINS0_14default_configENS1_22reduce_config_selectorIN6thrust23THRUST_200600_302600_NS5tupleIblNS6_9null_typeES8_S8_S8_S8_S8_S8_S8_EEEEZNS1_11reduce_implILb1ES3_NS6_12zip_iteratorINS7_INS6_11hip_rocprim26transform_input_iterator_tIbNSD_35transform_pair_of_input_iterators_tIbNS6_6detail15normal_iteratorINS6_10device_ptrIKjEEEESL_NS6_8equal_toIjEEEENSG_9not_fun_tINSD_8identityEEEEENSD_19counting_iterator_tIlEES8_S8_S8_S8_S8_S8_S8_S8_EEEEPS9_S9_NSD_9__find_if7functorIS9_EEEE10hipError_tPvRmT1_T2_T3_mT4_P12ihipStream_tbEUlT_E0_NS1_11comp_targetILNS1_3genE4ELNS1_11target_archE910ELNS1_3gpuE8ELNS1_3repE0EEENS1_30default_config_static_selectorELNS0_4arch9wavefront6targetE0EEEvS14_.has_indirect_call, 0
	.section	.AMDGPU.csdata,"",@progbits
; Kernel info:
; codeLenInByte = 0
; TotalNumSgprs: 0
; NumVgprs: 0
; ScratchSize: 0
; MemoryBound: 0
; FloatMode: 240
; IeeeMode: 1
; LDSByteSize: 0 bytes/workgroup (compile time only)
; SGPRBlocks: 0
; VGPRBlocks: 0
; NumSGPRsForWavesPerEU: 1
; NumVGPRsForWavesPerEU: 1
; NamedBarCnt: 0
; Occupancy: 16
; WaveLimiterHint : 0
; COMPUTE_PGM_RSRC2:SCRATCH_EN: 0
; COMPUTE_PGM_RSRC2:USER_SGPR: 2
; COMPUTE_PGM_RSRC2:TRAP_HANDLER: 0
; COMPUTE_PGM_RSRC2:TGID_X_EN: 1
; COMPUTE_PGM_RSRC2:TGID_Y_EN: 0
; COMPUTE_PGM_RSRC2:TGID_Z_EN: 0
; COMPUTE_PGM_RSRC2:TIDIG_COMP_CNT: 0
	.section	.text._ZN7rocprim17ROCPRIM_400000_NS6detail17trampoline_kernelINS0_14default_configENS1_22reduce_config_selectorIN6thrust23THRUST_200600_302600_NS5tupleIblNS6_9null_typeES8_S8_S8_S8_S8_S8_S8_EEEEZNS1_11reduce_implILb1ES3_NS6_12zip_iteratorINS7_INS6_11hip_rocprim26transform_input_iterator_tIbNSD_35transform_pair_of_input_iterators_tIbNS6_6detail15normal_iteratorINS6_10device_ptrIKjEEEESL_NS6_8equal_toIjEEEENSG_9not_fun_tINSD_8identityEEEEENSD_19counting_iterator_tIlEES8_S8_S8_S8_S8_S8_S8_S8_EEEEPS9_S9_NSD_9__find_if7functorIS9_EEEE10hipError_tPvRmT1_T2_T3_mT4_P12ihipStream_tbEUlT_E0_NS1_11comp_targetILNS1_3genE3ELNS1_11target_archE908ELNS1_3gpuE7ELNS1_3repE0EEENS1_30default_config_static_selectorELNS0_4arch9wavefront6targetE0EEEvS14_,"axG",@progbits,_ZN7rocprim17ROCPRIM_400000_NS6detail17trampoline_kernelINS0_14default_configENS1_22reduce_config_selectorIN6thrust23THRUST_200600_302600_NS5tupleIblNS6_9null_typeES8_S8_S8_S8_S8_S8_S8_EEEEZNS1_11reduce_implILb1ES3_NS6_12zip_iteratorINS7_INS6_11hip_rocprim26transform_input_iterator_tIbNSD_35transform_pair_of_input_iterators_tIbNS6_6detail15normal_iteratorINS6_10device_ptrIKjEEEESL_NS6_8equal_toIjEEEENSG_9not_fun_tINSD_8identityEEEEENSD_19counting_iterator_tIlEES8_S8_S8_S8_S8_S8_S8_S8_EEEEPS9_S9_NSD_9__find_if7functorIS9_EEEE10hipError_tPvRmT1_T2_T3_mT4_P12ihipStream_tbEUlT_E0_NS1_11comp_targetILNS1_3genE3ELNS1_11target_archE908ELNS1_3gpuE7ELNS1_3repE0EEENS1_30default_config_static_selectorELNS0_4arch9wavefront6targetE0EEEvS14_,comdat
	.protected	_ZN7rocprim17ROCPRIM_400000_NS6detail17trampoline_kernelINS0_14default_configENS1_22reduce_config_selectorIN6thrust23THRUST_200600_302600_NS5tupleIblNS6_9null_typeES8_S8_S8_S8_S8_S8_S8_EEEEZNS1_11reduce_implILb1ES3_NS6_12zip_iteratorINS7_INS6_11hip_rocprim26transform_input_iterator_tIbNSD_35transform_pair_of_input_iterators_tIbNS6_6detail15normal_iteratorINS6_10device_ptrIKjEEEESL_NS6_8equal_toIjEEEENSG_9not_fun_tINSD_8identityEEEEENSD_19counting_iterator_tIlEES8_S8_S8_S8_S8_S8_S8_S8_EEEEPS9_S9_NSD_9__find_if7functorIS9_EEEE10hipError_tPvRmT1_T2_T3_mT4_P12ihipStream_tbEUlT_E0_NS1_11comp_targetILNS1_3genE3ELNS1_11target_archE908ELNS1_3gpuE7ELNS1_3repE0EEENS1_30default_config_static_selectorELNS0_4arch9wavefront6targetE0EEEvS14_ ; -- Begin function _ZN7rocprim17ROCPRIM_400000_NS6detail17trampoline_kernelINS0_14default_configENS1_22reduce_config_selectorIN6thrust23THRUST_200600_302600_NS5tupleIblNS6_9null_typeES8_S8_S8_S8_S8_S8_S8_EEEEZNS1_11reduce_implILb1ES3_NS6_12zip_iteratorINS7_INS6_11hip_rocprim26transform_input_iterator_tIbNSD_35transform_pair_of_input_iterators_tIbNS6_6detail15normal_iteratorINS6_10device_ptrIKjEEEESL_NS6_8equal_toIjEEEENSG_9not_fun_tINSD_8identityEEEEENSD_19counting_iterator_tIlEES8_S8_S8_S8_S8_S8_S8_S8_EEEEPS9_S9_NSD_9__find_if7functorIS9_EEEE10hipError_tPvRmT1_T2_T3_mT4_P12ihipStream_tbEUlT_E0_NS1_11comp_targetILNS1_3genE3ELNS1_11target_archE908ELNS1_3gpuE7ELNS1_3repE0EEENS1_30default_config_static_selectorELNS0_4arch9wavefront6targetE0EEEvS14_
	.globl	_ZN7rocprim17ROCPRIM_400000_NS6detail17trampoline_kernelINS0_14default_configENS1_22reduce_config_selectorIN6thrust23THRUST_200600_302600_NS5tupleIblNS6_9null_typeES8_S8_S8_S8_S8_S8_S8_EEEEZNS1_11reduce_implILb1ES3_NS6_12zip_iteratorINS7_INS6_11hip_rocprim26transform_input_iterator_tIbNSD_35transform_pair_of_input_iterators_tIbNS6_6detail15normal_iteratorINS6_10device_ptrIKjEEEESL_NS6_8equal_toIjEEEENSG_9not_fun_tINSD_8identityEEEEENSD_19counting_iterator_tIlEES8_S8_S8_S8_S8_S8_S8_S8_EEEEPS9_S9_NSD_9__find_if7functorIS9_EEEE10hipError_tPvRmT1_T2_T3_mT4_P12ihipStream_tbEUlT_E0_NS1_11comp_targetILNS1_3genE3ELNS1_11target_archE908ELNS1_3gpuE7ELNS1_3repE0EEENS1_30default_config_static_selectorELNS0_4arch9wavefront6targetE0EEEvS14_
	.p2align	8
	.type	_ZN7rocprim17ROCPRIM_400000_NS6detail17trampoline_kernelINS0_14default_configENS1_22reduce_config_selectorIN6thrust23THRUST_200600_302600_NS5tupleIblNS6_9null_typeES8_S8_S8_S8_S8_S8_S8_EEEEZNS1_11reduce_implILb1ES3_NS6_12zip_iteratorINS7_INS6_11hip_rocprim26transform_input_iterator_tIbNSD_35transform_pair_of_input_iterators_tIbNS6_6detail15normal_iteratorINS6_10device_ptrIKjEEEESL_NS6_8equal_toIjEEEENSG_9not_fun_tINSD_8identityEEEEENSD_19counting_iterator_tIlEES8_S8_S8_S8_S8_S8_S8_S8_EEEEPS9_S9_NSD_9__find_if7functorIS9_EEEE10hipError_tPvRmT1_T2_T3_mT4_P12ihipStream_tbEUlT_E0_NS1_11comp_targetILNS1_3genE3ELNS1_11target_archE908ELNS1_3gpuE7ELNS1_3repE0EEENS1_30default_config_static_selectorELNS0_4arch9wavefront6targetE0EEEvS14_,@function
_ZN7rocprim17ROCPRIM_400000_NS6detail17trampoline_kernelINS0_14default_configENS1_22reduce_config_selectorIN6thrust23THRUST_200600_302600_NS5tupleIblNS6_9null_typeES8_S8_S8_S8_S8_S8_S8_EEEEZNS1_11reduce_implILb1ES3_NS6_12zip_iteratorINS7_INS6_11hip_rocprim26transform_input_iterator_tIbNSD_35transform_pair_of_input_iterators_tIbNS6_6detail15normal_iteratorINS6_10device_ptrIKjEEEESL_NS6_8equal_toIjEEEENSG_9not_fun_tINSD_8identityEEEEENSD_19counting_iterator_tIlEES8_S8_S8_S8_S8_S8_S8_S8_EEEEPS9_S9_NSD_9__find_if7functorIS9_EEEE10hipError_tPvRmT1_T2_T3_mT4_P12ihipStream_tbEUlT_E0_NS1_11comp_targetILNS1_3genE3ELNS1_11target_archE908ELNS1_3gpuE7ELNS1_3repE0EEENS1_30default_config_static_selectorELNS0_4arch9wavefront6targetE0EEEvS14_: ; @_ZN7rocprim17ROCPRIM_400000_NS6detail17trampoline_kernelINS0_14default_configENS1_22reduce_config_selectorIN6thrust23THRUST_200600_302600_NS5tupleIblNS6_9null_typeES8_S8_S8_S8_S8_S8_S8_EEEEZNS1_11reduce_implILb1ES3_NS6_12zip_iteratorINS7_INS6_11hip_rocprim26transform_input_iterator_tIbNSD_35transform_pair_of_input_iterators_tIbNS6_6detail15normal_iteratorINS6_10device_ptrIKjEEEESL_NS6_8equal_toIjEEEENSG_9not_fun_tINSD_8identityEEEEENSD_19counting_iterator_tIlEES8_S8_S8_S8_S8_S8_S8_S8_EEEEPS9_S9_NSD_9__find_if7functorIS9_EEEE10hipError_tPvRmT1_T2_T3_mT4_P12ihipStream_tbEUlT_E0_NS1_11comp_targetILNS1_3genE3ELNS1_11target_archE908ELNS1_3gpuE7ELNS1_3repE0EEENS1_30default_config_static_selectorELNS0_4arch9wavefront6targetE0EEEvS14_
; %bb.0:
	.section	.rodata,"a",@progbits
	.p2align	6, 0x0
	.amdhsa_kernel _ZN7rocprim17ROCPRIM_400000_NS6detail17trampoline_kernelINS0_14default_configENS1_22reduce_config_selectorIN6thrust23THRUST_200600_302600_NS5tupleIblNS6_9null_typeES8_S8_S8_S8_S8_S8_S8_EEEEZNS1_11reduce_implILb1ES3_NS6_12zip_iteratorINS7_INS6_11hip_rocprim26transform_input_iterator_tIbNSD_35transform_pair_of_input_iterators_tIbNS6_6detail15normal_iteratorINS6_10device_ptrIKjEEEESL_NS6_8equal_toIjEEEENSG_9not_fun_tINSD_8identityEEEEENSD_19counting_iterator_tIlEES8_S8_S8_S8_S8_S8_S8_S8_EEEEPS9_S9_NSD_9__find_if7functorIS9_EEEE10hipError_tPvRmT1_T2_T3_mT4_P12ihipStream_tbEUlT_E0_NS1_11comp_targetILNS1_3genE3ELNS1_11target_archE908ELNS1_3gpuE7ELNS1_3repE0EEENS1_30default_config_static_selectorELNS0_4arch9wavefront6targetE0EEEvS14_
		.amdhsa_group_segment_fixed_size 0
		.amdhsa_private_segment_fixed_size 0
		.amdhsa_kernarg_size 104
		.amdhsa_user_sgpr_count 2
		.amdhsa_user_sgpr_dispatch_ptr 0
		.amdhsa_user_sgpr_queue_ptr 0
		.amdhsa_user_sgpr_kernarg_segment_ptr 1
		.amdhsa_user_sgpr_dispatch_id 0
		.amdhsa_user_sgpr_kernarg_preload_length 0
		.amdhsa_user_sgpr_kernarg_preload_offset 0
		.amdhsa_user_sgpr_private_segment_size 0
		.amdhsa_wavefront_size32 1
		.amdhsa_uses_dynamic_stack 0
		.amdhsa_enable_private_segment 0
		.amdhsa_system_sgpr_workgroup_id_x 1
		.amdhsa_system_sgpr_workgroup_id_y 0
		.amdhsa_system_sgpr_workgroup_id_z 0
		.amdhsa_system_sgpr_workgroup_info 0
		.amdhsa_system_vgpr_workitem_id 0
		.amdhsa_next_free_vgpr 1
		.amdhsa_next_free_sgpr 1
		.amdhsa_named_barrier_count 0
		.amdhsa_reserve_vcc 0
		.amdhsa_float_round_mode_32 0
		.amdhsa_float_round_mode_16_64 0
		.amdhsa_float_denorm_mode_32 3
		.amdhsa_float_denorm_mode_16_64 3
		.amdhsa_fp16_overflow 0
		.amdhsa_memory_ordered 1
		.amdhsa_forward_progress 1
		.amdhsa_inst_pref_size 0
		.amdhsa_round_robin_scheduling 0
		.amdhsa_exception_fp_ieee_invalid_op 0
		.amdhsa_exception_fp_denorm_src 0
		.amdhsa_exception_fp_ieee_div_zero 0
		.amdhsa_exception_fp_ieee_overflow 0
		.amdhsa_exception_fp_ieee_underflow 0
		.amdhsa_exception_fp_ieee_inexact 0
		.amdhsa_exception_int_div_zero 0
	.end_amdhsa_kernel
	.section	.text._ZN7rocprim17ROCPRIM_400000_NS6detail17trampoline_kernelINS0_14default_configENS1_22reduce_config_selectorIN6thrust23THRUST_200600_302600_NS5tupleIblNS6_9null_typeES8_S8_S8_S8_S8_S8_S8_EEEEZNS1_11reduce_implILb1ES3_NS6_12zip_iteratorINS7_INS6_11hip_rocprim26transform_input_iterator_tIbNSD_35transform_pair_of_input_iterators_tIbNS6_6detail15normal_iteratorINS6_10device_ptrIKjEEEESL_NS6_8equal_toIjEEEENSG_9not_fun_tINSD_8identityEEEEENSD_19counting_iterator_tIlEES8_S8_S8_S8_S8_S8_S8_S8_EEEEPS9_S9_NSD_9__find_if7functorIS9_EEEE10hipError_tPvRmT1_T2_T3_mT4_P12ihipStream_tbEUlT_E0_NS1_11comp_targetILNS1_3genE3ELNS1_11target_archE908ELNS1_3gpuE7ELNS1_3repE0EEENS1_30default_config_static_selectorELNS0_4arch9wavefront6targetE0EEEvS14_,"axG",@progbits,_ZN7rocprim17ROCPRIM_400000_NS6detail17trampoline_kernelINS0_14default_configENS1_22reduce_config_selectorIN6thrust23THRUST_200600_302600_NS5tupleIblNS6_9null_typeES8_S8_S8_S8_S8_S8_S8_EEEEZNS1_11reduce_implILb1ES3_NS6_12zip_iteratorINS7_INS6_11hip_rocprim26transform_input_iterator_tIbNSD_35transform_pair_of_input_iterators_tIbNS6_6detail15normal_iteratorINS6_10device_ptrIKjEEEESL_NS6_8equal_toIjEEEENSG_9not_fun_tINSD_8identityEEEEENSD_19counting_iterator_tIlEES8_S8_S8_S8_S8_S8_S8_S8_EEEEPS9_S9_NSD_9__find_if7functorIS9_EEEE10hipError_tPvRmT1_T2_T3_mT4_P12ihipStream_tbEUlT_E0_NS1_11comp_targetILNS1_3genE3ELNS1_11target_archE908ELNS1_3gpuE7ELNS1_3repE0EEENS1_30default_config_static_selectorELNS0_4arch9wavefront6targetE0EEEvS14_,comdat
.Lfunc_end154:
	.size	_ZN7rocprim17ROCPRIM_400000_NS6detail17trampoline_kernelINS0_14default_configENS1_22reduce_config_selectorIN6thrust23THRUST_200600_302600_NS5tupleIblNS6_9null_typeES8_S8_S8_S8_S8_S8_S8_EEEEZNS1_11reduce_implILb1ES3_NS6_12zip_iteratorINS7_INS6_11hip_rocprim26transform_input_iterator_tIbNSD_35transform_pair_of_input_iterators_tIbNS6_6detail15normal_iteratorINS6_10device_ptrIKjEEEESL_NS6_8equal_toIjEEEENSG_9not_fun_tINSD_8identityEEEEENSD_19counting_iterator_tIlEES8_S8_S8_S8_S8_S8_S8_S8_EEEEPS9_S9_NSD_9__find_if7functorIS9_EEEE10hipError_tPvRmT1_T2_T3_mT4_P12ihipStream_tbEUlT_E0_NS1_11comp_targetILNS1_3genE3ELNS1_11target_archE908ELNS1_3gpuE7ELNS1_3repE0EEENS1_30default_config_static_selectorELNS0_4arch9wavefront6targetE0EEEvS14_, .Lfunc_end154-_ZN7rocprim17ROCPRIM_400000_NS6detail17trampoline_kernelINS0_14default_configENS1_22reduce_config_selectorIN6thrust23THRUST_200600_302600_NS5tupleIblNS6_9null_typeES8_S8_S8_S8_S8_S8_S8_EEEEZNS1_11reduce_implILb1ES3_NS6_12zip_iteratorINS7_INS6_11hip_rocprim26transform_input_iterator_tIbNSD_35transform_pair_of_input_iterators_tIbNS6_6detail15normal_iteratorINS6_10device_ptrIKjEEEESL_NS6_8equal_toIjEEEENSG_9not_fun_tINSD_8identityEEEEENSD_19counting_iterator_tIlEES8_S8_S8_S8_S8_S8_S8_S8_EEEEPS9_S9_NSD_9__find_if7functorIS9_EEEE10hipError_tPvRmT1_T2_T3_mT4_P12ihipStream_tbEUlT_E0_NS1_11comp_targetILNS1_3genE3ELNS1_11target_archE908ELNS1_3gpuE7ELNS1_3repE0EEENS1_30default_config_static_selectorELNS0_4arch9wavefront6targetE0EEEvS14_
                                        ; -- End function
	.set _ZN7rocprim17ROCPRIM_400000_NS6detail17trampoline_kernelINS0_14default_configENS1_22reduce_config_selectorIN6thrust23THRUST_200600_302600_NS5tupleIblNS6_9null_typeES8_S8_S8_S8_S8_S8_S8_EEEEZNS1_11reduce_implILb1ES3_NS6_12zip_iteratorINS7_INS6_11hip_rocprim26transform_input_iterator_tIbNSD_35transform_pair_of_input_iterators_tIbNS6_6detail15normal_iteratorINS6_10device_ptrIKjEEEESL_NS6_8equal_toIjEEEENSG_9not_fun_tINSD_8identityEEEEENSD_19counting_iterator_tIlEES8_S8_S8_S8_S8_S8_S8_S8_EEEEPS9_S9_NSD_9__find_if7functorIS9_EEEE10hipError_tPvRmT1_T2_T3_mT4_P12ihipStream_tbEUlT_E0_NS1_11comp_targetILNS1_3genE3ELNS1_11target_archE908ELNS1_3gpuE7ELNS1_3repE0EEENS1_30default_config_static_selectorELNS0_4arch9wavefront6targetE0EEEvS14_.num_vgpr, 0
	.set _ZN7rocprim17ROCPRIM_400000_NS6detail17trampoline_kernelINS0_14default_configENS1_22reduce_config_selectorIN6thrust23THRUST_200600_302600_NS5tupleIblNS6_9null_typeES8_S8_S8_S8_S8_S8_S8_EEEEZNS1_11reduce_implILb1ES3_NS6_12zip_iteratorINS7_INS6_11hip_rocprim26transform_input_iterator_tIbNSD_35transform_pair_of_input_iterators_tIbNS6_6detail15normal_iteratorINS6_10device_ptrIKjEEEESL_NS6_8equal_toIjEEEENSG_9not_fun_tINSD_8identityEEEEENSD_19counting_iterator_tIlEES8_S8_S8_S8_S8_S8_S8_S8_EEEEPS9_S9_NSD_9__find_if7functorIS9_EEEE10hipError_tPvRmT1_T2_T3_mT4_P12ihipStream_tbEUlT_E0_NS1_11comp_targetILNS1_3genE3ELNS1_11target_archE908ELNS1_3gpuE7ELNS1_3repE0EEENS1_30default_config_static_selectorELNS0_4arch9wavefront6targetE0EEEvS14_.num_agpr, 0
	.set _ZN7rocprim17ROCPRIM_400000_NS6detail17trampoline_kernelINS0_14default_configENS1_22reduce_config_selectorIN6thrust23THRUST_200600_302600_NS5tupleIblNS6_9null_typeES8_S8_S8_S8_S8_S8_S8_EEEEZNS1_11reduce_implILb1ES3_NS6_12zip_iteratorINS7_INS6_11hip_rocprim26transform_input_iterator_tIbNSD_35transform_pair_of_input_iterators_tIbNS6_6detail15normal_iteratorINS6_10device_ptrIKjEEEESL_NS6_8equal_toIjEEEENSG_9not_fun_tINSD_8identityEEEEENSD_19counting_iterator_tIlEES8_S8_S8_S8_S8_S8_S8_S8_EEEEPS9_S9_NSD_9__find_if7functorIS9_EEEE10hipError_tPvRmT1_T2_T3_mT4_P12ihipStream_tbEUlT_E0_NS1_11comp_targetILNS1_3genE3ELNS1_11target_archE908ELNS1_3gpuE7ELNS1_3repE0EEENS1_30default_config_static_selectorELNS0_4arch9wavefront6targetE0EEEvS14_.numbered_sgpr, 0
	.set _ZN7rocprim17ROCPRIM_400000_NS6detail17trampoline_kernelINS0_14default_configENS1_22reduce_config_selectorIN6thrust23THRUST_200600_302600_NS5tupleIblNS6_9null_typeES8_S8_S8_S8_S8_S8_S8_EEEEZNS1_11reduce_implILb1ES3_NS6_12zip_iteratorINS7_INS6_11hip_rocprim26transform_input_iterator_tIbNSD_35transform_pair_of_input_iterators_tIbNS6_6detail15normal_iteratorINS6_10device_ptrIKjEEEESL_NS6_8equal_toIjEEEENSG_9not_fun_tINSD_8identityEEEEENSD_19counting_iterator_tIlEES8_S8_S8_S8_S8_S8_S8_S8_EEEEPS9_S9_NSD_9__find_if7functorIS9_EEEE10hipError_tPvRmT1_T2_T3_mT4_P12ihipStream_tbEUlT_E0_NS1_11comp_targetILNS1_3genE3ELNS1_11target_archE908ELNS1_3gpuE7ELNS1_3repE0EEENS1_30default_config_static_selectorELNS0_4arch9wavefront6targetE0EEEvS14_.num_named_barrier, 0
	.set _ZN7rocprim17ROCPRIM_400000_NS6detail17trampoline_kernelINS0_14default_configENS1_22reduce_config_selectorIN6thrust23THRUST_200600_302600_NS5tupleIblNS6_9null_typeES8_S8_S8_S8_S8_S8_S8_EEEEZNS1_11reduce_implILb1ES3_NS6_12zip_iteratorINS7_INS6_11hip_rocprim26transform_input_iterator_tIbNSD_35transform_pair_of_input_iterators_tIbNS6_6detail15normal_iteratorINS6_10device_ptrIKjEEEESL_NS6_8equal_toIjEEEENSG_9not_fun_tINSD_8identityEEEEENSD_19counting_iterator_tIlEES8_S8_S8_S8_S8_S8_S8_S8_EEEEPS9_S9_NSD_9__find_if7functorIS9_EEEE10hipError_tPvRmT1_T2_T3_mT4_P12ihipStream_tbEUlT_E0_NS1_11comp_targetILNS1_3genE3ELNS1_11target_archE908ELNS1_3gpuE7ELNS1_3repE0EEENS1_30default_config_static_selectorELNS0_4arch9wavefront6targetE0EEEvS14_.private_seg_size, 0
	.set _ZN7rocprim17ROCPRIM_400000_NS6detail17trampoline_kernelINS0_14default_configENS1_22reduce_config_selectorIN6thrust23THRUST_200600_302600_NS5tupleIblNS6_9null_typeES8_S8_S8_S8_S8_S8_S8_EEEEZNS1_11reduce_implILb1ES3_NS6_12zip_iteratorINS7_INS6_11hip_rocprim26transform_input_iterator_tIbNSD_35transform_pair_of_input_iterators_tIbNS6_6detail15normal_iteratorINS6_10device_ptrIKjEEEESL_NS6_8equal_toIjEEEENSG_9not_fun_tINSD_8identityEEEEENSD_19counting_iterator_tIlEES8_S8_S8_S8_S8_S8_S8_S8_EEEEPS9_S9_NSD_9__find_if7functorIS9_EEEE10hipError_tPvRmT1_T2_T3_mT4_P12ihipStream_tbEUlT_E0_NS1_11comp_targetILNS1_3genE3ELNS1_11target_archE908ELNS1_3gpuE7ELNS1_3repE0EEENS1_30default_config_static_selectorELNS0_4arch9wavefront6targetE0EEEvS14_.uses_vcc, 0
	.set _ZN7rocprim17ROCPRIM_400000_NS6detail17trampoline_kernelINS0_14default_configENS1_22reduce_config_selectorIN6thrust23THRUST_200600_302600_NS5tupleIblNS6_9null_typeES8_S8_S8_S8_S8_S8_S8_EEEEZNS1_11reduce_implILb1ES3_NS6_12zip_iteratorINS7_INS6_11hip_rocprim26transform_input_iterator_tIbNSD_35transform_pair_of_input_iterators_tIbNS6_6detail15normal_iteratorINS6_10device_ptrIKjEEEESL_NS6_8equal_toIjEEEENSG_9not_fun_tINSD_8identityEEEEENSD_19counting_iterator_tIlEES8_S8_S8_S8_S8_S8_S8_S8_EEEEPS9_S9_NSD_9__find_if7functorIS9_EEEE10hipError_tPvRmT1_T2_T3_mT4_P12ihipStream_tbEUlT_E0_NS1_11comp_targetILNS1_3genE3ELNS1_11target_archE908ELNS1_3gpuE7ELNS1_3repE0EEENS1_30default_config_static_selectorELNS0_4arch9wavefront6targetE0EEEvS14_.uses_flat_scratch, 0
	.set _ZN7rocprim17ROCPRIM_400000_NS6detail17trampoline_kernelINS0_14default_configENS1_22reduce_config_selectorIN6thrust23THRUST_200600_302600_NS5tupleIblNS6_9null_typeES8_S8_S8_S8_S8_S8_S8_EEEEZNS1_11reduce_implILb1ES3_NS6_12zip_iteratorINS7_INS6_11hip_rocprim26transform_input_iterator_tIbNSD_35transform_pair_of_input_iterators_tIbNS6_6detail15normal_iteratorINS6_10device_ptrIKjEEEESL_NS6_8equal_toIjEEEENSG_9not_fun_tINSD_8identityEEEEENSD_19counting_iterator_tIlEES8_S8_S8_S8_S8_S8_S8_S8_EEEEPS9_S9_NSD_9__find_if7functorIS9_EEEE10hipError_tPvRmT1_T2_T3_mT4_P12ihipStream_tbEUlT_E0_NS1_11comp_targetILNS1_3genE3ELNS1_11target_archE908ELNS1_3gpuE7ELNS1_3repE0EEENS1_30default_config_static_selectorELNS0_4arch9wavefront6targetE0EEEvS14_.has_dyn_sized_stack, 0
	.set _ZN7rocprim17ROCPRIM_400000_NS6detail17trampoline_kernelINS0_14default_configENS1_22reduce_config_selectorIN6thrust23THRUST_200600_302600_NS5tupleIblNS6_9null_typeES8_S8_S8_S8_S8_S8_S8_EEEEZNS1_11reduce_implILb1ES3_NS6_12zip_iteratorINS7_INS6_11hip_rocprim26transform_input_iterator_tIbNSD_35transform_pair_of_input_iterators_tIbNS6_6detail15normal_iteratorINS6_10device_ptrIKjEEEESL_NS6_8equal_toIjEEEENSG_9not_fun_tINSD_8identityEEEEENSD_19counting_iterator_tIlEES8_S8_S8_S8_S8_S8_S8_S8_EEEEPS9_S9_NSD_9__find_if7functorIS9_EEEE10hipError_tPvRmT1_T2_T3_mT4_P12ihipStream_tbEUlT_E0_NS1_11comp_targetILNS1_3genE3ELNS1_11target_archE908ELNS1_3gpuE7ELNS1_3repE0EEENS1_30default_config_static_selectorELNS0_4arch9wavefront6targetE0EEEvS14_.has_recursion, 0
	.set _ZN7rocprim17ROCPRIM_400000_NS6detail17trampoline_kernelINS0_14default_configENS1_22reduce_config_selectorIN6thrust23THRUST_200600_302600_NS5tupleIblNS6_9null_typeES8_S8_S8_S8_S8_S8_S8_EEEEZNS1_11reduce_implILb1ES3_NS6_12zip_iteratorINS7_INS6_11hip_rocprim26transform_input_iterator_tIbNSD_35transform_pair_of_input_iterators_tIbNS6_6detail15normal_iteratorINS6_10device_ptrIKjEEEESL_NS6_8equal_toIjEEEENSG_9not_fun_tINSD_8identityEEEEENSD_19counting_iterator_tIlEES8_S8_S8_S8_S8_S8_S8_S8_EEEEPS9_S9_NSD_9__find_if7functorIS9_EEEE10hipError_tPvRmT1_T2_T3_mT4_P12ihipStream_tbEUlT_E0_NS1_11comp_targetILNS1_3genE3ELNS1_11target_archE908ELNS1_3gpuE7ELNS1_3repE0EEENS1_30default_config_static_selectorELNS0_4arch9wavefront6targetE0EEEvS14_.has_indirect_call, 0
	.section	.AMDGPU.csdata,"",@progbits
; Kernel info:
; codeLenInByte = 0
; TotalNumSgprs: 0
; NumVgprs: 0
; ScratchSize: 0
; MemoryBound: 0
; FloatMode: 240
; IeeeMode: 1
; LDSByteSize: 0 bytes/workgroup (compile time only)
; SGPRBlocks: 0
; VGPRBlocks: 0
; NumSGPRsForWavesPerEU: 1
; NumVGPRsForWavesPerEU: 1
; NamedBarCnt: 0
; Occupancy: 16
; WaveLimiterHint : 0
; COMPUTE_PGM_RSRC2:SCRATCH_EN: 0
; COMPUTE_PGM_RSRC2:USER_SGPR: 2
; COMPUTE_PGM_RSRC2:TRAP_HANDLER: 0
; COMPUTE_PGM_RSRC2:TGID_X_EN: 1
; COMPUTE_PGM_RSRC2:TGID_Y_EN: 0
; COMPUTE_PGM_RSRC2:TGID_Z_EN: 0
; COMPUTE_PGM_RSRC2:TIDIG_COMP_CNT: 0
	.section	.text._ZN7rocprim17ROCPRIM_400000_NS6detail17trampoline_kernelINS0_14default_configENS1_22reduce_config_selectorIN6thrust23THRUST_200600_302600_NS5tupleIblNS6_9null_typeES8_S8_S8_S8_S8_S8_S8_EEEEZNS1_11reduce_implILb1ES3_NS6_12zip_iteratorINS7_INS6_11hip_rocprim26transform_input_iterator_tIbNSD_35transform_pair_of_input_iterators_tIbNS6_6detail15normal_iteratorINS6_10device_ptrIKjEEEESL_NS6_8equal_toIjEEEENSG_9not_fun_tINSD_8identityEEEEENSD_19counting_iterator_tIlEES8_S8_S8_S8_S8_S8_S8_S8_EEEEPS9_S9_NSD_9__find_if7functorIS9_EEEE10hipError_tPvRmT1_T2_T3_mT4_P12ihipStream_tbEUlT_E0_NS1_11comp_targetILNS1_3genE2ELNS1_11target_archE906ELNS1_3gpuE6ELNS1_3repE0EEENS1_30default_config_static_selectorELNS0_4arch9wavefront6targetE0EEEvS14_,"axG",@progbits,_ZN7rocprim17ROCPRIM_400000_NS6detail17trampoline_kernelINS0_14default_configENS1_22reduce_config_selectorIN6thrust23THRUST_200600_302600_NS5tupleIblNS6_9null_typeES8_S8_S8_S8_S8_S8_S8_EEEEZNS1_11reduce_implILb1ES3_NS6_12zip_iteratorINS7_INS6_11hip_rocprim26transform_input_iterator_tIbNSD_35transform_pair_of_input_iterators_tIbNS6_6detail15normal_iteratorINS6_10device_ptrIKjEEEESL_NS6_8equal_toIjEEEENSG_9not_fun_tINSD_8identityEEEEENSD_19counting_iterator_tIlEES8_S8_S8_S8_S8_S8_S8_S8_EEEEPS9_S9_NSD_9__find_if7functorIS9_EEEE10hipError_tPvRmT1_T2_T3_mT4_P12ihipStream_tbEUlT_E0_NS1_11comp_targetILNS1_3genE2ELNS1_11target_archE906ELNS1_3gpuE6ELNS1_3repE0EEENS1_30default_config_static_selectorELNS0_4arch9wavefront6targetE0EEEvS14_,comdat
	.protected	_ZN7rocprim17ROCPRIM_400000_NS6detail17trampoline_kernelINS0_14default_configENS1_22reduce_config_selectorIN6thrust23THRUST_200600_302600_NS5tupleIblNS6_9null_typeES8_S8_S8_S8_S8_S8_S8_EEEEZNS1_11reduce_implILb1ES3_NS6_12zip_iteratorINS7_INS6_11hip_rocprim26transform_input_iterator_tIbNSD_35transform_pair_of_input_iterators_tIbNS6_6detail15normal_iteratorINS6_10device_ptrIKjEEEESL_NS6_8equal_toIjEEEENSG_9not_fun_tINSD_8identityEEEEENSD_19counting_iterator_tIlEES8_S8_S8_S8_S8_S8_S8_S8_EEEEPS9_S9_NSD_9__find_if7functorIS9_EEEE10hipError_tPvRmT1_T2_T3_mT4_P12ihipStream_tbEUlT_E0_NS1_11comp_targetILNS1_3genE2ELNS1_11target_archE906ELNS1_3gpuE6ELNS1_3repE0EEENS1_30default_config_static_selectorELNS0_4arch9wavefront6targetE0EEEvS14_ ; -- Begin function _ZN7rocprim17ROCPRIM_400000_NS6detail17trampoline_kernelINS0_14default_configENS1_22reduce_config_selectorIN6thrust23THRUST_200600_302600_NS5tupleIblNS6_9null_typeES8_S8_S8_S8_S8_S8_S8_EEEEZNS1_11reduce_implILb1ES3_NS6_12zip_iteratorINS7_INS6_11hip_rocprim26transform_input_iterator_tIbNSD_35transform_pair_of_input_iterators_tIbNS6_6detail15normal_iteratorINS6_10device_ptrIKjEEEESL_NS6_8equal_toIjEEEENSG_9not_fun_tINSD_8identityEEEEENSD_19counting_iterator_tIlEES8_S8_S8_S8_S8_S8_S8_S8_EEEEPS9_S9_NSD_9__find_if7functorIS9_EEEE10hipError_tPvRmT1_T2_T3_mT4_P12ihipStream_tbEUlT_E0_NS1_11comp_targetILNS1_3genE2ELNS1_11target_archE906ELNS1_3gpuE6ELNS1_3repE0EEENS1_30default_config_static_selectorELNS0_4arch9wavefront6targetE0EEEvS14_
	.globl	_ZN7rocprim17ROCPRIM_400000_NS6detail17trampoline_kernelINS0_14default_configENS1_22reduce_config_selectorIN6thrust23THRUST_200600_302600_NS5tupleIblNS6_9null_typeES8_S8_S8_S8_S8_S8_S8_EEEEZNS1_11reduce_implILb1ES3_NS6_12zip_iteratorINS7_INS6_11hip_rocprim26transform_input_iterator_tIbNSD_35transform_pair_of_input_iterators_tIbNS6_6detail15normal_iteratorINS6_10device_ptrIKjEEEESL_NS6_8equal_toIjEEEENSG_9not_fun_tINSD_8identityEEEEENSD_19counting_iterator_tIlEES8_S8_S8_S8_S8_S8_S8_S8_EEEEPS9_S9_NSD_9__find_if7functorIS9_EEEE10hipError_tPvRmT1_T2_T3_mT4_P12ihipStream_tbEUlT_E0_NS1_11comp_targetILNS1_3genE2ELNS1_11target_archE906ELNS1_3gpuE6ELNS1_3repE0EEENS1_30default_config_static_selectorELNS0_4arch9wavefront6targetE0EEEvS14_
	.p2align	8
	.type	_ZN7rocprim17ROCPRIM_400000_NS6detail17trampoline_kernelINS0_14default_configENS1_22reduce_config_selectorIN6thrust23THRUST_200600_302600_NS5tupleIblNS6_9null_typeES8_S8_S8_S8_S8_S8_S8_EEEEZNS1_11reduce_implILb1ES3_NS6_12zip_iteratorINS7_INS6_11hip_rocprim26transform_input_iterator_tIbNSD_35transform_pair_of_input_iterators_tIbNS6_6detail15normal_iteratorINS6_10device_ptrIKjEEEESL_NS6_8equal_toIjEEEENSG_9not_fun_tINSD_8identityEEEEENSD_19counting_iterator_tIlEES8_S8_S8_S8_S8_S8_S8_S8_EEEEPS9_S9_NSD_9__find_if7functorIS9_EEEE10hipError_tPvRmT1_T2_T3_mT4_P12ihipStream_tbEUlT_E0_NS1_11comp_targetILNS1_3genE2ELNS1_11target_archE906ELNS1_3gpuE6ELNS1_3repE0EEENS1_30default_config_static_selectorELNS0_4arch9wavefront6targetE0EEEvS14_,@function
_ZN7rocprim17ROCPRIM_400000_NS6detail17trampoline_kernelINS0_14default_configENS1_22reduce_config_selectorIN6thrust23THRUST_200600_302600_NS5tupleIblNS6_9null_typeES8_S8_S8_S8_S8_S8_S8_EEEEZNS1_11reduce_implILb1ES3_NS6_12zip_iteratorINS7_INS6_11hip_rocprim26transform_input_iterator_tIbNSD_35transform_pair_of_input_iterators_tIbNS6_6detail15normal_iteratorINS6_10device_ptrIKjEEEESL_NS6_8equal_toIjEEEENSG_9not_fun_tINSD_8identityEEEEENSD_19counting_iterator_tIlEES8_S8_S8_S8_S8_S8_S8_S8_EEEEPS9_S9_NSD_9__find_if7functorIS9_EEEE10hipError_tPvRmT1_T2_T3_mT4_P12ihipStream_tbEUlT_E0_NS1_11comp_targetILNS1_3genE2ELNS1_11target_archE906ELNS1_3gpuE6ELNS1_3repE0EEENS1_30default_config_static_selectorELNS0_4arch9wavefront6targetE0EEEvS14_: ; @_ZN7rocprim17ROCPRIM_400000_NS6detail17trampoline_kernelINS0_14default_configENS1_22reduce_config_selectorIN6thrust23THRUST_200600_302600_NS5tupleIblNS6_9null_typeES8_S8_S8_S8_S8_S8_S8_EEEEZNS1_11reduce_implILb1ES3_NS6_12zip_iteratorINS7_INS6_11hip_rocprim26transform_input_iterator_tIbNSD_35transform_pair_of_input_iterators_tIbNS6_6detail15normal_iteratorINS6_10device_ptrIKjEEEESL_NS6_8equal_toIjEEEENSG_9not_fun_tINSD_8identityEEEEENSD_19counting_iterator_tIlEES8_S8_S8_S8_S8_S8_S8_S8_EEEEPS9_S9_NSD_9__find_if7functorIS9_EEEE10hipError_tPvRmT1_T2_T3_mT4_P12ihipStream_tbEUlT_E0_NS1_11comp_targetILNS1_3genE2ELNS1_11target_archE906ELNS1_3gpuE6ELNS1_3repE0EEENS1_30default_config_static_selectorELNS0_4arch9wavefront6targetE0EEEvS14_
; %bb.0:
	.section	.rodata,"a",@progbits
	.p2align	6, 0x0
	.amdhsa_kernel _ZN7rocprim17ROCPRIM_400000_NS6detail17trampoline_kernelINS0_14default_configENS1_22reduce_config_selectorIN6thrust23THRUST_200600_302600_NS5tupleIblNS6_9null_typeES8_S8_S8_S8_S8_S8_S8_EEEEZNS1_11reduce_implILb1ES3_NS6_12zip_iteratorINS7_INS6_11hip_rocprim26transform_input_iterator_tIbNSD_35transform_pair_of_input_iterators_tIbNS6_6detail15normal_iteratorINS6_10device_ptrIKjEEEESL_NS6_8equal_toIjEEEENSG_9not_fun_tINSD_8identityEEEEENSD_19counting_iterator_tIlEES8_S8_S8_S8_S8_S8_S8_S8_EEEEPS9_S9_NSD_9__find_if7functorIS9_EEEE10hipError_tPvRmT1_T2_T3_mT4_P12ihipStream_tbEUlT_E0_NS1_11comp_targetILNS1_3genE2ELNS1_11target_archE906ELNS1_3gpuE6ELNS1_3repE0EEENS1_30default_config_static_selectorELNS0_4arch9wavefront6targetE0EEEvS14_
		.amdhsa_group_segment_fixed_size 0
		.amdhsa_private_segment_fixed_size 0
		.amdhsa_kernarg_size 104
		.amdhsa_user_sgpr_count 2
		.amdhsa_user_sgpr_dispatch_ptr 0
		.amdhsa_user_sgpr_queue_ptr 0
		.amdhsa_user_sgpr_kernarg_segment_ptr 1
		.amdhsa_user_sgpr_dispatch_id 0
		.amdhsa_user_sgpr_kernarg_preload_length 0
		.amdhsa_user_sgpr_kernarg_preload_offset 0
		.amdhsa_user_sgpr_private_segment_size 0
		.amdhsa_wavefront_size32 1
		.amdhsa_uses_dynamic_stack 0
		.amdhsa_enable_private_segment 0
		.amdhsa_system_sgpr_workgroup_id_x 1
		.amdhsa_system_sgpr_workgroup_id_y 0
		.amdhsa_system_sgpr_workgroup_id_z 0
		.amdhsa_system_sgpr_workgroup_info 0
		.amdhsa_system_vgpr_workitem_id 0
		.amdhsa_next_free_vgpr 1
		.amdhsa_next_free_sgpr 1
		.amdhsa_named_barrier_count 0
		.amdhsa_reserve_vcc 0
		.amdhsa_float_round_mode_32 0
		.amdhsa_float_round_mode_16_64 0
		.amdhsa_float_denorm_mode_32 3
		.amdhsa_float_denorm_mode_16_64 3
		.amdhsa_fp16_overflow 0
		.amdhsa_memory_ordered 1
		.amdhsa_forward_progress 1
		.amdhsa_inst_pref_size 0
		.amdhsa_round_robin_scheduling 0
		.amdhsa_exception_fp_ieee_invalid_op 0
		.amdhsa_exception_fp_denorm_src 0
		.amdhsa_exception_fp_ieee_div_zero 0
		.amdhsa_exception_fp_ieee_overflow 0
		.amdhsa_exception_fp_ieee_underflow 0
		.amdhsa_exception_fp_ieee_inexact 0
		.amdhsa_exception_int_div_zero 0
	.end_amdhsa_kernel
	.section	.text._ZN7rocprim17ROCPRIM_400000_NS6detail17trampoline_kernelINS0_14default_configENS1_22reduce_config_selectorIN6thrust23THRUST_200600_302600_NS5tupleIblNS6_9null_typeES8_S8_S8_S8_S8_S8_S8_EEEEZNS1_11reduce_implILb1ES3_NS6_12zip_iteratorINS7_INS6_11hip_rocprim26transform_input_iterator_tIbNSD_35transform_pair_of_input_iterators_tIbNS6_6detail15normal_iteratorINS6_10device_ptrIKjEEEESL_NS6_8equal_toIjEEEENSG_9not_fun_tINSD_8identityEEEEENSD_19counting_iterator_tIlEES8_S8_S8_S8_S8_S8_S8_S8_EEEEPS9_S9_NSD_9__find_if7functorIS9_EEEE10hipError_tPvRmT1_T2_T3_mT4_P12ihipStream_tbEUlT_E0_NS1_11comp_targetILNS1_3genE2ELNS1_11target_archE906ELNS1_3gpuE6ELNS1_3repE0EEENS1_30default_config_static_selectorELNS0_4arch9wavefront6targetE0EEEvS14_,"axG",@progbits,_ZN7rocprim17ROCPRIM_400000_NS6detail17trampoline_kernelINS0_14default_configENS1_22reduce_config_selectorIN6thrust23THRUST_200600_302600_NS5tupleIblNS6_9null_typeES8_S8_S8_S8_S8_S8_S8_EEEEZNS1_11reduce_implILb1ES3_NS6_12zip_iteratorINS7_INS6_11hip_rocprim26transform_input_iterator_tIbNSD_35transform_pair_of_input_iterators_tIbNS6_6detail15normal_iteratorINS6_10device_ptrIKjEEEESL_NS6_8equal_toIjEEEENSG_9not_fun_tINSD_8identityEEEEENSD_19counting_iterator_tIlEES8_S8_S8_S8_S8_S8_S8_S8_EEEEPS9_S9_NSD_9__find_if7functorIS9_EEEE10hipError_tPvRmT1_T2_T3_mT4_P12ihipStream_tbEUlT_E0_NS1_11comp_targetILNS1_3genE2ELNS1_11target_archE906ELNS1_3gpuE6ELNS1_3repE0EEENS1_30default_config_static_selectorELNS0_4arch9wavefront6targetE0EEEvS14_,comdat
.Lfunc_end155:
	.size	_ZN7rocprim17ROCPRIM_400000_NS6detail17trampoline_kernelINS0_14default_configENS1_22reduce_config_selectorIN6thrust23THRUST_200600_302600_NS5tupleIblNS6_9null_typeES8_S8_S8_S8_S8_S8_S8_EEEEZNS1_11reduce_implILb1ES3_NS6_12zip_iteratorINS7_INS6_11hip_rocprim26transform_input_iterator_tIbNSD_35transform_pair_of_input_iterators_tIbNS6_6detail15normal_iteratorINS6_10device_ptrIKjEEEESL_NS6_8equal_toIjEEEENSG_9not_fun_tINSD_8identityEEEEENSD_19counting_iterator_tIlEES8_S8_S8_S8_S8_S8_S8_S8_EEEEPS9_S9_NSD_9__find_if7functorIS9_EEEE10hipError_tPvRmT1_T2_T3_mT4_P12ihipStream_tbEUlT_E0_NS1_11comp_targetILNS1_3genE2ELNS1_11target_archE906ELNS1_3gpuE6ELNS1_3repE0EEENS1_30default_config_static_selectorELNS0_4arch9wavefront6targetE0EEEvS14_, .Lfunc_end155-_ZN7rocprim17ROCPRIM_400000_NS6detail17trampoline_kernelINS0_14default_configENS1_22reduce_config_selectorIN6thrust23THRUST_200600_302600_NS5tupleIblNS6_9null_typeES8_S8_S8_S8_S8_S8_S8_EEEEZNS1_11reduce_implILb1ES3_NS6_12zip_iteratorINS7_INS6_11hip_rocprim26transform_input_iterator_tIbNSD_35transform_pair_of_input_iterators_tIbNS6_6detail15normal_iteratorINS6_10device_ptrIKjEEEESL_NS6_8equal_toIjEEEENSG_9not_fun_tINSD_8identityEEEEENSD_19counting_iterator_tIlEES8_S8_S8_S8_S8_S8_S8_S8_EEEEPS9_S9_NSD_9__find_if7functorIS9_EEEE10hipError_tPvRmT1_T2_T3_mT4_P12ihipStream_tbEUlT_E0_NS1_11comp_targetILNS1_3genE2ELNS1_11target_archE906ELNS1_3gpuE6ELNS1_3repE0EEENS1_30default_config_static_selectorELNS0_4arch9wavefront6targetE0EEEvS14_
                                        ; -- End function
	.set _ZN7rocprim17ROCPRIM_400000_NS6detail17trampoline_kernelINS0_14default_configENS1_22reduce_config_selectorIN6thrust23THRUST_200600_302600_NS5tupleIblNS6_9null_typeES8_S8_S8_S8_S8_S8_S8_EEEEZNS1_11reduce_implILb1ES3_NS6_12zip_iteratorINS7_INS6_11hip_rocprim26transform_input_iterator_tIbNSD_35transform_pair_of_input_iterators_tIbNS6_6detail15normal_iteratorINS6_10device_ptrIKjEEEESL_NS6_8equal_toIjEEEENSG_9not_fun_tINSD_8identityEEEEENSD_19counting_iterator_tIlEES8_S8_S8_S8_S8_S8_S8_S8_EEEEPS9_S9_NSD_9__find_if7functorIS9_EEEE10hipError_tPvRmT1_T2_T3_mT4_P12ihipStream_tbEUlT_E0_NS1_11comp_targetILNS1_3genE2ELNS1_11target_archE906ELNS1_3gpuE6ELNS1_3repE0EEENS1_30default_config_static_selectorELNS0_4arch9wavefront6targetE0EEEvS14_.num_vgpr, 0
	.set _ZN7rocprim17ROCPRIM_400000_NS6detail17trampoline_kernelINS0_14default_configENS1_22reduce_config_selectorIN6thrust23THRUST_200600_302600_NS5tupleIblNS6_9null_typeES8_S8_S8_S8_S8_S8_S8_EEEEZNS1_11reduce_implILb1ES3_NS6_12zip_iteratorINS7_INS6_11hip_rocprim26transform_input_iterator_tIbNSD_35transform_pair_of_input_iterators_tIbNS6_6detail15normal_iteratorINS6_10device_ptrIKjEEEESL_NS6_8equal_toIjEEEENSG_9not_fun_tINSD_8identityEEEEENSD_19counting_iterator_tIlEES8_S8_S8_S8_S8_S8_S8_S8_EEEEPS9_S9_NSD_9__find_if7functorIS9_EEEE10hipError_tPvRmT1_T2_T3_mT4_P12ihipStream_tbEUlT_E0_NS1_11comp_targetILNS1_3genE2ELNS1_11target_archE906ELNS1_3gpuE6ELNS1_3repE0EEENS1_30default_config_static_selectorELNS0_4arch9wavefront6targetE0EEEvS14_.num_agpr, 0
	.set _ZN7rocprim17ROCPRIM_400000_NS6detail17trampoline_kernelINS0_14default_configENS1_22reduce_config_selectorIN6thrust23THRUST_200600_302600_NS5tupleIblNS6_9null_typeES8_S8_S8_S8_S8_S8_S8_EEEEZNS1_11reduce_implILb1ES3_NS6_12zip_iteratorINS7_INS6_11hip_rocprim26transform_input_iterator_tIbNSD_35transform_pair_of_input_iterators_tIbNS6_6detail15normal_iteratorINS6_10device_ptrIKjEEEESL_NS6_8equal_toIjEEEENSG_9not_fun_tINSD_8identityEEEEENSD_19counting_iterator_tIlEES8_S8_S8_S8_S8_S8_S8_S8_EEEEPS9_S9_NSD_9__find_if7functorIS9_EEEE10hipError_tPvRmT1_T2_T3_mT4_P12ihipStream_tbEUlT_E0_NS1_11comp_targetILNS1_3genE2ELNS1_11target_archE906ELNS1_3gpuE6ELNS1_3repE0EEENS1_30default_config_static_selectorELNS0_4arch9wavefront6targetE0EEEvS14_.numbered_sgpr, 0
	.set _ZN7rocprim17ROCPRIM_400000_NS6detail17trampoline_kernelINS0_14default_configENS1_22reduce_config_selectorIN6thrust23THRUST_200600_302600_NS5tupleIblNS6_9null_typeES8_S8_S8_S8_S8_S8_S8_EEEEZNS1_11reduce_implILb1ES3_NS6_12zip_iteratorINS7_INS6_11hip_rocprim26transform_input_iterator_tIbNSD_35transform_pair_of_input_iterators_tIbNS6_6detail15normal_iteratorINS6_10device_ptrIKjEEEESL_NS6_8equal_toIjEEEENSG_9not_fun_tINSD_8identityEEEEENSD_19counting_iterator_tIlEES8_S8_S8_S8_S8_S8_S8_S8_EEEEPS9_S9_NSD_9__find_if7functorIS9_EEEE10hipError_tPvRmT1_T2_T3_mT4_P12ihipStream_tbEUlT_E0_NS1_11comp_targetILNS1_3genE2ELNS1_11target_archE906ELNS1_3gpuE6ELNS1_3repE0EEENS1_30default_config_static_selectorELNS0_4arch9wavefront6targetE0EEEvS14_.num_named_barrier, 0
	.set _ZN7rocprim17ROCPRIM_400000_NS6detail17trampoline_kernelINS0_14default_configENS1_22reduce_config_selectorIN6thrust23THRUST_200600_302600_NS5tupleIblNS6_9null_typeES8_S8_S8_S8_S8_S8_S8_EEEEZNS1_11reduce_implILb1ES3_NS6_12zip_iteratorINS7_INS6_11hip_rocprim26transform_input_iterator_tIbNSD_35transform_pair_of_input_iterators_tIbNS6_6detail15normal_iteratorINS6_10device_ptrIKjEEEESL_NS6_8equal_toIjEEEENSG_9not_fun_tINSD_8identityEEEEENSD_19counting_iterator_tIlEES8_S8_S8_S8_S8_S8_S8_S8_EEEEPS9_S9_NSD_9__find_if7functorIS9_EEEE10hipError_tPvRmT1_T2_T3_mT4_P12ihipStream_tbEUlT_E0_NS1_11comp_targetILNS1_3genE2ELNS1_11target_archE906ELNS1_3gpuE6ELNS1_3repE0EEENS1_30default_config_static_selectorELNS0_4arch9wavefront6targetE0EEEvS14_.private_seg_size, 0
	.set _ZN7rocprim17ROCPRIM_400000_NS6detail17trampoline_kernelINS0_14default_configENS1_22reduce_config_selectorIN6thrust23THRUST_200600_302600_NS5tupleIblNS6_9null_typeES8_S8_S8_S8_S8_S8_S8_EEEEZNS1_11reduce_implILb1ES3_NS6_12zip_iteratorINS7_INS6_11hip_rocprim26transform_input_iterator_tIbNSD_35transform_pair_of_input_iterators_tIbNS6_6detail15normal_iteratorINS6_10device_ptrIKjEEEESL_NS6_8equal_toIjEEEENSG_9not_fun_tINSD_8identityEEEEENSD_19counting_iterator_tIlEES8_S8_S8_S8_S8_S8_S8_S8_EEEEPS9_S9_NSD_9__find_if7functorIS9_EEEE10hipError_tPvRmT1_T2_T3_mT4_P12ihipStream_tbEUlT_E0_NS1_11comp_targetILNS1_3genE2ELNS1_11target_archE906ELNS1_3gpuE6ELNS1_3repE0EEENS1_30default_config_static_selectorELNS0_4arch9wavefront6targetE0EEEvS14_.uses_vcc, 0
	.set _ZN7rocprim17ROCPRIM_400000_NS6detail17trampoline_kernelINS0_14default_configENS1_22reduce_config_selectorIN6thrust23THRUST_200600_302600_NS5tupleIblNS6_9null_typeES8_S8_S8_S8_S8_S8_S8_EEEEZNS1_11reduce_implILb1ES3_NS6_12zip_iteratorINS7_INS6_11hip_rocprim26transform_input_iterator_tIbNSD_35transform_pair_of_input_iterators_tIbNS6_6detail15normal_iteratorINS6_10device_ptrIKjEEEESL_NS6_8equal_toIjEEEENSG_9not_fun_tINSD_8identityEEEEENSD_19counting_iterator_tIlEES8_S8_S8_S8_S8_S8_S8_S8_EEEEPS9_S9_NSD_9__find_if7functorIS9_EEEE10hipError_tPvRmT1_T2_T3_mT4_P12ihipStream_tbEUlT_E0_NS1_11comp_targetILNS1_3genE2ELNS1_11target_archE906ELNS1_3gpuE6ELNS1_3repE0EEENS1_30default_config_static_selectorELNS0_4arch9wavefront6targetE0EEEvS14_.uses_flat_scratch, 0
	.set _ZN7rocprim17ROCPRIM_400000_NS6detail17trampoline_kernelINS0_14default_configENS1_22reduce_config_selectorIN6thrust23THRUST_200600_302600_NS5tupleIblNS6_9null_typeES8_S8_S8_S8_S8_S8_S8_EEEEZNS1_11reduce_implILb1ES3_NS6_12zip_iteratorINS7_INS6_11hip_rocprim26transform_input_iterator_tIbNSD_35transform_pair_of_input_iterators_tIbNS6_6detail15normal_iteratorINS6_10device_ptrIKjEEEESL_NS6_8equal_toIjEEEENSG_9not_fun_tINSD_8identityEEEEENSD_19counting_iterator_tIlEES8_S8_S8_S8_S8_S8_S8_S8_EEEEPS9_S9_NSD_9__find_if7functorIS9_EEEE10hipError_tPvRmT1_T2_T3_mT4_P12ihipStream_tbEUlT_E0_NS1_11comp_targetILNS1_3genE2ELNS1_11target_archE906ELNS1_3gpuE6ELNS1_3repE0EEENS1_30default_config_static_selectorELNS0_4arch9wavefront6targetE0EEEvS14_.has_dyn_sized_stack, 0
	.set _ZN7rocprim17ROCPRIM_400000_NS6detail17trampoline_kernelINS0_14default_configENS1_22reduce_config_selectorIN6thrust23THRUST_200600_302600_NS5tupleIblNS6_9null_typeES8_S8_S8_S8_S8_S8_S8_EEEEZNS1_11reduce_implILb1ES3_NS6_12zip_iteratorINS7_INS6_11hip_rocprim26transform_input_iterator_tIbNSD_35transform_pair_of_input_iterators_tIbNS6_6detail15normal_iteratorINS6_10device_ptrIKjEEEESL_NS6_8equal_toIjEEEENSG_9not_fun_tINSD_8identityEEEEENSD_19counting_iterator_tIlEES8_S8_S8_S8_S8_S8_S8_S8_EEEEPS9_S9_NSD_9__find_if7functorIS9_EEEE10hipError_tPvRmT1_T2_T3_mT4_P12ihipStream_tbEUlT_E0_NS1_11comp_targetILNS1_3genE2ELNS1_11target_archE906ELNS1_3gpuE6ELNS1_3repE0EEENS1_30default_config_static_selectorELNS0_4arch9wavefront6targetE0EEEvS14_.has_recursion, 0
	.set _ZN7rocprim17ROCPRIM_400000_NS6detail17trampoline_kernelINS0_14default_configENS1_22reduce_config_selectorIN6thrust23THRUST_200600_302600_NS5tupleIblNS6_9null_typeES8_S8_S8_S8_S8_S8_S8_EEEEZNS1_11reduce_implILb1ES3_NS6_12zip_iteratorINS7_INS6_11hip_rocprim26transform_input_iterator_tIbNSD_35transform_pair_of_input_iterators_tIbNS6_6detail15normal_iteratorINS6_10device_ptrIKjEEEESL_NS6_8equal_toIjEEEENSG_9not_fun_tINSD_8identityEEEEENSD_19counting_iterator_tIlEES8_S8_S8_S8_S8_S8_S8_S8_EEEEPS9_S9_NSD_9__find_if7functorIS9_EEEE10hipError_tPvRmT1_T2_T3_mT4_P12ihipStream_tbEUlT_E0_NS1_11comp_targetILNS1_3genE2ELNS1_11target_archE906ELNS1_3gpuE6ELNS1_3repE0EEENS1_30default_config_static_selectorELNS0_4arch9wavefront6targetE0EEEvS14_.has_indirect_call, 0
	.section	.AMDGPU.csdata,"",@progbits
; Kernel info:
; codeLenInByte = 0
; TotalNumSgprs: 0
; NumVgprs: 0
; ScratchSize: 0
; MemoryBound: 0
; FloatMode: 240
; IeeeMode: 1
; LDSByteSize: 0 bytes/workgroup (compile time only)
; SGPRBlocks: 0
; VGPRBlocks: 0
; NumSGPRsForWavesPerEU: 1
; NumVGPRsForWavesPerEU: 1
; NamedBarCnt: 0
; Occupancy: 16
; WaveLimiterHint : 0
; COMPUTE_PGM_RSRC2:SCRATCH_EN: 0
; COMPUTE_PGM_RSRC2:USER_SGPR: 2
; COMPUTE_PGM_RSRC2:TRAP_HANDLER: 0
; COMPUTE_PGM_RSRC2:TGID_X_EN: 1
; COMPUTE_PGM_RSRC2:TGID_Y_EN: 0
; COMPUTE_PGM_RSRC2:TGID_Z_EN: 0
; COMPUTE_PGM_RSRC2:TIDIG_COMP_CNT: 0
	.section	.text._ZN7rocprim17ROCPRIM_400000_NS6detail17trampoline_kernelINS0_14default_configENS1_22reduce_config_selectorIN6thrust23THRUST_200600_302600_NS5tupleIblNS6_9null_typeES8_S8_S8_S8_S8_S8_S8_EEEEZNS1_11reduce_implILb1ES3_NS6_12zip_iteratorINS7_INS6_11hip_rocprim26transform_input_iterator_tIbNSD_35transform_pair_of_input_iterators_tIbNS6_6detail15normal_iteratorINS6_10device_ptrIKjEEEESL_NS6_8equal_toIjEEEENSG_9not_fun_tINSD_8identityEEEEENSD_19counting_iterator_tIlEES8_S8_S8_S8_S8_S8_S8_S8_EEEEPS9_S9_NSD_9__find_if7functorIS9_EEEE10hipError_tPvRmT1_T2_T3_mT4_P12ihipStream_tbEUlT_E0_NS1_11comp_targetILNS1_3genE10ELNS1_11target_archE1201ELNS1_3gpuE5ELNS1_3repE0EEENS1_30default_config_static_selectorELNS0_4arch9wavefront6targetE0EEEvS14_,"axG",@progbits,_ZN7rocprim17ROCPRIM_400000_NS6detail17trampoline_kernelINS0_14default_configENS1_22reduce_config_selectorIN6thrust23THRUST_200600_302600_NS5tupleIblNS6_9null_typeES8_S8_S8_S8_S8_S8_S8_EEEEZNS1_11reduce_implILb1ES3_NS6_12zip_iteratorINS7_INS6_11hip_rocprim26transform_input_iterator_tIbNSD_35transform_pair_of_input_iterators_tIbNS6_6detail15normal_iteratorINS6_10device_ptrIKjEEEESL_NS6_8equal_toIjEEEENSG_9not_fun_tINSD_8identityEEEEENSD_19counting_iterator_tIlEES8_S8_S8_S8_S8_S8_S8_S8_EEEEPS9_S9_NSD_9__find_if7functorIS9_EEEE10hipError_tPvRmT1_T2_T3_mT4_P12ihipStream_tbEUlT_E0_NS1_11comp_targetILNS1_3genE10ELNS1_11target_archE1201ELNS1_3gpuE5ELNS1_3repE0EEENS1_30default_config_static_selectorELNS0_4arch9wavefront6targetE0EEEvS14_,comdat
	.protected	_ZN7rocprim17ROCPRIM_400000_NS6detail17trampoline_kernelINS0_14default_configENS1_22reduce_config_selectorIN6thrust23THRUST_200600_302600_NS5tupleIblNS6_9null_typeES8_S8_S8_S8_S8_S8_S8_EEEEZNS1_11reduce_implILb1ES3_NS6_12zip_iteratorINS7_INS6_11hip_rocprim26transform_input_iterator_tIbNSD_35transform_pair_of_input_iterators_tIbNS6_6detail15normal_iteratorINS6_10device_ptrIKjEEEESL_NS6_8equal_toIjEEEENSG_9not_fun_tINSD_8identityEEEEENSD_19counting_iterator_tIlEES8_S8_S8_S8_S8_S8_S8_S8_EEEEPS9_S9_NSD_9__find_if7functorIS9_EEEE10hipError_tPvRmT1_T2_T3_mT4_P12ihipStream_tbEUlT_E0_NS1_11comp_targetILNS1_3genE10ELNS1_11target_archE1201ELNS1_3gpuE5ELNS1_3repE0EEENS1_30default_config_static_selectorELNS0_4arch9wavefront6targetE0EEEvS14_ ; -- Begin function _ZN7rocprim17ROCPRIM_400000_NS6detail17trampoline_kernelINS0_14default_configENS1_22reduce_config_selectorIN6thrust23THRUST_200600_302600_NS5tupleIblNS6_9null_typeES8_S8_S8_S8_S8_S8_S8_EEEEZNS1_11reduce_implILb1ES3_NS6_12zip_iteratorINS7_INS6_11hip_rocprim26transform_input_iterator_tIbNSD_35transform_pair_of_input_iterators_tIbNS6_6detail15normal_iteratorINS6_10device_ptrIKjEEEESL_NS6_8equal_toIjEEEENSG_9not_fun_tINSD_8identityEEEEENSD_19counting_iterator_tIlEES8_S8_S8_S8_S8_S8_S8_S8_EEEEPS9_S9_NSD_9__find_if7functorIS9_EEEE10hipError_tPvRmT1_T2_T3_mT4_P12ihipStream_tbEUlT_E0_NS1_11comp_targetILNS1_3genE10ELNS1_11target_archE1201ELNS1_3gpuE5ELNS1_3repE0EEENS1_30default_config_static_selectorELNS0_4arch9wavefront6targetE0EEEvS14_
	.globl	_ZN7rocprim17ROCPRIM_400000_NS6detail17trampoline_kernelINS0_14default_configENS1_22reduce_config_selectorIN6thrust23THRUST_200600_302600_NS5tupleIblNS6_9null_typeES8_S8_S8_S8_S8_S8_S8_EEEEZNS1_11reduce_implILb1ES3_NS6_12zip_iteratorINS7_INS6_11hip_rocprim26transform_input_iterator_tIbNSD_35transform_pair_of_input_iterators_tIbNS6_6detail15normal_iteratorINS6_10device_ptrIKjEEEESL_NS6_8equal_toIjEEEENSG_9not_fun_tINSD_8identityEEEEENSD_19counting_iterator_tIlEES8_S8_S8_S8_S8_S8_S8_S8_EEEEPS9_S9_NSD_9__find_if7functorIS9_EEEE10hipError_tPvRmT1_T2_T3_mT4_P12ihipStream_tbEUlT_E0_NS1_11comp_targetILNS1_3genE10ELNS1_11target_archE1201ELNS1_3gpuE5ELNS1_3repE0EEENS1_30default_config_static_selectorELNS0_4arch9wavefront6targetE0EEEvS14_
	.p2align	8
	.type	_ZN7rocprim17ROCPRIM_400000_NS6detail17trampoline_kernelINS0_14default_configENS1_22reduce_config_selectorIN6thrust23THRUST_200600_302600_NS5tupleIblNS6_9null_typeES8_S8_S8_S8_S8_S8_S8_EEEEZNS1_11reduce_implILb1ES3_NS6_12zip_iteratorINS7_INS6_11hip_rocprim26transform_input_iterator_tIbNSD_35transform_pair_of_input_iterators_tIbNS6_6detail15normal_iteratorINS6_10device_ptrIKjEEEESL_NS6_8equal_toIjEEEENSG_9not_fun_tINSD_8identityEEEEENSD_19counting_iterator_tIlEES8_S8_S8_S8_S8_S8_S8_S8_EEEEPS9_S9_NSD_9__find_if7functorIS9_EEEE10hipError_tPvRmT1_T2_T3_mT4_P12ihipStream_tbEUlT_E0_NS1_11comp_targetILNS1_3genE10ELNS1_11target_archE1201ELNS1_3gpuE5ELNS1_3repE0EEENS1_30default_config_static_selectorELNS0_4arch9wavefront6targetE0EEEvS14_,@function
_ZN7rocprim17ROCPRIM_400000_NS6detail17trampoline_kernelINS0_14default_configENS1_22reduce_config_selectorIN6thrust23THRUST_200600_302600_NS5tupleIblNS6_9null_typeES8_S8_S8_S8_S8_S8_S8_EEEEZNS1_11reduce_implILb1ES3_NS6_12zip_iteratorINS7_INS6_11hip_rocprim26transform_input_iterator_tIbNSD_35transform_pair_of_input_iterators_tIbNS6_6detail15normal_iteratorINS6_10device_ptrIKjEEEESL_NS6_8equal_toIjEEEENSG_9not_fun_tINSD_8identityEEEEENSD_19counting_iterator_tIlEES8_S8_S8_S8_S8_S8_S8_S8_EEEEPS9_S9_NSD_9__find_if7functorIS9_EEEE10hipError_tPvRmT1_T2_T3_mT4_P12ihipStream_tbEUlT_E0_NS1_11comp_targetILNS1_3genE10ELNS1_11target_archE1201ELNS1_3gpuE5ELNS1_3repE0EEENS1_30default_config_static_selectorELNS0_4arch9wavefront6targetE0EEEvS14_: ; @_ZN7rocprim17ROCPRIM_400000_NS6detail17trampoline_kernelINS0_14default_configENS1_22reduce_config_selectorIN6thrust23THRUST_200600_302600_NS5tupleIblNS6_9null_typeES8_S8_S8_S8_S8_S8_S8_EEEEZNS1_11reduce_implILb1ES3_NS6_12zip_iteratorINS7_INS6_11hip_rocprim26transform_input_iterator_tIbNSD_35transform_pair_of_input_iterators_tIbNS6_6detail15normal_iteratorINS6_10device_ptrIKjEEEESL_NS6_8equal_toIjEEEENSG_9not_fun_tINSD_8identityEEEEENSD_19counting_iterator_tIlEES8_S8_S8_S8_S8_S8_S8_S8_EEEEPS9_S9_NSD_9__find_if7functorIS9_EEEE10hipError_tPvRmT1_T2_T3_mT4_P12ihipStream_tbEUlT_E0_NS1_11comp_targetILNS1_3genE10ELNS1_11target_archE1201ELNS1_3gpuE5ELNS1_3repE0EEENS1_30default_config_static_selectorELNS0_4arch9wavefront6targetE0EEEvS14_
; %bb.0:
	.section	.rodata,"a",@progbits
	.p2align	6, 0x0
	.amdhsa_kernel _ZN7rocprim17ROCPRIM_400000_NS6detail17trampoline_kernelINS0_14default_configENS1_22reduce_config_selectorIN6thrust23THRUST_200600_302600_NS5tupleIblNS6_9null_typeES8_S8_S8_S8_S8_S8_S8_EEEEZNS1_11reduce_implILb1ES3_NS6_12zip_iteratorINS7_INS6_11hip_rocprim26transform_input_iterator_tIbNSD_35transform_pair_of_input_iterators_tIbNS6_6detail15normal_iteratorINS6_10device_ptrIKjEEEESL_NS6_8equal_toIjEEEENSG_9not_fun_tINSD_8identityEEEEENSD_19counting_iterator_tIlEES8_S8_S8_S8_S8_S8_S8_S8_EEEEPS9_S9_NSD_9__find_if7functorIS9_EEEE10hipError_tPvRmT1_T2_T3_mT4_P12ihipStream_tbEUlT_E0_NS1_11comp_targetILNS1_3genE10ELNS1_11target_archE1201ELNS1_3gpuE5ELNS1_3repE0EEENS1_30default_config_static_selectorELNS0_4arch9wavefront6targetE0EEEvS14_
		.amdhsa_group_segment_fixed_size 0
		.amdhsa_private_segment_fixed_size 0
		.amdhsa_kernarg_size 104
		.amdhsa_user_sgpr_count 2
		.amdhsa_user_sgpr_dispatch_ptr 0
		.amdhsa_user_sgpr_queue_ptr 0
		.amdhsa_user_sgpr_kernarg_segment_ptr 1
		.amdhsa_user_sgpr_dispatch_id 0
		.amdhsa_user_sgpr_kernarg_preload_length 0
		.amdhsa_user_sgpr_kernarg_preload_offset 0
		.amdhsa_user_sgpr_private_segment_size 0
		.amdhsa_wavefront_size32 1
		.amdhsa_uses_dynamic_stack 0
		.amdhsa_enable_private_segment 0
		.amdhsa_system_sgpr_workgroup_id_x 1
		.amdhsa_system_sgpr_workgroup_id_y 0
		.amdhsa_system_sgpr_workgroup_id_z 0
		.amdhsa_system_sgpr_workgroup_info 0
		.amdhsa_system_vgpr_workitem_id 0
		.amdhsa_next_free_vgpr 1
		.amdhsa_next_free_sgpr 1
		.amdhsa_named_barrier_count 0
		.amdhsa_reserve_vcc 0
		.amdhsa_float_round_mode_32 0
		.amdhsa_float_round_mode_16_64 0
		.amdhsa_float_denorm_mode_32 3
		.amdhsa_float_denorm_mode_16_64 3
		.amdhsa_fp16_overflow 0
		.amdhsa_memory_ordered 1
		.amdhsa_forward_progress 1
		.amdhsa_inst_pref_size 0
		.amdhsa_round_robin_scheduling 0
		.amdhsa_exception_fp_ieee_invalid_op 0
		.amdhsa_exception_fp_denorm_src 0
		.amdhsa_exception_fp_ieee_div_zero 0
		.amdhsa_exception_fp_ieee_overflow 0
		.amdhsa_exception_fp_ieee_underflow 0
		.amdhsa_exception_fp_ieee_inexact 0
		.amdhsa_exception_int_div_zero 0
	.end_amdhsa_kernel
	.section	.text._ZN7rocprim17ROCPRIM_400000_NS6detail17trampoline_kernelINS0_14default_configENS1_22reduce_config_selectorIN6thrust23THRUST_200600_302600_NS5tupleIblNS6_9null_typeES8_S8_S8_S8_S8_S8_S8_EEEEZNS1_11reduce_implILb1ES3_NS6_12zip_iteratorINS7_INS6_11hip_rocprim26transform_input_iterator_tIbNSD_35transform_pair_of_input_iterators_tIbNS6_6detail15normal_iteratorINS6_10device_ptrIKjEEEESL_NS6_8equal_toIjEEEENSG_9not_fun_tINSD_8identityEEEEENSD_19counting_iterator_tIlEES8_S8_S8_S8_S8_S8_S8_S8_EEEEPS9_S9_NSD_9__find_if7functorIS9_EEEE10hipError_tPvRmT1_T2_T3_mT4_P12ihipStream_tbEUlT_E0_NS1_11comp_targetILNS1_3genE10ELNS1_11target_archE1201ELNS1_3gpuE5ELNS1_3repE0EEENS1_30default_config_static_selectorELNS0_4arch9wavefront6targetE0EEEvS14_,"axG",@progbits,_ZN7rocprim17ROCPRIM_400000_NS6detail17trampoline_kernelINS0_14default_configENS1_22reduce_config_selectorIN6thrust23THRUST_200600_302600_NS5tupleIblNS6_9null_typeES8_S8_S8_S8_S8_S8_S8_EEEEZNS1_11reduce_implILb1ES3_NS6_12zip_iteratorINS7_INS6_11hip_rocprim26transform_input_iterator_tIbNSD_35transform_pair_of_input_iterators_tIbNS6_6detail15normal_iteratorINS6_10device_ptrIKjEEEESL_NS6_8equal_toIjEEEENSG_9not_fun_tINSD_8identityEEEEENSD_19counting_iterator_tIlEES8_S8_S8_S8_S8_S8_S8_S8_EEEEPS9_S9_NSD_9__find_if7functorIS9_EEEE10hipError_tPvRmT1_T2_T3_mT4_P12ihipStream_tbEUlT_E0_NS1_11comp_targetILNS1_3genE10ELNS1_11target_archE1201ELNS1_3gpuE5ELNS1_3repE0EEENS1_30default_config_static_selectorELNS0_4arch9wavefront6targetE0EEEvS14_,comdat
.Lfunc_end156:
	.size	_ZN7rocprim17ROCPRIM_400000_NS6detail17trampoline_kernelINS0_14default_configENS1_22reduce_config_selectorIN6thrust23THRUST_200600_302600_NS5tupleIblNS6_9null_typeES8_S8_S8_S8_S8_S8_S8_EEEEZNS1_11reduce_implILb1ES3_NS6_12zip_iteratorINS7_INS6_11hip_rocprim26transform_input_iterator_tIbNSD_35transform_pair_of_input_iterators_tIbNS6_6detail15normal_iteratorINS6_10device_ptrIKjEEEESL_NS6_8equal_toIjEEEENSG_9not_fun_tINSD_8identityEEEEENSD_19counting_iterator_tIlEES8_S8_S8_S8_S8_S8_S8_S8_EEEEPS9_S9_NSD_9__find_if7functorIS9_EEEE10hipError_tPvRmT1_T2_T3_mT4_P12ihipStream_tbEUlT_E0_NS1_11comp_targetILNS1_3genE10ELNS1_11target_archE1201ELNS1_3gpuE5ELNS1_3repE0EEENS1_30default_config_static_selectorELNS0_4arch9wavefront6targetE0EEEvS14_, .Lfunc_end156-_ZN7rocprim17ROCPRIM_400000_NS6detail17trampoline_kernelINS0_14default_configENS1_22reduce_config_selectorIN6thrust23THRUST_200600_302600_NS5tupleIblNS6_9null_typeES8_S8_S8_S8_S8_S8_S8_EEEEZNS1_11reduce_implILb1ES3_NS6_12zip_iteratorINS7_INS6_11hip_rocprim26transform_input_iterator_tIbNSD_35transform_pair_of_input_iterators_tIbNS6_6detail15normal_iteratorINS6_10device_ptrIKjEEEESL_NS6_8equal_toIjEEEENSG_9not_fun_tINSD_8identityEEEEENSD_19counting_iterator_tIlEES8_S8_S8_S8_S8_S8_S8_S8_EEEEPS9_S9_NSD_9__find_if7functorIS9_EEEE10hipError_tPvRmT1_T2_T3_mT4_P12ihipStream_tbEUlT_E0_NS1_11comp_targetILNS1_3genE10ELNS1_11target_archE1201ELNS1_3gpuE5ELNS1_3repE0EEENS1_30default_config_static_selectorELNS0_4arch9wavefront6targetE0EEEvS14_
                                        ; -- End function
	.set _ZN7rocprim17ROCPRIM_400000_NS6detail17trampoline_kernelINS0_14default_configENS1_22reduce_config_selectorIN6thrust23THRUST_200600_302600_NS5tupleIblNS6_9null_typeES8_S8_S8_S8_S8_S8_S8_EEEEZNS1_11reduce_implILb1ES3_NS6_12zip_iteratorINS7_INS6_11hip_rocprim26transform_input_iterator_tIbNSD_35transform_pair_of_input_iterators_tIbNS6_6detail15normal_iteratorINS6_10device_ptrIKjEEEESL_NS6_8equal_toIjEEEENSG_9not_fun_tINSD_8identityEEEEENSD_19counting_iterator_tIlEES8_S8_S8_S8_S8_S8_S8_S8_EEEEPS9_S9_NSD_9__find_if7functorIS9_EEEE10hipError_tPvRmT1_T2_T3_mT4_P12ihipStream_tbEUlT_E0_NS1_11comp_targetILNS1_3genE10ELNS1_11target_archE1201ELNS1_3gpuE5ELNS1_3repE0EEENS1_30default_config_static_selectorELNS0_4arch9wavefront6targetE0EEEvS14_.num_vgpr, 0
	.set _ZN7rocprim17ROCPRIM_400000_NS6detail17trampoline_kernelINS0_14default_configENS1_22reduce_config_selectorIN6thrust23THRUST_200600_302600_NS5tupleIblNS6_9null_typeES8_S8_S8_S8_S8_S8_S8_EEEEZNS1_11reduce_implILb1ES3_NS6_12zip_iteratorINS7_INS6_11hip_rocprim26transform_input_iterator_tIbNSD_35transform_pair_of_input_iterators_tIbNS6_6detail15normal_iteratorINS6_10device_ptrIKjEEEESL_NS6_8equal_toIjEEEENSG_9not_fun_tINSD_8identityEEEEENSD_19counting_iterator_tIlEES8_S8_S8_S8_S8_S8_S8_S8_EEEEPS9_S9_NSD_9__find_if7functorIS9_EEEE10hipError_tPvRmT1_T2_T3_mT4_P12ihipStream_tbEUlT_E0_NS1_11comp_targetILNS1_3genE10ELNS1_11target_archE1201ELNS1_3gpuE5ELNS1_3repE0EEENS1_30default_config_static_selectorELNS0_4arch9wavefront6targetE0EEEvS14_.num_agpr, 0
	.set _ZN7rocprim17ROCPRIM_400000_NS6detail17trampoline_kernelINS0_14default_configENS1_22reduce_config_selectorIN6thrust23THRUST_200600_302600_NS5tupleIblNS6_9null_typeES8_S8_S8_S8_S8_S8_S8_EEEEZNS1_11reduce_implILb1ES3_NS6_12zip_iteratorINS7_INS6_11hip_rocprim26transform_input_iterator_tIbNSD_35transform_pair_of_input_iterators_tIbNS6_6detail15normal_iteratorINS6_10device_ptrIKjEEEESL_NS6_8equal_toIjEEEENSG_9not_fun_tINSD_8identityEEEEENSD_19counting_iterator_tIlEES8_S8_S8_S8_S8_S8_S8_S8_EEEEPS9_S9_NSD_9__find_if7functorIS9_EEEE10hipError_tPvRmT1_T2_T3_mT4_P12ihipStream_tbEUlT_E0_NS1_11comp_targetILNS1_3genE10ELNS1_11target_archE1201ELNS1_3gpuE5ELNS1_3repE0EEENS1_30default_config_static_selectorELNS0_4arch9wavefront6targetE0EEEvS14_.numbered_sgpr, 0
	.set _ZN7rocprim17ROCPRIM_400000_NS6detail17trampoline_kernelINS0_14default_configENS1_22reduce_config_selectorIN6thrust23THRUST_200600_302600_NS5tupleIblNS6_9null_typeES8_S8_S8_S8_S8_S8_S8_EEEEZNS1_11reduce_implILb1ES3_NS6_12zip_iteratorINS7_INS6_11hip_rocprim26transform_input_iterator_tIbNSD_35transform_pair_of_input_iterators_tIbNS6_6detail15normal_iteratorINS6_10device_ptrIKjEEEESL_NS6_8equal_toIjEEEENSG_9not_fun_tINSD_8identityEEEEENSD_19counting_iterator_tIlEES8_S8_S8_S8_S8_S8_S8_S8_EEEEPS9_S9_NSD_9__find_if7functorIS9_EEEE10hipError_tPvRmT1_T2_T3_mT4_P12ihipStream_tbEUlT_E0_NS1_11comp_targetILNS1_3genE10ELNS1_11target_archE1201ELNS1_3gpuE5ELNS1_3repE0EEENS1_30default_config_static_selectorELNS0_4arch9wavefront6targetE0EEEvS14_.num_named_barrier, 0
	.set _ZN7rocprim17ROCPRIM_400000_NS6detail17trampoline_kernelINS0_14default_configENS1_22reduce_config_selectorIN6thrust23THRUST_200600_302600_NS5tupleIblNS6_9null_typeES8_S8_S8_S8_S8_S8_S8_EEEEZNS1_11reduce_implILb1ES3_NS6_12zip_iteratorINS7_INS6_11hip_rocprim26transform_input_iterator_tIbNSD_35transform_pair_of_input_iterators_tIbNS6_6detail15normal_iteratorINS6_10device_ptrIKjEEEESL_NS6_8equal_toIjEEEENSG_9not_fun_tINSD_8identityEEEEENSD_19counting_iterator_tIlEES8_S8_S8_S8_S8_S8_S8_S8_EEEEPS9_S9_NSD_9__find_if7functorIS9_EEEE10hipError_tPvRmT1_T2_T3_mT4_P12ihipStream_tbEUlT_E0_NS1_11comp_targetILNS1_3genE10ELNS1_11target_archE1201ELNS1_3gpuE5ELNS1_3repE0EEENS1_30default_config_static_selectorELNS0_4arch9wavefront6targetE0EEEvS14_.private_seg_size, 0
	.set _ZN7rocprim17ROCPRIM_400000_NS6detail17trampoline_kernelINS0_14default_configENS1_22reduce_config_selectorIN6thrust23THRUST_200600_302600_NS5tupleIblNS6_9null_typeES8_S8_S8_S8_S8_S8_S8_EEEEZNS1_11reduce_implILb1ES3_NS6_12zip_iteratorINS7_INS6_11hip_rocprim26transform_input_iterator_tIbNSD_35transform_pair_of_input_iterators_tIbNS6_6detail15normal_iteratorINS6_10device_ptrIKjEEEESL_NS6_8equal_toIjEEEENSG_9not_fun_tINSD_8identityEEEEENSD_19counting_iterator_tIlEES8_S8_S8_S8_S8_S8_S8_S8_EEEEPS9_S9_NSD_9__find_if7functorIS9_EEEE10hipError_tPvRmT1_T2_T3_mT4_P12ihipStream_tbEUlT_E0_NS1_11comp_targetILNS1_3genE10ELNS1_11target_archE1201ELNS1_3gpuE5ELNS1_3repE0EEENS1_30default_config_static_selectorELNS0_4arch9wavefront6targetE0EEEvS14_.uses_vcc, 0
	.set _ZN7rocprim17ROCPRIM_400000_NS6detail17trampoline_kernelINS0_14default_configENS1_22reduce_config_selectorIN6thrust23THRUST_200600_302600_NS5tupleIblNS6_9null_typeES8_S8_S8_S8_S8_S8_S8_EEEEZNS1_11reduce_implILb1ES3_NS6_12zip_iteratorINS7_INS6_11hip_rocprim26transform_input_iterator_tIbNSD_35transform_pair_of_input_iterators_tIbNS6_6detail15normal_iteratorINS6_10device_ptrIKjEEEESL_NS6_8equal_toIjEEEENSG_9not_fun_tINSD_8identityEEEEENSD_19counting_iterator_tIlEES8_S8_S8_S8_S8_S8_S8_S8_EEEEPS9_S9_NSD_9__find_if7functorIS9_EEEE10hipError_tPvRmT1_T2_T3_mT4_P12ihipStream_tbEUlT_E0_NS1_11comp_targetILNS1_3genE10ELNS1_11target_archE1201ELNS1_3gpuE5ELNS1_3repE0EEENS1_30default_config_static_selectorELNS0_4arch9wavefront6targetE0EEEvS14_.uses_flat_scratch, 0
	.set _ZN7rocprim17ROCPRIM_400000_NS6detail17trampoline_kernelINS0_14default_configENS1_22reduce_config_selectorIN6thrust23THRUST_200600_302600_NS5tupleIblNS6_9null_typeES8_S8_S8_S8_S8_S8_S8_EEEEZNS1_11reduce_implILb1ES3_NS6_12zip_iteratorINS7_INS6_11hip_rocprim26transform_input_iterator_tIbNSD_35transform_pair_of_input_iterators_tIbNS6_6detail15normal_iteratorINS6_10device_ptrIKjEEEESL_NS6_8equal_toIjEEEENSG_9not_fun_tINSD_8identityEEEEENSD_19counting_iterator_tIlEES8_S8_S8_S8_S8_S8_S8_S8_EEEEPS9_S9_NSD_9__find_if7functorIS9_EEEE10hipError_tPvRmT1_T2_T3_mT4_P12ihipStream_tbEUlT_E0_NS1_11comp_targetILNS1_3genE10ELNS1_11target_archE1201ELNS1_3gpuE5ELNS1_3repE0EEENS1_30default_config_static_selectorELNS0_4arch9wavefront6targetE0EEEvS14_.has_dyn_sized_stack, 0
	.set _ZN7rocprim17ROCPRIM_400000_NS6detail17trampoline_kernelINS0_14default_configENS1_22reduce_config_selectorIN6thrust23THRUST_200600_302600_NS5tupleIblNS6_9null_typeES8_S8_S8_S8_S8_S8_S8_EEEEZNS1_11reduce_implILb1ES3_NS6_12zip_iteratorINS7_INS6_11hip_rocprim26transform_input_iterator_tIbNSD_35transform_pair_of_input_iterators_tIbNS6_6detail15normal_iteratorINS6_10device_ptrIKjEEEESL_NS6_8equal_toIjEEEENSG_9not_fun_tINSD_8identityEEEEENSD_19counting_iterator_tIlEES8_S8_S8_S8_S8_S8_S8_S8_EEEEPS9_S9_NSD_9__find_if7functorIS9_EEEE10hipError_tPvRmT1_T2_T3_mT4_P12ihipStream_tbEUlT_E0_NS1_11comp_targetILNS1_3genE10ELNS1_11target_archE1201ELNS1_3gpuE5ELNS1_3repE0EEENS1_30default_config_static_selectorELNS0_4arch9wavefront6targetE0EEEvS14_.has_recursion, 0
	.set _ZN7rocprim17ROCPRIM_400000_NS6detail17trampoline_kernelINS0_14default_configENS1_22reduce_config_selectorIN6thrust23THRUST_200600_302600_NS5tupleIblNS6_9null_typeES8_S8_S8_S8_S8_S8_S8_EEEEZNS1_11reduce_implILb1ES3_NS6_12zip_iteratorINS7_INS6_11hip_rocprim26transform_input_iterator_tIbNSD_35transform_pair_of_input_iterators_tIbNS6_6detail15normal_iteratorINS6_10device_ptrIKjEEEESL_NS6_8equal_toIjEEEENSG_9not_fun_tINSD_8identityEEEEENSD_19counting_iterator_tIlEES8_S8_S8_S8_S8_S8_S8_S8_EEEEPS9_S9_NSD_9__find_if7functorIS9_EEEE10hipError_tPvRmT1_T2_T3_mT4_P12ihipStream_tbEUlT_E0_NS1_11comp_targetILNS1_3genE10ELNS1_11target_archE1201ELNS1_3gpuE5ELNS1_3repE0EEENS1_30default_config_static_selectorELNS0_4arch9wavefront6targetE0EEEvS14_.has_indirect_call, 0
	.section	.AMDGPU.csdata,"",@progbits
; Kernel info:
; codeLenInByte = 0
; TotalNumSgprs: 0
; NumVgprs: 0
; ScratchSize: 0
; MemoryBound: 0
; FloatMode: 240
; IeeeMode: 1
; LDSByteSize: 0 bytes/workgroup (compile time only)
; SGPRBlocks: 0
; VGPRBlocks: 0
; NumSGPRsForWavesPerEU: 1
; NumVGPRsForWavesPerEU: 1
; NamedBarCnt: 0
; Occupancy: 16
; WaveLimiterHint : 0
; COMPUTE_PGM_RSRC2:SCRATCH_EN: 0
; COMPUTE_PGM_RSRC2:USER_SGPR: 2
; COMPUTE_PGM_RSRC2:TRAP_HANDLER: 0
; COMPUTE_PGM_RSRC2:TGID_X_EN: 1
; COMPUTE_PGM_RSRC2:TGID_Y_EN: 0
; COMPUTE_PGM_RSRC2:TGID_Z_EN: 0
; COMPUTE_PGM_RSRC2:TIDIG_COMP_CNT: 0
	.section	.text._ZN7rocprim17ROCPRIM_400000_NS6detail17trampoline_kernelINS0_14default_configENS1_22reduce_config_selectorIN6thrust23THRUST_200600_302600_NS5tupleIblNS6_9null_typeES8_S8_S8_S8_S8_S8_S8_EEEEZNS1_11reduce_implILb1ES3_NS6_12zip_iteratorINS7_INS6_11hip_rocprim26transform_input_iterator_tIbNSD_35transform_pair_of_input_iterators_tIbNS6_6detail15normal_iteratorINS6_10device_ptrIKjEEEESL_NS6_8equal_toIjEEEENSG_9not_fun_tINSD_8identityEEEEENSD_19counting_iterator_tIlEES8_S8_S8_S8_S8_S8_S8_S8_EEEEPS9_S9_NSD_9__find_if7functorIS9_EEEE10hipError_tPvRmT1_T2_T3_mT4_P12ihipStream_tbEUlT_E0_NS1_11comp_targetILNS1_3genE10ELNS1_11target_archE1200ELNS1_3gpuE4ELNS1_3repE0EEENS1_30default_config_static_selectorELNS0_4arch9wavefront6targetE0EEEvS14_,"axG",@progbits,_ZN7rocprim17ROCPRIM_400000_NS6detail17trampoline_kernelINS0_14default_configENS1_22reduce_config_selectorIN6thrust23THRUST_200600_302600_NS5tupleIblNS6_9null_typeES8_S8_S8_S8_S8_S8_S8_EEEEZNS1_11reduce_implILb1ES3_NS6_12zip_iteratorINS7_INS6_11hip_rocprim26transform_input_iterator_tIbNSD_35transform_pair_of_input_iterators_tIbNS6_6detail15normal_iteratorINS6_10device_ptrIKjEEEESL_NS6_8equal_toIjEEEENSG_9not_fun_tINSD_8identityEEEEENSD_19counting_iterator_tIlEES8_S8_S8_S8_S8_S8_S8_S8_EEEEPS9_S9_NSD_9__find_if7functorIS9_EEEE10hipError_tPvRmT1_T2_T3_mT4_P12ihipStream_tbEUlT_E0_NS1_11comp_targetILNS1_3genE10ELNS1_11target_archE1200ELNS1_3gpuE4ELNS1_3repE0EEENS1_30default_config_static_selectorELNS0_4arch9wavefront6targetE0EEEvS14_,comdat
	.protected	_ZN7rocprim17ROCPRIM_400000_NS6detail17trampoline_kernelINS0_14default_configENS1_22reduce_config_selectorIN6thrust23THRUST_200600_302600_NS5tupleIblNS6_9null_typeES8_S8_S8_S8_S8_S8_S8_EEEEZNS1_11reduce_implILb1ES3_NS6_12zip_iteratorINS7_INS6_11hip_rocprim26transform_input_iterator_tIbNSD_35transform_pair_of_input_iterators_tIbNS6_6detail15normal_iteratorINS6_10device_ptrIKjEEEESL_NS6_8equal_toIjEEEENSG_9not_fun_tINSD_8identityEEEEENSD_19counting_iterator_tIlEES8_S8_S8_S8_S8_S8_S8_S8_EEEEPS9_S9_NSD_9__find_if7functorIS9_EEEE10hipError_tPvRmT1_T2_T3_mT4_P12ihipStream_tbEUlT_E0_NS1_11comp_targetILNS1_3genE10ELNS1_11target_archE1200ELNS1_3gpuE4ELNS1_3repE0EEENS1_30default_config_static_selectorELNS0_4arch9wavefront6targetE0EEEvS14_ ; -- Begin function _ZN7rocprim17ROCPRIM_400000_NS6detail17trampoline_kernelINS0_14default_configENS1_22reduce_config_selectorIN6thrust23THRUST_200600_302600_NS5tupleIblNS6_9null_typeES8_S8_S8_S8_S8_S8_S8_EEEEZNS1_11reduce_implILb1ES3_NS6_12zip_iteratorINS7_INS6_11hip_rocprim26transform_input_iterator_tIbNSD_35transform_pair_of_input_iterators_tIbNS6_6detail15normal_iteratorINS6_10device_ptrIKjEEEESL_NS6_8equal_toIjEEEENSG_9not_fun_tINSD_8identityEEEEENSD_19counting_iterator_tIlEES8_S8_S8_S8_S8_S8_S8_S8_EEEEPS9_S9_NSD_9__find_if7functorIS9_EEEE10hipError_tPvRmT1_T2_T3_mT4_P12ihipStream_tbEUlT_E0_NS1_11comp_targetILNS1_3genE10ELNS1_11target_archE1200ELNS1_3gpuE4ELNS1_3repE0EEENS1_30default_config_static_selectorELNS0_4arch9wavefront6targetE0EEEvS14_
	.globl	_ZN7rocprim17ROCPRIM_400000_NS6detail17trampoline_kernelINS0_14default_configENS1_22reduce_config_selectorIN6thrust23THRUST_200600_302600_NS5tupleIblNS6_9null_typeES8_S8_S8_S8_S8_S8_S8_EEEEZNS1_11reduce_implILb1ES3_NS6_12zip_iteratorINS7_INS6_11hip_rocprim26transform_input_iterator_tIbNSD_35transform_pair_of_input_iterators_tIbNS6_6detail15normal_iteratorINS6_10device_ptrIKjEEEESL_NS6_8equal_toIjEEEENSG_9not_fun_tINSD_8identityEEEEENSD_19counting_iterator_tIlEES8_S8_S8_S8_S8_S8_S8_S8_EEEEPS9_S9_NSD_9__find_if7functorIS9_EEEE10hipError_tPvRmT1_T2_T3_mT4_P12ihipStream_tbEUlT_E0_NS1_11comp_targetILNS1_3genE10ELNS1_11target_archE1200ELNS1_3gpuE4ELNS1_3repE0EEENS1_30default_config_static_selectorELNS0_4arch9wavefront6targetE0EEEvS14_
	.p2align	8
	.type	_ZN7rocprim17ROCPRIM_400000_NS6detail17trampoline_kernelINS0_14default_configENS1_22reduce_config_selectorIN6thrust23THRUST_200600_302600_NS5tupleIblNS6_9null_typeES8_S8_S8_S8_S8_S8_S8_EEEEZNS1_11reduce_implILb1ES3_NS6_12zip_iteratorINS7_INS6_11hip_rocprim26transform_input_iterator_tIbNSD_35transform_pair_of_input_iterators_tIbNS6_6detail15normal_iteratorINS6_10device_ptrIKjEEEESL_NS6_8equal_toIjEEEENSG_9not_fun_tINSD_8identityEEEEENSD_19counting_iterator_tIlEES8_S8_S8_S8_S8_S8_S8_S8_EEEEPS9_S9_NSD_9__find_if7functorIS9_EEEE10hipError_tPvRmT1_T2_T3_mT4_P12ihipStream_tbEUlT_E0_NS1_11comp_targetILNS1_3genE10ELNS1_11target_archE1200ELNS1_3gpuE4ELNS1_3repE0EEENS1_30default_config_static_selectorELNS0_4arch9wavefront6targetE0EEEvS14_,@function
_ZN7rocprim17ROCPRIM_400000_NS6detail17trampoline_kernelINS0_14default_configENS1_22reduce_config_selectorIN6thrust23THRUST_200600_302600_NS5tupleIblNS6_9null_typeES8_S8_S8_S8_S8_S8_S8_EEEEZNS1_11reduce_implILb1ES3_NS6_12zip_iteratorINS7_INS6_11hip_rocprim26transform_input_iterator_tIbNSD_35transform_pair_of_input_iterators_tIbNS6_6detail15normal_iteratorINS6_10device_ptrIKjEEEESL_NS6_8equal_toIjEEEENSG_9not_fun_tINSD_8identityEEEEENSD_19counting_iterator_tIlEES8_S8_S8_S8_S8_S8_S8_S8_EEEEPS9_S9_NSD_9__find_if7functorIS9_EEEE10hipError_tPvRmT1_T2_T3_mT4_P12ihipStream_tbEUlT_E0_NS1_11comp_targetILNS1_3genE10ELNS1_11target_archE1200ELNS1_3gpuE4ELNS1_3repE0EEENS1_30default_config_static_selectorELNS0_4arch9wavefront6targetE0EEEvS14_: ; @_ZN7rocprim17ROCPRIM_400000_NS6detail17trampoline_kernelINS0_14default_configENS1_22reduce_config_selectorIN6thrust23THRUST_200600_302600_NS5tupleIblNS6_9null_typeES8_S8_S8_S8_S8_S8_S8_EEEEZNS1_11reduce_implILb1ES3_NS6_12zip_iteratorINS7_INS6_11hip_rocprim26transform_input_iterator_tIbNSD_35transform_pair_of_input_iterators_tIbNS6_6detail15normal_iteratorINS6_10device_ptrIKjEEEESL_NS6_8equal_toIjEEEENSG_9not_fun_tINSD_8identityEEEEENSD_19counting_iterator_tIlEES8_S8_S8_S8_S8_S8_S8_S8_EEEEPS9_S9_NSD_9__find_if7functorIS9_EEEE10hipError_tPvRmT1_T2_T3_mT4_P12ihipStream_tbEUlT_E0_NS1_11comp_targetILNS1_3genE10ELNS1_11target_archE1200ELNS1_3gpuE4ELNS1_3repE0EEENS1_30default_config_static_selectorELNS0_4arch9wavefront6targetE0EEEvS14_
; %bb.0:
	.section	.rodata,"a",@progbits
	.p2align	6, 0x0
	.amdhsa_kernel _ZN7rocprim17ROCPRIM_400000_NS6detail17trampoline_kernelINS0_14default_configENS1_22reduce_config_selectorIN6thrust23THRUST_200600_302600_NS5tupleIblNS6_9null_typeES8_S8_S8_S8_S8_S8_S8_EEEEZNS1_11reduce_implILb1ES3_NS6_12zip_iteratorINS7_INS6_11hip_rocprim26transform_input_iterator_tIbNSD_35transform_pair_of_input_iterators_tIbNS6_6detail15normal_iteratorINS6_10device_ptrIKjEEEESL_NS6_8equal_toIjEEEENSG_9not_fun_tINSD_8identityEEEEENSD_19counting_iterator_tIlEES8_S8_S8_S8_S8_S8_S8_S8_EEEEPS9_S9_NSD_9__find_if7functorIS9_EEEE10hipError_tPvRmT1_T2_T3_mT4_P12ihipStream_tbEUlT_E0_NS1_11comp_targetILNS1_3genE10ELNS1_11target_archE1200ELNS1_3gpuE4ELNS1_3repE0EEENS1_30default_config_static_selectorELNS0_4arch9wavefront6targetE0EEEvS14_
		.amdhsa_group_segment_fixed_size 0
		.amdhsa_private_segment_fixed_size 0
		.amdhsa_kernarg_size 104
		.amdhsa_user_sgpr_count 2
		.amdhsa_user_sgpr_dispatch_ptr 0
		.amdhsa_user_sgpr_queue_ptr 0
		.amdhsa_user_sgpr_kernarg_segment_ptr 1
		.amdhsa_user_sgpr_dispatch_id 0
		.amdhsa_user_sgpr_kernarg_preload_length 0
		.amdhsa_user_sgpr_kernarg_preload_offset 0
		.amdhsa_user_sgpr_private_segment_size 0
		.amdhsa_wavefront_size32 1
		.amdhsa_uses_dynamic_stack 0
		.amdhsa_enable_private_segment 0
		.amdhsa_system_sgpr_workgroup_id_x 1
		.amdhsa_system_sgpr_workgroup_id_y 0
		.amdhsa_system_sgpr_workgroup_id_z 0
		.amdhsa_system_sgpr_workgroup_info 0
		.amdhsa_system_vgpr_workitem_id 0
		.amdhsa_next_free_vgpr 1
		.amdhsa_next_free_sgpr 1
		.amdhsa_named_barrier_count 0
		.amdhsa_reserve_vcc 0
		.amdhsa_float_round_mode_32 0
		.amdhsa_float_round_mode_16_64 0
		.amdhsa_float_denorm_mode_32 3
		.amdhsa_float_denorm_mode_16_64 3
		.amdhsa_fp16_overflow 0
		.amdhsa_memory_ordered 1
		.amdhsa_forward_progress 1
		.amdhsa_inst_pref_size 0
		.amdhsa_round_robin_scheduling 0
		.amdhsa_exception_fp_ieee_invalid_op 0
		.amdhsa_exception_fp_denorm_src 0
		.amdhsa_exception_fp_ieee_div_zero 0
		.amdhsa_exception_fp_ieee_overflow 0
		.amdhsa_exception_fp_ieee_underflow 0
		.amdhsa_exception_fp_ieee_inexact 0
		.amdhsa_exception_int_div_zero 0
	.end_amdhsa_kernel
	.section	.text._ZN7rocprim17ROCPRIM_400000_NS6detail17trampoline_kernelINS0_14default_configENS1_22reduce_config_selectorIN6thrust23THRUST_200600_302600_NS5tupleIblNS6_9null_typeES8_S8_S8_S8_S8_S8_S8_EEEEZNS1_11reduce_implILb1ES3_NS6_12zip_iteratorINS7_INS6_11hip_rocprim26transform_input_iterator_tIbNSD_35transform_pair_of_input_iterators_tIbNS6_6detail15normal_iteratorINS6_10device_ptrIKjEEEESL_NS6_8equal_toIjEEEENSG_9not_fun_tINSD_8identityEEEEENSD_19counting_iterator_tIlEES8_S8_S8_S8_S8_S8_S8_S8_EEEEPS9_S9_NSD_9__find_if7functorIS9_EEEE10hipError_tPvRmT1_T2_T3_mT4_P12ihipStream_tbEUlT_E0_NS1_11comp_targetILNS1_3genE10ELNS1_11target_archE1200ELNS1_3gpuE4ELNS1_3repE0EEENS1_30default_config_static_selectorELNS0_4arch9wavefront6targetE0EEEvS14_,"axG",@progbits,_ZN7rocprim17ROCPRIM_400000_NS6detail17trampoline_kernelINS0_14default_configENS1_22reduce_config_selectorIN6thrust23THRUST_200600_302600_NS5tupleIblNS6_9null_typeES8_S8_S8_S8_S8_S8_S8_EEEEZNS1_11reduce_implILb1ES3_NS6_12zip_iteratorINS7_INS6_11hip_rocprim26transform_input_iterator_tIbNSD_35transform_pair_of_input_iterators_tIbNS6_6detail15normal_iteratorINS6_10device_ptrIKjEEEESL_NS6_8equal_toIjEEEENSG_9not_fun_tINSD_8identityEEEEENSD_19counting_iterator_tIlEES8_S8_S8_S8_S8_S8_S8_S8_EEEEPS9_S9_NSD_9__find_if7functorIS9_EEEE10hipError_tPvRmT1_T2_T3_mT4_P12ihipStream_tbEUlT_E0_NS1_11comp_targetILNS1_3genE10ELNS1_11target_archE1200ELNS1_3gpuE4ELNS1_3repE0EEENS1_30default_config_static_selectorELNS0_4arch9wavefront6targetE0EEEvS14_,comdat
.Lfunc_end157:
	.size	_ZN7rocprim17ROCPRIM_400000_NS6detail17trampoline_kernelINS0_14default_configENS1_22reduce_config_selectorIN6thrust23THRUST_200600_302600_NS5tupleIblNS6_9null_typeES8_S8_S8_S8_S8_S8_S8_EEEEZNS1_11reduce_implILb1ES3_NS6_12zip_iteratorINS7_INS6_11hip_rocprim26transform_input_iterator_tIbNSD_35transform_pair_of_input_iterators_tIbNS6_6detail15normal_iteratorINS6_10device_ptrIKjEEEESL_NS6_8equal_toIjEEEENSG_9not_fun_tINSD_8identityEEEEENSD_19counting_iterator_tIlEES8_S8_S8_S8_S8_S8_S8_S8_EEEEPS9_S9_NSD_9__find_if7functorIS9_EEEE10hipError_tPvRmT1_T2_T3_mT4_P12ihipStream_tbEUlT_E0_NS1_11comp_targetILNS1_3genE10ELNS1_11target_archE1200ELNS1_3gpuE4ELNS1_3repE0EEENS1_30default_config_static_selectorELNS0_4arch9wavefront6targetE0EEEvS14_, .Lfunc_end157-_ZN7rocprim17ROCPRIM_400000_NS6detail17trampoline_kernelINS0_14default_configENS1_22reduce_config_selectorIN6thrust23THRUST_200600_302600_NS5tupleIblNS6_9null_typeES8_S8_S8_S8_S8_S8_S8_EEEEZNS1_11reduce_implILb1ES3_NS6_12zip_iteratorINS7_INS6_11hip_rocprim26transform_input_iterator_tIbNSD_35transform_pair_of_input_iterators_tIbNS6_6detail15normal_iteratorINS6_10device_ptrIKjEEEESL_NS6_8equal_toIjEEEENSG_9not_fun_tINSD_8identityEEEEENSD_19counting_iterator_tIlEES8_S8_S8_S8_S8_S8_S8_S8_EEEEPS9_S9_NSD_9__find_if7functorIS9_EEEE10hipError_tPvRmT1_T2_T3_mT4_P12ihipStream_tbEUlT_E0_NS1_11comp_targetILNS1_3genE10ELNS1_11target_archE1200ELNS1_3gpuE4ELNS1_3repE0EEENS1_30default_config_static_selectorELNS0_4arch9wavefront6targetE0EEEvS14_
                                        ; -- End function
	.set _ZN7rocprim17ROCPRIM_400000_NS6detail17trampoline_kernelINS0_14default_configENS1_22reduce_config_selectorIN6thrust23THRUST_200600_302600_NS5tupleIblNS6_9null_typeES8_S8_S8_S8_S8_S8_S8_EEEEZNS1_11reduce_implILb1ES3_NS6_12zip_iteratorINS7_INS6_11hip_rocprim26transform_input_iterator_tIbNSD_35transform_pair_of_input_iterators_tIbNS6_6detail15normal_iteratorINS6_10device_ptrIKjEEEESL_NS6_8equal_toIjEEEENSG_9not_fun_tINSD_8identityEEEEENSD_19counting_iterator_tIlEES8_S8_S8_S8_S8_S8_S8_S8_EEEEPS9_S9_NSD_9__find_if7functorIS9_EEEE10hipError_tPvRmT1_T2_T3_mT4_P12ihipStream_tbEUlT_E0_NS1_11comp_targetILNS1_3genE10ELNS1_11target_archE1200ELNS1_3gpuE4ELNS1_3repE0EEENS1_30default_config_static_selectorELNS0_4arch9wavefront6targetE0EEEvS14_.num_vgpr, 0
	.set _ZN7rocprim17ROCPRIM_400000_NS6detail17trampoline_kernelINS0_14default_configENS1_22reduce_config_selectorIN6thrust23THRUST_200600_302600_NS5tupleIblNS6_9null_typeES8_S8_S8_S8_S8_S8_S8_EEEEZNS1_11reduce_implILb1ES3_NS6_12zip_iteratorINS7_INS6_11hip_rocprim26transform_input_iterator_tIbNSD_35transform_pair_of_input_iterators_tIbNS6_6detail15normal_iteratorINS6_10device_ptrIKjEEEESL_NS6_8equal_toIjEEEENSG_9not_fun_tINSD_8identityEEEEENSD_19counting_iterator_tIlEES8_S8_S8_S8_S8_S8_S8_S8_EEEEPS9_S9_NSD_9__find_if7functorIS9_EEEE10hipError_tPvRmT1_T2_T3_mT4_P12ihipStream_tbEUlT_E0_NS1_11comp_targetILNS1_3genE10ELNS1_11target_archE1200ELNS1_3gpuE4ELNS1_3repE0EEENS1_30default_config_static_selectorELNS0_4arch9wavefront6targetE0EEEvS14_.num_agpr, 0
	.set _ZN7rocprim17ROCPRIM_400000_NS6detail17trampoline_kernelINS0_14default_configENS1_22reduce_config_selectorIN6thrust23THRUST_200600_302600_NS5tupleIblNS6_9null_typeES8_S8_S8_S8_S8_S8_S8_EEEEZNS1_11reduce_implILb1ES3_NS6_12zip_iteratorINS7_INS6_11hip_rocprim26transform_input_iterator_tIbNSD_35transform_pair_of_input_iterators_tIbNS6_6detail15normal_iteratorINS6_10device_ptrIKjEEEESL_NS6_8equal_toIjEEEENSG_9not_fun_tINSD_8identityEEEEENSD_19counting_iterator_tIlEES8_S8_S8_S8_S8_S8_S8_S8_EEEEPS9_S9_NSD_9__find_if7functorIS9_EEEE10hipError_tPvRmT1_T2_T3_mT4_P12ihipStream_tbEUlT_E0_NS1_11comp_targetILNS1_3genE10ELNS1_11target_archE1200ELNS1_3gpuE4ELNS1_3repE0EEENS1_30default_config_static_selectorELNS0_4arch9wavefront6targetE0EEEvS14_.numbered_sgpr, 0
	.set _ZN7rocprim17ROCPRIM_400000_NS6detail17trampoline_kernelINS0_14default_configENS1_22reduce_config_selectorIN6thrust23THRUST_200600_302600_NS5tupleIblNS6_9null_typeES8_S8_S8_S8_S8_S8_S8_EEEEZNS1_11reduce_implILb1ES3_NS6_12zip_iteratorINS7_INS6_11hip_rocprim26transform_input_iterator_tIbNSD_35transform_pair_of_input_iterators_tIbNS6_6detail15normal_iteratorINS6_10device_ptrIKjEEEESL_NS6_8equal_toIjEEEENSG_9not_fun_tINSD_8identityEEEEENSD_19counting_iterator_tIlEES8_S8_S8_S8_S8_S8_S8_S8_EEEEPS9_S9_NSD_9__find_if7functorIS9_EEEE10hipError_tPvRmT1_T2_T3_mT4_P12ihipStream_tbEUlT_E0_NS1_11comp_targetILNS1_3genE10ELNS1_11target_archE1200ELNS1_3gpuE4ELNS1_3repE0EEENS1_30default_config_static_selectorELNS0_4arch9wavefront6targetE0EEEvS14_.num_named_barrier, 0
	.set _ZN7rocprim17ROCPRIM_400000_NS6detail17trampoline_kernelINS0_14default_configENS1_22reduce_config_selectorIN6thrust23THRUST_200600_302600_NS5tupleIblNS6_9null_typeES8_S8_S8_S8_S8_S8_S8_EEEEZNS1_11reduce_implILb1ES3_NS6_12zip_iteratorINS7_INS6_11hip_rocprim26transform_input_iterator_tIbNSD_35transform_pair_of_input_iterators_tIbNS6_6detail15normal_iteratorINS6_10device_ptrIKjEEEESL_NS6_8equal_toIjEEEENSG_9not_fun_tINSD_8identityEEEEENSD_19counting_iterator_tIlEES8_S8_S8_S8_S8_S8_S8_S8_EEEEPS9_S9_NSD_9__find_if7functorIS9_EEEE10hipError_tPvRmT1_T2_T3_mT4_P12ihipStream_tbEUlT_E0_NS1_11comp_targetILNS1_3genE10ELNS1_11target_archE1200ELNS1_3gpuE4ELNS1_3repE0EEENS1_30default_config_static_selectorELNS0_4arch9wavefront6targetE0EEEvS14_.private_seg_size, 0
	.set _ZN7rocprim17ROCPRIM_400000_NS6detail17trampoline_kernelINS0_14default_configENS1_22reduce_config_selectorIN6thrust23THRUST_200600_302600_NS5tupleIblNS6_9null_typeES8_S8_S8_S8_S8_S8_S8_EEEEZNS1_11reduce_implILb1ES3_NS6_12zip_iteratorINS7_INS6_11hip_rocprim26transform_input_iterator_tIbNSD_35transform_pair_of_input_iterators_tIbNS6_6detail15normal_iteratorINS6_10device_ptrIKjEEEESL_NS6_8equal_toIjEEEENSG_9not_fun_tINSD_8identityEEEEENSD_19counting_iterator_tIlEES8_S8_S8_S8_S8_S8_S8_S8_EEEEPS9_S9_NSD_9__find_if7functorIS9_EEEE10hipError_tPvRmT1_T2_T3_mT4_P12ihipStream_tbEUlT_E0_NS1_11comp_targetILNS1_3genE10ELNS1_11target_archE1200ELNS1_3gpuE4ELNS1_3repE0EEENS1_30default_config_static_selectorELNS0_4arch9wavefront6targetE0EEEvS14_.uses_vcc, 0
	.set _ZN7rocprim17ROCPRIM_400000_NS6detail17trampoline_kernelINS0_14default_configENS1_22reduce_config_selectorIN6thrust23THRUST_200600_302600_NS5tupleIblNS6_9null_typeES8_S8_S8_S8_S8_S8_S8_EEEEZNS1_11reduce_implILb1ES3_NS6_12zip_iteratorINS7_INS6_11hip_rocprim26transform_input_iterator_tIbNSD_35transform_pair_of_input_iterators_tIbNS6_6detail15normal_iteratorINS6_10device_ptrIKjEEEESL_NS6_8equal_toIjEEEENSG_9not_fun_tINSD_8identityEEEEENSD_19counting_iterator_tIlEES8_S8_S8_S8_S8_S8_S8_S8_EEEEPS9_S9_NSD_9__find_if7functorIS9_EEEE10hipError_tPvRmT1_T2_T3_mT4_P12ihipStream_tbEUlT_E0_NS1_11comp_targetILNS1_3genE10ELNS1_11target_archE1200ELNS1_3gpuE4ELNS1_3repE0EEENS1_30default_config_static_selectorELNS0_4arch9wavefront6targetE0EEEvS14_.uses_flat_scratch, 0
	.set _ZN7rocprim17ROCPRIM_400000_NS6detail17trampoline_kernelINS0_14default_configENS1_22reduce_config_selectorIN6thrust23THRUST_200600_302600_NS5tupleIblNS6_9null_typeES8_S8_S8_S8_S8_S8_S8_EEEEZNS1_11reduce_implILb1ES3_NS6_12zip_iteratorINS7_INS6_11hip_rocprim26transform_input_iterator_tIbNSD_35transform_pair_of_input_iterators_tIbNS6_6detail15normal_iteratorINS6_10device_ptrIKjEEEESL_NS6_8equal_toIjEEEENSG_9not_fun_tINSD_8identityEEEEENSD_19counting_iterator_tIlEES8_S8_S8_S8_S8_S8_S8_S8_EEEEPS9_S9_NSD_9__find_if7functorIS9_EEEE10hipError_tPvRmT1_T2_T3_mT4_P12ihipStream_tbEUlT_E0_NS1_11comp_targetILNS1_3genE10ELNS1_11target_archE1200ELNS1_3gpuE4ELNS1_3repE0EEENS1_30default_config_static_selectorELNS0_4arch9wavefront6targetE0EEEvS14_.has_dyn_sized_stack, 0
	.set _ZN7rocprim17ROCPRIM_400000_NS6detail17trampoline_kernelINS0_14default_configENS1_22reduce_config_selectorIN6thrust23THRUST_200600_302600_NS5tupleIblNS6_9null_typeES8_S8_S8_S8_S8_S8_S8_EEEEZNS1_11reduce_implILb1ES3_NS6_12zip_iteratorINS7_INS6_11hip_rocprim26transform_input_iterator_tIbNSD_35transform_pair_of_input_iterators_tIbNS6_6detail15normal_iteratorINS6_10device_ptrIKjEEEESL_NS6_8equal_toIjEEEENSG_9not_fun_tINSD_8identityEEEEENSD_19counting_iterator_tIlEES8_S8_S8_S8_S8_S8_S8_S8_EEEEPS9_S9_NSD_9__find_if7functorIS9_EEEE10hipError_tPvRmT1_T2_T3_mT4_P12ihipStream_tbEUlT_E0_NS1_11comp_targetILNS1_3genE10ELNS1_11target_archE1200ELNS1_3gpuE4ELNS1_3repE0EEENS1_30default_config_static_selectorELNS0_4arch9wavefront6targetE0EEEvS14_.has_recursion, 0
	.set _ZN7rocprim17ROCPRIM_400000_NS6detail17trampoline_kernelINS0_14default_configENS1_22reduce_config_selectorIN6thrust23THRUST_200600_302600_NS5tupleIblNS6_9null_typeES8_S8_S8_S8_S8_S8_S8_EEEEZNS1_11reduce_implILb1ES3_NS6_12zip_iteratorINS7_INS6_11hip_rocprim26transform_input_iterator_tIbNSD_35transform_pair_of_input_iterators_tIbNS6_6detail15normal_iteratorINS6_10device_ptrIKjEEEESL_NS6_8equal_toIjEEEENSG_9not_fun_tINSD_8identityEEEEENSD_19counting_iterator_tIlEES8_S8_S8_S8_S8_S8_S8_S8_EEEEPS9_S9_NSD_9__find_if7functorIS9_EEEE10hipError_tPvRmT1_T2_T3_mT4_P12ihipStream_tbEUlT_E0_NS1_11comp_targetILNS1_3genE10ELNS1_11target_archE1200ELNS1_3gpuE4ELNS1_3repE0EEENS1_30default_config_static_selectorELNS0_4arch9wavefront6targetE0EEEvS14_.has_indirect_call, 0
	.section	.AMDGPU.csdata,"",@progbits
; Kernel info:
; codeLenInByte = 0
; TotalNumSgprs: 0
; NumVgprs: 0
; ScratchSize: 0
; MemoryBound: 0
; FloatMode: 240
; IeeeMode: 1
; LDSByteSize: 0 bytes/workgroup (compile time only)
; SGPRBlocks: 0
; VGPRBlocks: 0
; NumSGPRsForWavesPerEU: 1
; NumVGPRsForWavesPerEU: 1
; NamedBarCnt: 0
; Occupancy: 16
; WaveLimiterHint : 0
; COMPUTE_PGM_RSRC2:SCRATCH_EN: 0
; COMPUTE_PGM_RSRC2:USER_SGPR: 2
; COMPUTE_PGM_RSRC2:TRAP_HANDLER: 0
; COMPUTE_PGM_RSRC2:TGID_X_EN: 1
; COMPUTE_PGM_RSRC2:TGID_Y_EN: 0
; COMPUTE_PGM_RSRC2:TGID_Z_EN: 0
; COMPUTE_PGM_RSRC2:TIDIG_COMP_CNT: 0
	.section	.text._ZN7rocprim17ROCPRIM_400000_NS6detail17trampoline_kernelINS0_14default_configENS1_22reduce_config_selectorIN6thrust23THRUST_200600_302600_NS5tupleIblNS6_9null_typeES8_S8_S8_S8_S8_S8_S8_EEEEZNS1_11reduce_implILb1ES3_NS6_12zip_iteratorINS7_INS6_11hip_rocprim26transform_input_iterator_tIbNSD_35transform_pair_of_input_iterators_tIbNS6_6detail15normal_iteratorINS6_10device_ptrIKjEEEESL_NS6_8equal_toIjEEEENSG_9not_fun_tINSD_8identityEEEEENSD_19counting_iterator_tIlEES8_S8_S8_S8_S8_S8_S8_S8_EEEEPS9_S9_NSD_9__find_if7functorIS9_EEEE10hipError_tPvRmT1_T2_T3_mT4_P12ihipStream_tbEUlT_E0_NS1_11comp_targetILNS1_3genE9ELNS1_11target_archE1100ELNS1_3gpuE3ELNS1_3repE0EEENS1_30default_config_static_selectorELNS0_4arch9wavefront6targetE0EEEvS14_,"axG",@progbits,_ZN7rocprim17ROCPRIM_400000_NS6detail17trampoline_kernelINS0_14default_configENS1_22reduce_config_selectorIN6thrust23THRUST_200600_302600_NS5tupleIblNS6_9null_typeES8_S8_S8_S8_S8_S8_S8_EEEEZNS1_11reduce_implILb1ES3_NS6_12zip_iteratorINS7_INS6_11hip_rocprim26transform_input_iterator_tIbNSD_35transform_pair_of_input_iterators_tIbNS6_6detail15normal_iteratorINS6_10device_ptrIKjEEEESL_NS6_8equal_toIjEEEENSG_9not_fun_tINSD_8identityEEEEENSD_19counting_iterator_tIlEES8_S8_S8_S8_S8_S8_S8_S8_EEEEPS9_S9_NSD_9__find_if7functorIS9_EEEE10hipError_tPvRmT1_T2_T3_mT4_P12ihipStream_tbEUlT_E0_NS1_11comp_targetILNS1_3genE9ELNS1_11target_archE1100ELNS1_3gpuE3ELNS1_3repE0EEENS1_30default_config_static_selectorELNS0_4arch9wavefront6targetE0EEEvS14_,comdat
	.protected	_ZN7rocprim17ROCPRIM_400000_NS6detail17trampoline_kernelINS0_14default_configENS1_22reduce_config_selectorIN6thrust23THRUST_200600_302600_NS5tupleIblNS6_9null_typeES8_S8_S8_S8_S8_S8_S8_EEEEZNS1_11reduce_implILb1ES3_NS6_12zip_iteratorINS7_INS6_11hip_rocprim26transform_input_iterator_tIbNSD_35transform_pair_of_input_iterators_tIbNS6_6detail15normal_iteratorINS6_10device_ptrIKjEEEESL_NS6_8equal_toIjEEEENSG_9not_fun_tINSD_8identityEEEEENSD_19counting_iterator_tIlEES8_S8_S8_S8_S8_S8_S8_S8_EEEEPS9_S9_NSD_9__find_if7functorIS9_EEEE10hipError_tPvRmT1_T2_T3_mT4_P12ihipStream_tbEUlT_E0_NS1_11comp_targetILNS1_3genE9ELNS1_11target_archE1100ELNS1_3gpuE3ELNS1_3repE0EEENS1_30default_config_static_selectorELNS0_4arch9wavefront6targetE0EEEvS14_ ; -- Begin function _ZN7rocprim17ROCPRIM_400000_NS6detail17trampoline_kernelINS0_14default_configENS1_22reduce_config_selectorIN6thrust23THRUST_200600_302600_NS5tupleIblNS6_9null_typeES8_S8_S8_S8_S8_S8_S8_EEEEZNS1_11reduce_implILb1ES3_NS6_12zip_iteratorINS7_INS6_11hip_rocprim26transform_input_iterator_tIbNSD_35transform_pair_of_input_iterators_tIbNS6_6detail15normal_iteratorINS6_10device_ptrIKjEEEESL_NS6_8equal_toIjEEEENSG_9not_fun_tINSD_8identityEEEEENSD_19counting_iterator_tIlEES8_S8_S8_S8_S8_S8_S8_S8_EEEEPS9_S9_NSD_9__find_if7functorIS9_EEEE10hipError_tPvRmT1_T2_T3_mT4_P12ihipStream_tbEUlT_E0_NS1_11comp_targetILNS1_3genE9ELNS1_11target_archE1100ELNS1_3gpuE3ELNS1_3repE0EEENS1_30default_config_static_selectorELNS0_4arch9wavefront6targetE0EEEvS14_
	.globl	_ZN7rocprim17ROCPRIM_400000_NS6detail17trampoline_kernelINS0_14default_configENS1_22reduce_config_selectorIN6thrust23THRUST_200600_302600_NS5tupleIblNS6_9null_typeES8_S8_S8_S8_S8_S8_S8_EEEEZNS1_11reduce_implILb1ES3_NS6_12zip_iteratorINS7_INS6_11hip_rocprim26transform_input_iterator_tIbNSD_35transform_pair_of_input_iterators_tIbNS6_6detail15normal_iteratorINS6_10device_ptrIKjEEEESL_NS6_8equal_toIjEEEENSG_9not_fun_tINSD_8identityEEEEENSD_19counting_iterator_tIlEES8_S8_S8_S8_S8_S8_S8_S8_EEEEPS9_S9_NSD_9__find_if7functorIS9_EEEE10hipError_tPvRmT1_T2_T3_mT4_P12ihipStream_tbEUlT_E0_NS1_11comp_targetILNS1_3genE9ELNS1_11target_archE1100ELNS1_3gpuE3ELNS1_3repE0EEENS1_30default_config_static_selectorELNS0_4arch9wavefront6targetE0EEEvS14_
	.p2align	8
	.type	_ZN7rocprim17ROCPRIM_400000_NS6detail17trampoline_kernelINS0_14default_configENS1_22reduce_config_selectorIN6thrust23THRUST_200600_302600_NS5tupleIblNS6_9null_typeES8_S8_S8_S8_S8_S8_S8_EEEEZNS1_11reduce_implILb1ES3_NS6_12zip_iteratorINS7_INS6_11hip_rocprim26transform_input_iterator_tIbNSD_35transform_pair_of_input_iterators_tIbNS6_6detail15normal_iteratorINS6_10device_ptrIKjEEEESL_NS6_8equal_toIjEEEENSG_9not_fun_tINSD_8identityEEEEENSD_19counting_iterator_tIlEES8_S8_S8_S8_S8_S8_S8_S8_EEEEPS9_S9_NSD_9__find_if7functorIS9_EEEE10hipError_tPvRmT1_T2_T3_mT4_P12ihipStream_tbEUlT_E0_NS1_11comp_targetILNS1_3genE9ELNS1_11target_archE1100ELNS1_3gpuE3ELNS1_3repE0EEENS1_30default_config_static_selectorELNS0_4arch9wavefront6targetE0EEEvS14_,@function
_ZN7rocprim17ROCPRIM_400000_NS6detail17trampoline_kernelINS0_14default_configENS1_22reduce_config_selectorIN6thrust23THRUST_200600_302600_NS5tupleIblNS6_9null_typeES8_S8_S8_S8_S8_S8_S8_EEEEZNS1_11reduce_implILb1ES3_NS6_12zip_iteratorINS7_INS6_11hip_rocprim26transform_input_iterator_tIbNSD_35transform_pair_of_input_iterators_tIbNS6_6detail15normal_iteratorINS6_10device_ptrIKjEEEESL_NS6_8equal_toIjEEEENSG_9not_fun_tINSD_8identityEEEEENSD_19counting_iterator_tIlEES8_S8_S8_S8_S8_S8_S8_S8_EEEEPS9_S9_NSD_9__find_if7functorIS9_EEEE10hipError_tPvRmT1_T2_T3_mT4_P12ihipStream_tbEUlT_E0_NS1_11comp_targetILNS1_3genE9ELNS1_11target_archE1100ELNS1_3gpuE3ELNS1_3repE0EEENS1_30default_config_static_selectorELNS0_4arch9wavefront6targetE0EEEvS14_: ; @_ZN7rocprim17ROCPRIM_400000_NS6detail17trampoline_kernelINS0_14default_configENS1_22reduce_config_selectorIN6thrust23THRUST_200600_302600_NS5tupleIblNS6_9null_typeES8_S8_S8_S8_S8_S8_S8_EEEEZNS1_11reduce_implILb1ES3_NS6_12zip_iteratorINS7_INS6_11hip_rocprim26transform_input_iterator_tIbNSD_35transform_pair_of_input_iterators_tIbNS6_6detail15normal_iteratorINS6_10device_ptrIKjEEEESL_NS6_8equal_toIjEEEENSG_9not_fun_tINSD_8identityEEEEENSD_19counting_iterator_tIlEES8_S8_S8_S8_S8_S8_S8_S8_EEEEPS9_S9_NSD_9__find_if7functorIS9_EEEE10hipError_tPvRmT1_T2_T3_mT4_P12ihipStream_tbEUlT_E0_NS1_11comp_targetILNS1_3genE9ELNS1_11target_archE1100ELNS1_3gpuE3ELNS1_3repE0EEENS1_30default_config_static_selectorELNS0_4arch9wavefront6targetE0EEEvS14_
; %bb.0:
	.section	.rodata,"a",@progbits
	.p2align	6, 0x0
	.amdhsa_kernel _ZN7rocprim17ROCPRIM_400000_NS6detail17trampoline_kernelINS0_14default_configENS1_22reduce_config_selectorIN6thrust23THRUST_200600_302600_NS5tupleIblNS6_9null_typeES8_S8_S8_S8_S8_S8_S8_EEEEZNS1_11reduce_implILb1ES3_NS6_12zip_iteratorINS7_INS6_11hip_rocprim26transform_input_iterator_tIbNSD_35transform_pair_of_input_iterators_tIbNS6_6detail15normal_iteratorINS6_10device_ptrIKjEEEESL_NS6_8equal_toIjEEEENSG_9not_fun_tINSD_8identityEEEEENSD_19counting_iterator_tIlEES8_S8_S8_S8_S8_S8_S8_S8_EEEEPS9_S9_NSD_9__find_if7functorIS9_EEEE10hipError_tPvRmT1_T2_T3_mT4_P12ihipStream_tbEUlT_E0_NS1_11comp_targetILNS1_3genE9ELNS1_11target_archE1100ELNS1_3gpuE3ELNS1_3repE0EEENS1_30default_config_static_selectorELNS0_4arch9wavefront6targetE0EEEvS14_
		.amdhsa_group_segment_fixed_size 0
		.amdhsa_private_segment_fixed_size 0
		.amdhsa_kernarg_size 104
		.amdhsa_user_sgpr_count 2
		.amdhsa_user_sgpr_dispatch_ptr 0
		.amdhsa_user_sgpr_queue_ptr 0
		.amdhsa_user_sgpr_kernarg_segment_ptr 1
		.amdhsa_user_sgpr_dispatch_id 0
		.amdhsa_user_sgpr_kernarg_preload_length 0
		.amdhsa_user_sgpr_kernarg_preload_offset 0
		.amdhsa_user_sgpr_private_segment_size 0
		.amdhsa_wavefront_size32 1
		.amdhsa_uses_dynamic_stack 0
		.amdhsa_enable_private_segment 0
		.amdhsa_system_sgpr_workgroup_id_x 1
		.amdhsa_system_sgpr_workgroup_id_y 0
		.amdhsa_system_sgpr_workgroup_id_z 0
		.amdhsa_system_sgpr_workgroup_info 0
		.amdhsa_system_vgpr_workitem_id 0
		.amdhsa_next_free_vgpr 1
		.amdhsa_next_free_sgpr 1
		.amdhsa_named_barrier_count 0
		.amdhsa_reserve_vcc 0
		.amdhsa_float_round_mode_32 0
		.amdhsa_float_round_mode_16_64 0
		.amdhsa_float_denorm_mode_32 3
		.amdhsa_float_denorm_mode_16_64 3
		.amdhsa_fp16_overflow 0
		.amdhsa_memory_ordered 1
		.amdhsa_forward_progress 1
		.amdhsa_inst_pref_size 0
		.amdhsa_round_robin_scheduling 0
		.amdhsa_exception_fp_ieee_invalid_op 0
		.amdhsa_exception_fp_denorm_src 0
		.amdhsa_exception_fp_ieee_div_zero 0
		.amdhsa_exception_fp_ieee_overflow 0
		.amdhsa_exception_fp_ieee_underflow 0
		.amdhsa_exception_fp_ieee_inexact 0
		.amdhsa_exception_int_div_zero 0
	.end_amdhsa_kernel
	.section	.text._ZN7rocprim17ROCPRIM_400000_NS6detail17trampoline_kernelINS0_14default_configENS1_22reduce_config_selectorIN6thrust23THRUST_200600_302600_NS5tupleIblNS6_9null_typeES8_S8_S8_S8_S8_S8_S8_EEEEZNS1_11reduce_implILb1ES3_NS6_12zip_iteratorINS7_INS6_11hip_rocprim26transform_input_iterator_tIbNSD_35transform_pair_of_input_iterators_tIbNS6_6detail15normal_iteratorINS6_10device_ptrIKjEEEESL_NS6_8equal_toIjEEEENSG_9not_fun_tINSD_8identityEEEEENSD_19counting_iterator_tIlEES8_S8_S8_S8_S8_S8_S8_S8_EEEEPS9_S9_NSD_9__find_if7functorIS9_EEEE10hipError_tPvRmT1_T2_T3_mT4_P12ihipStream_tbEUlT_E0_NS1_11comp_targetILNS1_3genE9ELNS1_11target_archE1100ELNS1_3gpuE3ELNS1_3repE0EEENS1_30default_config_static_selectorELNS0_4arch9wavefront6targetE0EEEvS14_,"axG",@progbits,_ZN7rocprim17ROCPRIM_400000_NS6detail17trampoline_kernelINS0_14default_configENS1_22reduce_config_selectorIN6thrust23THRUST_200600_302600_NS5tupleIblNS6_9null_typeES8_S8_S8_S8_S8_S8_S8_EEEEZNS1_11reduce_implILb1ES3_NS6_12zip_iteratorINS7_INS6_11hip_rocprim26transform_input_iterator_tIbNSD_35transform_pair_of_input_iterators_tIbNS6_6detail15normal_iteratorINS6_10device_ptrIKjEEEESL_NS6_8equal_toIjEEEENSG_9not_fun_tINSD_8identityEEEEENSD_19counting_iterator_tIlEES8_S8_S8_S8_S8_S8_S8_S8_EEEEPS9_S9_NSD_9__find_if7functorIS9_EEEE10hipError_tPvRmT1_T2_T3_mT4_P12ihipStream_tbEUlT_E0_NS1_11comp_targetILNS1_3genE9ELNS1_11target_archE1100ELNS1_3gpuE3ELNS1_3repE0EEENS1_30default_config_static_selectorELNS0_4arch9wavefront6targetE0EEEvS14_,comdat
.Lfunc_end158:
	.size	_ZN7rocprim17ROCPRIM_400000_NS6detail17trampoline_kernelINS0_14default_configENS1_22reduce_config_selectorIN6thrust23THRUST_200600_302600_NS5tupleIblNS6_9null_typeES8_S8_S8_S8_S8_S8_S8_EEEEZNS1_11reduce_implILb1ES3_NS6_12zip_iteratorINS7_INS6_11hip_rocprim26transform_input_iterator_tIbNSD_35transform_pair_of_input_iterators_tIbNS6_6detail15normal_iteratorINS6_10device_ptrIKjEEEESL_NS6_8equal_toIjEEEENSG_9not_fun_tINSD_8identityEEEEENSD_19counting_iterator_tIlEES8_S8_S8_S8_S8_S8_S8_S8_EEEEPS9_S9_NSD_9__find_if7functorIS9_EEEE10hipError_tPvRmT1_T2_T3_mT4_P12ihipStream_tbEUlT_E0_NS1_11comp_targetILNS1_3genE9ELNS1_11target_archE1100ELNS1_3gpuE3ELNS1_3repE0EEENS1_30default_config_static_selectorELNS0_4arch9wavefront6targetE0EEEvS14_, .Lfunc_end158-_ZN7rocprim17ROCPRIM_400000_NS6detail17trampoline_kernelINS0_14default_configENS1_22reduce_config_selectorIN6thrust23THRUST_200600_302600_NS5tupleIblNS6_9null_typeES8_S8_S8_S8_S8_S8_S8_EEEEZNS1_11reduce_implILb1ES3_NS6_12zip_iteratorINS7_INS6_11hip_rocprim26transform_input_iterator_tIbNSD_35transform_pair_of_input_iterators_tIbNS6_6detail15normal_iteratorINS6_10device_ptrIKjEEEESL_NS6_8equal_toIjEEEENSG_9not_fun_tINSD_8identityEEEEENSD_19counting_iterator_tIlEES8_S8_S8_S8_S8_S8_S8_S8_EEEEPS9_S9_NSD_9__find_if7functorIS9_EEEE10hipError_tPvRmT1_T2_T3_mT4_P12ihipStream_tbEUlT_E0_NS1_11comp_targetILNS1_3genE9ELNS1_11target_archE1100ELNS1_3gpuE3ELNS1_3repE0EEENS1_30default_config_static_selectorELNS0_4arch9wavefront6targetE0EEEvS14_
                                        ; -- End function
	.set _ZN7rocprim17ROCPRIM_400000_NS6detail17trampoline_kernelINS0_14default_configENS1_22reduce_config_selectorIN6thrust23THRUST_200600_302600_NS5tupleIblNS6_9null_typeES8_S8_S8_S8_S8_S8_S8_EEEEZNS1_11reduce_implILb1ES3_NS6_12zip_iteratorINS7_INS6_11hip_rocprim26transform_input_iterator_tIbNSD_35transform_pair_of_input_iterators_tIbNS6_6detail15normal_iteratorINS6_10device_ptrIKjEEEESL_NS6_8equal_toIjEEEENSG_9not_fun_tINSD_8identityEEEEENSD_19counting_iterator_tIlEES8_S8_S8_S8_S8_S8_S8_S8_EEEEPS9_S9_NSD_9__find_if7functorIS9_EEEE10hipError_tPvRmT1_T2_T3_mT4_P12ihipStream_tbEUlT_E0_NS1_11comp_targetILNS1_3genE9ELNS1_11target_archE1100ELNS1_3gpuE3ELNS1_3repE0EEENS1_30default_config_static_selectorELNS0_4arch9wavefront6targetE0EEEvS14_.num_vgpr, 0
	.set _ZN7rocprim17ROCPRIM_400000_NS6detail17trampoline_kernelINS0_14default_configENS1_22reduce_config_selectorIN6thrust23THRUST_200600_302600_NS5tupleIblNS6_9null_typeES8_S8_S8_S8_S8_S8_S8_EEEEZNS1_11reduce_implILb1ES3_NS6_12zip_iteratorINS7_INS6_11hip_rocprim26transform_input_iterator_tIbNSD_35transform_pair_of_input_iterators_tIbNS6_6detail15normal_iteratorINS6_10device_ptrIKjEEEESL_NS6_8equal_toIjEEEENSG_9not_fun_tINSD_8identityEEEEENSD_19counting_iterator_tIlEES8_S8_S8_S8_S8_S8_S8_S8_EEEEPS9_S9_NSD_9__find_if7functorIS9_EEEE10hipError_tPvRmT1_T2_T3_mT4_P12ihipStream_tbEUlT_E0_NS1_11comp_targetILNS1_3genE9ELNS1_11target_archE1100ELNS1_3gpuE3ELNS1_3repE0EEENS1_30default_config_static_selectorELNS0_4arch9wavefront6targetE0EEEvS14_.num_agpr, 0
	.set _ZN7rocprim17ROCPRIM_400000_NS6detail17trampoline_kernelINS0_14default_configENS1_22reduce_config_selectorIN6thrust23THRUST_200600_302600_NS5tupleIblNS6_9null_typeES8_S8_S8_S8_S8_S8_S8_EEEEZNS1_11reduce_implILb1ES3_NS6_12zip_iteratorINS7_INS6_11hip_rocprim26transform_input_iterator_tIbNSD_35transform_pair_of_input_iterators_tIbNS6_6detail15normal_iteratorINS6_10device_ptrIKjEEEESL_NS6_8equal_toIjEEEENSG_9not_fun_tINSD_8identityEEEEENSD_19counting_iterator_tIlEES8_S8_S8_S8_S8_S8_S8_S8_EEEEPS9_S9_NSD_9__find_if7functorIS9_EEEE10hipError_tPvRmT1_T2_T3_mT4_P12ihipStream_tbEUlT_E0_NS1_11comp_targetILNS1_3genE9ELNS1_11target_archE1100ELNS1_3gpuE3ELNS1_3repE0EEENS1_30default_config_static_selectorELNS0_4arch9wavefront6targetE0EEEvS14_.numbered_sgpr, 0
	.set _ZN7rocprim17ROCPRIM_400000_NS6detail17trampoline_kernelINS0_14default_configENS1_22reduce_config_selectorIN6thrust23THRUST_200600_302600_NS5tupleIblNS6_9null_typeES8_S8_S8_S8_S8_S8_S8_EEEEZNS1_11reduce_implILb1ES3_NS6_12zip_iteratorINS7_INS6_11hip_rocprim26transform_input_iterator_tIbNSD_35transform_pair_of_input_iterators_tIbNS6_6detail15normal_iteratorINS6_10device_ptrIKjEEEESL_NS6_8equal_toIjEEEENSG_9not_fun_tINSD_8identityEEEEENSD_19counting_iterator_tIlEES8_S8_S8_S8_S8_S8_S8_S8_EEEEPS9_S9_NSD_9__find_if7functorIS9_EEEE10hipError_tPvRmT1_T2_T3_mT4_P12ihipStream_tbEUlT_E0_NS1_11comp_targetILNS1_3genE9ELNS1_11target_archE1100ELNS1_3gpuE3ELNS1_3repE0EEENS1_30default_config_static_selectorELNS0_4arch9wavefront6targetE0EEEvS14_.num_named_barrier, 0
	.set _ZN7rocprim17ROCPRIM_400000_NS6detail17trampoline_kernelINS0_14default_configENS1_22reduce_config_selectorIN6thrust23THRUST_200600_302600_NS5tupleIblNS6_9null_typeES8_S8_S8_S8_S8_S8_S8_EEEEZNS1_11reduce_implILb1ES3_NS6_12zip_iteratorINS7_INS6_11hip_rocprim26transform_input_iterator_tIbNSD_35transform_pair_of_input_iterators_tIbNS6_6detail15normal_iteratorINS6_10device_ptrIKjEEEESL_NS6_8equal_toIjEEEENSG_9not_fun_tINSD_8identityEEEEENSD_19counting_iterator_tIlEES8_S8_S8_S8_S8_S8_S8_S8_EEEEPS9_S9_NSD_9__find_if7functorIS9_EEEE10hipError_tPvRmT1_T2_T3_mT4_P12ihipStream_tbEUlT_E0_NS1_11comp_targetILNS1_3genE9ELNS1_11target_archE1100ELNS1_3gpuE3ELNS1_3repE0EEENS1_30default_config_static_selectorELNS0_4arch9wavefront6targetE0EEEvS14_.private_seg_size, 0
	.set _ZN7rocprim17ROCPRIM_400000_NS6detail17trampoline_kernelINS0_14default_configENS1_22reduce_config_selectorIN6thrust23THRUST_200600_302600_NS5tupleIblNS6_9null_typeES8_S8_S8_S8_S8_S8_S8_EEEEZNS1_11reduce_implILb1ES3_NS6_12zip_iteratorINS7_INS6_11hip_rocprim26transform_input_iterator_tIbNSD_35transform_pair_of_input_iterators_tIbNS6_6detail15normal_iteratorINS6_10device_ptrIKjEEEESL_NS6_8equal_toIjEEEENSG_9not_fun_tINSD_8identityEEEEENSD_19counting_iterator_tIlEES8_S8_S8_S8_S8_S8_S8_S8_EEEEPS9_S9_NSD_9__find_if7functorIS9_EEEE10hipError_tPvRmT1_T2_T3_mT4_P12ihipStream_tbEUlT_E0_NS1_11comp_targetILNS1_3genE9ELNS1_11target_archE1100ELNS1_3gpuE3ELNS1_3repE0EEENS1_30default_config_static_selectorELNS0_4arch9wavefront6targetE0EEEvS14_.uses_vcc, 0
	.set _ZN7rocprim17ROCPRIM_400000_NS6detail17trampoline_kernelINS0_14default_configENS1_22reduce_config_selectorIN6thrust23THRUST_200600_302600_NS5tupleIblNS6_9null_typeES8_S8_S8_S8_S8_S8_S8_EEEEZNS1_11reduce_implILb1ES3_NS6_12zip_iteratorINS7_INS6_11hip_rocprim26transform_input_iterator_tIbNSD_35transform_pair_of_input_iterators_tIbNS6_6detail15normal_iteratorINS6_10device_ptrIKjEEEESL_NS6_8equal_toIjEEEENSG_9not_fun_tINSD_8identityEEEEENSD_19counting_iterator_tIlEES8_S8_S8_S8_S8_S8_S8_S8_EEEEPS9_S9_NSD_9__find_if7functorIS9_EEEE10hipError_tPvRmT1_T2_T3_mT4_P12ihipStream_tbEUlT_E0_NS1_11comp_targetILNS1_3genE9ELNS1_11target_archE1100ELNS1_3gpuE3ELNS1_3repE0EEENS1_30default_config_static_selectorELNS0_4arch9wavefront6targetE0EEEvS14_.uses_flat_scratch, 0
	.set _ZN7rocprim17ROCPRIM_400000_NS6detail17trampoline_kernelINS0_14default_configENS1_22reduce_config_selectorIN6thrust23THRUST_200600_302600_NS5tupleIblNS6_9null_typeES8_S8_S8_S8_S8_S8_S8_EEEEZNS1_11reduce_implILb1ES3_NS6_12zip_iteratorINS7_INS6_11hip_rocprim26transform_input_iterator_tIbNSD_35transform_pair_of_input_iterators_tIbNS6_6detail15normal_iteratorINS6_10device_ptrIKjEEEESL_NS6_8equal_toIjEEEENSG_9not_fun_tINSD_8identityEEEEENSD_19counting_iterator_tIlEES8_S8_S8_S8_S8_S8_S8_S8_EEEEPS9_S9_NSD_9__find_if7functorIS9_EEEE10hipError_tPvRmT1_T2_T3_mT4_P12ihipStream_tbEUlT_E0_NS1_11comp_targetILNS1_3genE9ELNS1_11target_archE1100ELNS1_3gpuE3ELNS1_3repE0EEENS1_30default_config_static_selectorELNS0_4arch9wavefront6targetE0EEEvS14_.has_dyn_sized_stack, 0
	.set _ZN7rocprim17ROCPRIM_400000_NS6detail17trampoline_kernelINS0_14default_configENS1_22reduce_config_selectorIN6thrust23THRUST_200600_302600_NS5tupleIblNS6_9null_typeES8_S8_S8_S8_S8_S8_S8_EEEEZNS1_11reduce_implILb1ES3_NS6_12zip_iteratorINS7_INS6_11hip_rocprim26transform_input_iterator_tIbNSD_35transform_pair_of_input_iterators_tIbNS6_6detail15normal_iteratorINS6_10device_ptrIKjEEEESL_NS6_8equal_toIjEEEENSG_9not_fun_tINSD_8identityEEEEENSD_19counting_iterator_tIlEES8_S8_S8_S8_S8_S8_S8_S8_EEEEPS9_S9_NSD_9__find_if7functorIS9_EEEE10hipError_tPvRmT1_T2_T3_mT4_P12ihipStream_tbEUlT_E0_NS1_11comp_targetILNS1_3genE9ELNS1_11target_archE1100ELNS1_3gpuE3ELNS1_3repE0EEENS1_30default_config_static_selectorELNS0_4arch9wavefront6targetE0EEEvS14_.has_recursion, 0
	.set _ZN7rocprim17ROCPRIM_400000_NS6detail17trampoline_kernelINS0_14default_configENS1_22reduce_config_selectorIN6thrust23THRUST_200600_302600_NS5tupleIblNS6_9null_typeES8_S8_S8_S8_S8_S8_S8_EEEEZNS1_11reduce_implILb1ES3_NS6_12zip_iteratorINS7_INS6_11hip_rocprim26transform_input_iterator_tIbNSD_35transform_pair_of_input_iterators_tIbNS6_6detail15normal_iteratorINS6_10device_ptrIKjEEEESL_NS6_8equal_toIjEEEENSG_9not_fun_tINSD_8identityEEEEENSD_19counting_iterator_tIlEES8_S8_S8_S8_S8_S8_S8_S8_EEEEPS9_S9_NSD_9__find_if7functorIS9_EEEE10hipError_tPvRmT1_T2_T3_mT4_P12ihipStream_tbEUlT_E0_NS1_11comp_targetILNS1_3genE9ELNS1_11target_archE1100ELNS1_3gpuE3ELNS1_3repE0EEENS1_30default_config_static_selectorELNS0_4arch9wavefront6targetE0EEEvS14_.has_indirect_call, 0
	.section	.AMDGPU.csdata,"",@progbits
; Kernel info:
; codeLenInByte = 0
; TotalNumSgprs: 0
; NumVgprs: 0
; ScratchSize: 0
; MemoryBound: 0
; FloatMode: 240
; IeeeMode: 1
; LDSByteSize: 0 bytes/workgroup (compile time only)
; SGPRBlocks: 0
; VGPRBlocks: 0
; NumSGPRsForWavesPerEU: 1
; NumVGPRsForWavesPerEU: 1
; NamedBarCnt: 0
; Occupancy: 16
; WaveLimiterHint : 0
; COMPUTE_PGM_RSRC2:SCRATCH_EN: 0
; COMPUTE_PGM_RSRC2:USER_SGPR: 2
; COMPUTE_PGM_RSRC2:TRAP_HANDLER: 0
; COMPUTE_PGM_RSRC2:TGID_X_EN: 1
; COMPUTE_PGM_RSRC2:TGID_Y_EN: 0
; COMPUTE_PGM_RSRC2:TGID_Z_EN: 0
; COMPUTE_PGM_RSRC2:TIDIG_COMP_CNT: 0
	.section	.text._ZN7rocprim17ROCPRIM_400000_NS6detail17trampoline_kernelINS0_14default_configENS1_22reduce_config_selectorIN6thrust23THRUST_200600_302600_NS5tupleIblNS6_9null_typeES8_S8_S8_S8_S8_S8_S8_EEEEZNS1_11reduce_implILb1ES3_NS6_12zip_iteratorINS7_INS6_11hip_rocprim26transform_input_iterator_tIbNSD_35transform_pair_of_input_iterators_tIbNS6_6detail15normal_iteratorINS6_10device_ptrIKjEEEESL_NS6_8equal_toIjEEEENSG_9not_fun_tINSD_8identityEEEEENSD_19counting_iterator_tIlEES8_S8_S8_S8_S8_S8_S8_S8_EEEEPS9_S9_NSD_9__find_if7functorIS9_EEEE10hipError_tPvRmT1_T2_T3_mT4_P12ihipStream_tbEUlT_E0_NS1_11comp_targetILNS1_3genE8ELNS1_11target_archE1030ELNS1_3gpuE2ELNS1_3repE0EEENS1_30default_config_static_selectorELNS0_4arch9wavefront6targetE0EEEvS14_,"axG",@progbits,_ZN7rocprim17ROCPRIM_400000_NS6detail17trampoline_kernelINS0_14default_configENS1_22reduce_config_selectorIN6thrust23THRUST_200600_302600_NS5tupleIblNS6_9null_typeES8_S8_S8_S8_S8_S8_S8_EEEEZNS1_11reduce_implILb1ES3_NS6_12zip_iteratorINS7_INS6_11hip_rocprim26transform_input_iterator_tIbNSD_35transform_pair_of_input_iterators_tIbNS6_6detail15normal_iteratorINS6_10device_ptrIKjEEEESL_NS6_8equal_toIjEEEENSG_9not_fun_tINSD_8identityEEEEENSD_19counting_iterator_tIlEES8_S8_S8_S8_S8_S8_S8_S8_EEEEPS9_S9_NSD_9__find_if7functorIS9_EEEE10hipError_tPvRmT1_T2_T3_mT4_P12ihipStream_tbEUlT_E0_NS1_11comp_targetILNS1_3genE8ELNS1_11target_archE1030ELNS1_3gpuE2ELNS1_3repE0EEENS1_30default_config_static_selectorELNS0_4arch9wavefront6targetE0EEEvS14_,comdat
	.protected	_ZN7rocprim17ROCPRIM_400000_NS6detail17trampoline_kernelINS0_14default_configENS1_22reduce_config_selectorIN6thrust23THRUST_200600_302600_NS5tupleIblNS6_9null_typeES8_S8_S8_S8_S8_S8_S8_EEEEZNS1_11reduce_implILb1ES3_NS6_12zip_iteratorINS7_INS6_11hip_rocprim26transform_input_iterator_tIbNSD_35transform_pair_of_input_iterators_tIbNS6_6detail15normal_iteratorINS6_10device_ptrIKjEEEESL_NS6_8equal_toIjEEEENSG_9not_fun_tINSD_8identityEEEEENSD_19counting_iterator_tIlEES8_S8_S8_S8_S8_S8_S8_S8_EEEEPS9_S9_NSD_9__find_if7functorIS9_EEEE10hipError_tPvRmT1_T2_T3_mT4_P12ihipStream_tbEUlT_E0_NS1_11comp_targetILNS1_3genE8ELNS1_11target_archE1030ELNS1_3gpuE2ELNS1_3repE0EEENS1_30default_config_static_selectorELNS0_4arch9wavefront6targetE0EEEvS14_ ; -- Begin function _ZN7rocprim17ROCPRIM_400000_NS6detail17trampoline_kernelINS0_14default_configENS1_22reduce_config_selectorIN6thrust23THRUST_200600_302600_NS5tupleIblNS6_9null_typeES8_S8_S8_S8_S8_S8_S8_EEEEZNS1_11reduce_implILb1ES3_NS6_12zip_iteratorINS7_INS6_11hip_rocprim26transform_input_iterator_tIbNSD_35transform_pair_of_input_iterators_tIbNS6_6detail15normal_iteratorINS6_10device_ptrIKjEEEESL_NS6_8equal_toIjEEEENSG_9not_fun_tINSD_8identityEEEEENSD_19counting_iterator_tIlEES8_S8_S8_S8_S8_S8_S8_S8_EEEEPS9_S9_NSD_9__find_if7functorIS9_EEEE10hipError_tPvRmT1_T2_T3_mT4_P12ihipStream_tbEUlT_E0_NS1_11comp_targetILNS1_3genE8ELNS1_11target_archE1030ELNS1_3gpuE2ELNS1_3repE0EEENS1_30default_config_static_selectorELNS0_4arch9wavefront6targetE0EEEvS14_
	.globl	_ZN7rocprim17ROCPRIM_400000_NS6detail17trampoline_kernelINS0_14default_configENS1_22reduce_config_selectorIN6thrust23THRUST_200600_302600_NS5tupleIblNS6_9null_typeES8_S8_S8_S8_S8_S8_S8_EEEEZNS1_11reduce_implILb1ES3_NS6_12zip_iteratorINS7_INS6_11hip_rocprim26transform_input_iterator_tIbNSD_35transform_pair_of_input_iterators_tIbNS6_6detail15normal_iteratorINS6_10device_ptrIKjEEEESL_NS6_8equal_toIjEEEENSG_9not_fun_tINSD_8identityEEEEENSD_19counting_iterator_tIlEES8_S8_S8_S8_S8_S8_S8_S8_EEEEPS9_S9_NSD_9__find_if7functorIS9_EEEE10hipError_tPvRmT1_T2_T3_mT4_P12ihipStream_tbEUlT_E0_NS1_11comp_targetILNS1_3genE8ELNS1_11target_archE1030ELNS1_3gpuE2ELNS1_3repE0EEENS1_30default_config_static_selectorELNS0_4arch9wavefront6targetE0EEEvS14_
	.p2align	8
	.type	_ZN7rocprim17ROCPRIM_400000_NS6detail17trampoline_kernelINS0_14default_configENS1_22reduce_config_selectorIN6thrust23THRUST_200600_302600_NS5tupleIblNS6_9null_typeES8_S8_S8_S8_S8_S8_S8_EEEEZNS1_11reduce_implILb1ES3_NS6_12zip_iteratorINS7_INS6_11hip_rocprim26transform_input_iterator_tIbNSD_35transform_pair_of_input_iterators_tIbNS6_6detail15normal_iteratorINS6_10device_ptrIKjEEEESL_NS6_8equal_toIjEEEENSG_9not_fun_tINSD_8identityEEEEENSD_19counting_iterator_tIlEES8_S8_S8_S8_S8_S8_S8_S8_EEEEPS9_S9_NSD_9__find_if7functorIS9_EEEE10hipError_tPvRmT1_T2_T3_mT4_P12ihipStream_tbEUlT_E0_NS1_11comp_targetILNS1_3genE8ELNS1_11target_archE1030ELNS1_3gpuE2ELNS1_3repE0EEENS1_30default_config_static_selectorELNS0_4arch9wavefront6targetE0EEEvS14_,@function
_ZN7rocprim17ROCPRIM_400000_NS6detail17trampoline_kernelINS0_14default_configENS1_22reduce_config_selectorIN6thrust23THRUST_200600_302600_NS5tupleIblNS6_9null_typeES8_S8_S8_S8_S8_S8_S8_EEEEZNS1_11reduce_implILb1ES3_NS6_12zip_iteratorINS7_INS6_11hip_rocprim26transform_input_iterator_tIbNSD_35transform_pair_of_input_iterators_tIbNS6_6detail15normal_iteratorINS6_10device_ptrIKjEEEESL_NS6_8equal_toIjEEEENSG_9not_fun_tINSD_8identityEEEEENSD_19counting_iterator_tIlEES8_S8_S8_S8_S8_S8_S8_S8_EEEEPS9_S9_NSD_9__find_if7functorIS9_EEEE10hipError_tPvRmT1_T2_T3_mT4_P12ihipStream_tbEUlT_E0_NS1_11comp_targetILNS1_3genE8ELNS1_11target_archE1030ELNS1_3gpuE2ELNS1_3repE0EEENS1_30default_config_static_selectorELNS0_4arch9wavefront6targetE0EEEvS14_: ; @_ZN7rocprim17ROCPRIM_400000_NS6detail17trampoline_kernelINS0_14default_configENS1_22reduce_config_selectorIN6thrust23THRUST_200600_302600_NS5tupleIblNS6_9null_typeES8_S8_S8_S8_S8_S8_S8_EEEEZNS1_11reduce_implILb1ES3_NS6_12zip_iteratorINS7_INS6_11hip_rocprim26transform_input_iterator_tIbNSD_35transform_pair_of_input_iterators_tIbNS6_6detail15normal_iteratorINS6_10device_ptrIKjEEEESL_NS6_8equal_toIjEEEENSG_9not_fun_tINSD_8identityEEEEENSD_19counting_iterator_tIlEES8_S8_S8_S8_S8_S8_S8_S8_EEEEPS9_S9_NSD_9__find_if7functorIS9_EEEE10hipError_tPvRmT1_T2_T3_mT4_P12ihipStream_tbEUlT_E0_NS1_11comp_targetILNS1_3genE8ELNS1_11target_archE1030ELNS1_3gpuE2ELNS1_3repE0EEENS1_30default_config_static_selectorELNS0_4arch9wavefront6targetE0EEEvS14_
; %bb.0:
	.section	.rodata,"a",@progbits
	.p2align	6, 0x0
	.amdhsa_kernel _ZN7rocprim17ROCPRIM_400000_NS6detail17trampoline_kernelINS0_14default_configENS1_22reduce_config_selectorIN6thrust23THRUST_200600_302600_NS5tupleIblNS6_9null_typeES8_S8_S8_S8_S8_S8_S8_EEEEZNS1_11reduce_implILb1ES3_NS6_12zip_iteratorINS7_INS6_11hip_rocprim26transform_input_iterator_tIbNSD_35transform_pair_of_input_iterators_tIbNS6_6detail15normal_iteratorINS6_10device_ptrIKjEEEESL_NS6_8equal_toIjEEEENSG_9not_fun_tINSD_8identityEEEEENSD_19counting_iterator_tIlEES8_S8_S8_S8_S8_S8_S8_S8_EEEEPS9_S9_NSD_9__find_if7functorIS9_EEEE10hipError_tPvRmT1_T2_T3_mT4_P12ihipStream_tbEUlT_E0_NS1_11comp_targetILNS1_3genE8ELNS1_11target_archE1030ELNS1_3gpuE2ELNS1_3repE0EEENS1_30default_config_static_selectorELNS0_4arch9wavefront6targetE0EEEvS14_
		.amdhsa_group_segment_fixed_size 0
		.amdhsa_private_segment_fixed_size 0
		.amdhsa_kernarg_size 104
		.amdhsa_user_sgpr_count 2
		.amdhsa_user_sgpr_dispatch_ptr 0
		.amdhsa_user_sgpr_queue_ptr 0
		.amdhsa_user_sgpr_kernarg_segment_ptr 1
		.amdhsa_user_sgpr_dispatch_id 0
		.amdhsa_user_sgpr_kernarg_preload_length 0
		.amdhsa_user_sgpr_kernarg_preload_offset 0
		.amdhsa_user_sgpr_private_segment_size 0
		.amdhsa_wavefront_size32 1
		.amdhsa_uses_dynamic_stack 0
		.amdhsa_enable_private_segment 0
		.amdhsa_system_sgpr_workgroup_id_x 1
		.amdhsa_system_sgpr_workgroup_id_y 0
		.amdhsa_system_sgpr_workgroup_id_z 0
		.amdhsa_system_sgpr_workgroup_info 0
		.amdhsa_system_vgpr_workitem_id 0
		.amdhsa_next_free_vgpr 1
		.amdhsa_next_free_sgpr 1
		.amdhsa_named_barrier_count 0
		.amdhsa_reserve_vcc 0
		.amdhsa_float_round_mode_32 0
		.amdhsa_float_round_mode_16_64 0
		.amdhsa_float_denorm_mode_32 3
		.amdhsa_float_denorm_mode_16_64 3
		.amdhsa_fp16_overflow 0
		.amdhsa_memory_ordered 1
		.amdhsa_forward_progress 1
		.amdhsa_inst_pref_size 0
		.amdhsa_round_robin_scheduling 0
		.amdhsa_exception_fp_ieee_invalid_op 0
		.amdhsa_exception_fp_denorm_src 0
		.amdhsa_exception_fp_ieee_div_zero 0
		.amdhsa_exception_fp_ieee_overflow 0
		.amdhsa_exception_fp_ieee_underflow 0
		.amdhsa_exception_fp_ieee_inexact 0
		.amdhsa_exception_int_div_zero 0
	.end_amdhsa_kernel
	.section	.text._ZN7rocprim17ROCPRIM_400000_NS6detail17trampoline_kernelINS0_14default_configENS1_22reduce_config_selectorIN6thrust23THRUST_200600_302600_NS5tupleIblNS6_9null_typeES8_S8_S8_S8_S8_S8_S8_EEEEZNS1_11reduce_implILb1ES3_NS6_12zip_iteratorINS7_INS6_11hip_rocprim26transform_input_iterator_tIbNSD_35transform_pair_of_input_iterators_tIbNS6_6detail15normal_iteratorINS6_10device_ptrIKjEEEESL_NS6_8equal_toIjEEEENSG_9not_fun_tINSD_8identityEEEEENSD_19counting_iterator_tIlEES8_S8_S8_S8_S8_S8_S8_S8_EEEEPS9_S9_NSD_9__find_if7functorIS9_EEEE10hipError_tPvRmT1_T2_T3_mT4_P12ihipStream_tbEUlT_E0_NS1_11comp_targetILNS1_3genE8ELNS1_11target_archE1030ELNS1_3gpuE2ELNS1_3repE0EEENS1_30default_config_static_selectorELNS0_4arch9wavefront6targetE0EEEvS14_,"axG",@progbits,_ZN7rocprim17ROCPRIM_400000_NS6detail17trampoline_kernelINS0_14default_configENS1_22reduce_config_selectorIN6thrust23THRUST_200600_302600_NS5tupleIblNS6_9null_typeES8_S8_S8_S8_S8_S8_S8_EEEEZNS1_11reduce_implILb1ES3_NS6_12zip_iteratorINS7_INS6_11hip_rocprim26transform_input_iterator_tIbNSD_35transform_pair_of_input_iterators_tIbNS6_6detail15normal_iteratorINS6_10device_ptrIKjEEEESL_NS6_8equal_toIjEEEENSG_9not_fun_tINSD_8identityEEEEENSD_19counting_iterator_tIlEES8_S8_S8_S8_S8_S8_S8_S8_EEEEPS9_S9_NSD_9__find_if7functorIS9_EEEE10hipError_tPvRmT1_T2_T3_mT4_P12ihipStream_tbEUlT_E0_NS1_11comp_targetILNS1_3genE8ELNS1_11target_archE1030ELNS1_3gpuE2ELNS1_3repE0EEENS1_30default_config_static_selectorELNS0_4arch9wavefront6targetE0EEEvS14_,comdat
.Lfunc_end159:
	.size	_ZN7rocprim17ROCPRIM_400000_NS6detail17trampoline_kernelINS0_14default_configENS1_22reduce_config_selectorIN6thrust23THRUST_200600_302600_NS5tupleIblNS6_9null_typeES8_S8_S8_S8_S8_S8_S8_EEEEZNS1_11reduce_implILb1ES3_NS6_12zip_iteratorINS7_INS6_11hip_rocprim26transform_input_iterator_tIbNSD_35transform_pair_of_input_iterators_tIbNS6_6detail15normal_iteratorINS6_10device_ptrIKjEEEESL_NS6_8equal_toIjEEEENSG_9not_fun_tINSD_8identityEEEEENSD_19counting_iterator_tIlEES8_S8_S8_S8_S8_S8_S8_S8_EEEEPS9_S9_NSD_9__find_if7functorIS9_EEEE10hipError_tPvRmT1_T2_T3_mT4_P12ihipStream_tbEUlT_E0_NS1_11comp_targetILNS1_3genE8ELNS1_11target_archE1030ELNS1_3gpuE2ELNS1_3repE0EEENS1_30default_config_static_selectorELNS0_4arch9wavefront6targetE0EEEvS14_, .Lfunc_end159-_ZN7rocprim17ROCPRIM_400000_NS6detail17trampoline_kernelINS0_14default_configENS1_22reduce_config_selectorIN6thrust23THRUST_200600_302600_NS5tupleIblNS6_9null_typeES8_S8_S8_S8_S8_S8_S8_EEEEZNS1_11reduce_implILb1ES3_NS6_12zip_iteratorINS7_INS6_11hip_rocprim26transform_input_iterator_tIbNSD_35transform_pair_of_input_iterators_tIbNS6_6detail15normal_iteratorINS6_10device_ptrIKjEEEESL_NS6_8equal_toIjEEEENSG_9not_fun_tINSD_8identityEEEEENSD_19counting_iterator_tIlEES8_S8_S8_S8_S8_S8_S8_S8_EEEEPS9_S9_NSD_9__find_if7functorIS9_EEEE10hipError_tPvRmT1_T2_T3_mT4_P12ihipStream_tbEUlT_E0_NS1_11comp_targetILNS1_3genE8ELNS1_11target_archE1030ELNS1_3gpuE2ELNS1_3repE0EEENS1_30default_config_static_selectorELNS0_4arch9wavefront6targetE0EEEvS14_
                                        ; -- End function
	.set _ZN7rocprim17ROCPRIM_400000_NS6detail17trampoline_kernelINS0_14default_configENS1_22reduce_config_selectorIN6thrust23THRUST_200600_302600_NS5tupleIblNS6_9null_typeES8_S8_S8_S8_S8_S8_S8_EEEEZNS1_11reduce_implILb1ES3_NS6_12zip_iteratorINS7_INS6_11hip_rocprim26transform_input_iterator_tIbNSD_35transform_pair_of_input_iterators_tIbNS6_6detail15normal_iteratorINS6_10device_ptrIKjEEEESL_NS6_8equal_toIjEEEENSG_9not_fun_tINSD_8identityEEEEENSD_19counting_iterator_tIlEES8_S8_S8_S8_S8_S8_S8_S8_EEEEPS9_S9_NSD_9__find_if7functorIS9_EEEE10hipError_tPvRmT1_T2_T3_mT4_P12ihipStream_tbEUlT_E0_NS1_11comp_targetILNS1_3genE8ELNS1_11target_archE1030ELNS1_3gpuE2ELNS1_3repE0EEENS1_30default_config_static_selectorELNS0_4arch9wavefront6targetE0EEEvS14_.num_vgpr, 0
	.set _ZN7rocprim17ROCPRIM_400000_NS6detail17trampoline_kernelINS0_14default_configENS1_22reduce_config_selectorIN6thrust23THRUST_200600_302600_NS5tupleIblNS6_9null_typeES8_S8_S8_S8_S8_S8_S8_EEEEZNS1_11reduce_implILb1ES3_NS6_12zip_iteratorINS7_INS6_11hip_rocprim26transform_input_iterator_tIbNSD_35transform_pair_of_input_iterators_tIbNS6_6detail15normal_iteratorINS6_10device_ptrIKjEEEESL_NS6_8equal_toIjEEEENSG_9not_fun_tINSD_8identityEEEEENSD_19counting_iterator_tIlEES8_S8_S8_S8_S8_S8_S8_S8_EEEEPS9_S9_NSD_9__find_if7functorIS9_EEEE10hipError_tPvRmT1_T2_T3_mT4_P12ihipStream_tbEUlT_E0_NS1_11comp_targetILNS1_3genE8ELNS1_11target_archE1030ELNS1_3gpuE2ELNS1_3repE0EEENS1_30default_config_static_selectorELNS0_4arch9wavefront6targetE0EEEvS14_.num_agpr, 0
	.set _ZN7rocprim17ROCPRIM_400000_NS6detail17trampoline_kernelINS0_14default_configENS1_22reduce_config_selectorIN6thrust23THRUST_200600_302600_NS5tupleIblNS6_9null_typeES8_S8_S8_S8_S8_S8_S8_EEEEZNS1_11reduce_implILb1ES3_NS6_12zip_iteratorINS7_INS6_11hip_rocprim26transform_input_iterator_tIbNSD_35transform_pair_of_input_iterators_tIbNS6_6detail15normal_iteratorINS6_10device_ptrIKjEEEESL_NS6_8equal_toIjEEEENSG_9not_fun_tINSD_8identityEEEEENSD_19counting_iterator_tIlEES8_S8_S8_S8_S8_S8_S8_S8_EEEEPS9_S9_NSD_9__find_if7functorIS9_EEEE10hipError_tPvRmT1_T2_T3_mT4_P12ihipStream_tbEUlT_E0_NS1_11comp_targetILNS1_3genE8ELNS1_11target_archE1030ELNS1_3gpuE2ELNS1_3repE0EEENS1_30default_config_static_selectorELNS0_4arch9wavefront6targetE0EEEvS14_.numbered_sgpr, 0
	.set _ZN7rocprim17ROCPRIM_400000_NS6detail17trampoline_kernelINS0_14default_configENS1_22reduce_config_selectorIN6thrust23THRUST_200600_302600_NS5tupleIblNS6_9null_typeES8_S8_S8_S8_S8_S8_S8_EEEEZNS1_11reduce_implILb1ES3_NS6_12zip_iteratorINS7_INS6_11hip_rocprim26transform_input_iterator_tIbNSD_35transform_pair_of_input_iterators_tIbNS6_6detail15normal_iteratorINS6_10device_ptrIKjEEEESL_NS6_8equal_toIjEEEENSG_9not_fun_tINSD_8identityEEEEENSD_19counting_iterator_tIlEES8_S8_S8_S8_S8_S8_S8_S8_EEEEPS9_S9_NSD_9__find_if7functorIS9_EEEE10hipError_tPvRmT1_T2_T3_mT4_P12ihipStream_tbEUlT_E0_NS1_11comp_targetILNS1_3genE8ELNS1_11target_archE1030ELNS1_3gpuE2ELNS1_3repE0EEENS1_30default_config_static_selectorELNS0_4arch9wavefront6targetE0EEEvS14_.num_named_barrier, 0
	.set _ZN7rocprim17ROCPRIM_400000_NS6detail17trampoline_kernelINS0_14default_configENS1_22reduce_config_selectorIN6thrust23THRUST_200600_302600_NS5tupleIblNS6_9null_typeES8_S8_S8_S8_S8_S8_S8_EEEEZNS1_11reduce_implILb1ES3_NS6_12zip_iteratorINS7_INS6_11hip_rocprim26transform_input_iterator_tIbNSD_35transform_pair_of_input_iterators_tIbNS6_6detail15normal_iteratorINS6_10device_ptrIKjEEEESL_NS6_8equal_toIjEEEENSG_9not_fun_tINSD_8identityEEEEENSD_19counting_iterator_tIlEES8_S8_S8_S8_S8_S8_S8_S8_EEEEPS9_S9_NSD_9__find_if7functorIS9_EEEE10hipError_tPvRmT1_T2_T3_mT4_P12ihipStream_tbEUlT_E0_NS1_11comp_targetILNS1_3genE8ELNS1_11target_archE1030ELNS1_3gpuE2ELNS1_3repE0EEENS1_30default_config_static_selectorELNS0_4arch9wavefront6targetE0EEEvS14_.private_seg_size, 0
	.set _ZN7rocprim17ROCPRIM_400000_NS6detail17trampoline_kernelINS0_14default_configENS1_22reduce_config_selectorIN6thrust23THRUST_200600_302600_NS5tupleIblNS6_9null_typeES8_S8_S8_S8_S8_S8_S8_EEEEZNS1_11reduce_implILb1ES3_NS6_12zip_iteratorINS7_INS6_11hip_rocprim26transform_input_iterator_tIbNSD_35transform_pair_of_input_iterators_tIbNS6_6detail15normal_iteratorINS6_10device_ptrIKjEEEESL_NS6_8equal_toIjEEEENSG_9not_fun_tINSD_8identityEEEEENSD_19counting_iterator_tIlEES8_S8_S8_S8_S8_S8_S8_S8_EEEEPS9_S9_NSD_9__find_if7functorIS9_EEEE10hipError_tPvRmT1_T2_T3_mT4_P12ihipStream_tbEUlT_E0_NS1_11comp_targetILNS1_3genE8ELNS1_11target_archE1030ELNS1_3gpuE2ELNS1_3repE0EEENS1_30default_config_static_selectorELNS0_4arch9wavefront6targetE0EEEvS14_.uses_vcc, 0
	.set _ZN7rocprim17ROCPRIM_400000_NS6detail17trampoline_kernelINS0_14default_configENS1_22reduce_config_selectorIN6thrust23THRUST_200600_302600_NS5tupleIblNS6_9null_typeES8_S8_S8_S8_S8_S8_S8_EEEEZNS1_11reduce_implILb1ES3_NS6_12zip_iteratorINS7_INS6_11hip_rocprim26transform_input_iterator_tIbNSD_35transform_pair_of_input_iterators_tIbNS6_6detail15normal_iteratorINS6_10device_ptrIKjEEEESL_NS6_8equal_toIjEEEENSG_9not_fun_tINSD_8identityEEEEENSD_19counting_iterator_tIlEES8_S8_S8_S8_S8_S8_S8_S8_EEEEPS9_S9_NSD_9__find_if7functorIS9_EEEE10hipError_tPvRmT1_T2_T3_mT4_P12ihipStream_tbEUlT_E0_NS1_11comp_targetILNS1_3genE8ELNS1_11target_archE1030ELNS1_3gpuE2ELNS1_3repE0EEENS1_30default_config_static_selectorELNS0_4arch9wavefront6targetE0EEEvS14_.uses_flat_scratch, 0
	.set _ZN7rocprim17ROCPRIM_400000_NS6detail17trampoline_kernelINS0_14default_configENS1_22reduce_config_selectorIN6thrust23THRUST_200600_302600_NS5tupleIblNS6_9null_typeES8_S8_S8_S8_S8_S8_S8_EEEEZNS1_11reduce_implILb1ES3_NS6_12zip_iteratorINS7_INS6_11hip_rocprim26transform_input_iterator_tIbNSD_35transform_pair_of_input_iterators_tIbNS6_6detail15normal_iteratorINS6_10device_ptrIKjEEEESL_NS6_8equal_toIjEEEENSG_9not_fun_tINSD_8identityEEEEENSD_19counting_iterator_tIlEES8_S8_S8_S8_S8_S8_S8_S8_EEEEPS9_S9_NSD_9__find_if7functorIS9_EEEE10hipError_tPvRmT1_T2_T3_mT4_P12ihipStream_tbEUlT_E0_NS1_11comp_targetILNS1_3genE8ELNS1_11target_archE1030ELNS1_3gpuE2ELNS1_3repE0EEENS1_30default_config_static_selectorELNS0_4arch9wavefront6targetE0EEEvS14_.has_dyn_sized_stack, 0
	.set _ZN7rocprim17ROCPRIM_400000_NS6detail17trampoline_kernelINS0_14default_configENS1_22reduce_config_selectorIN6thrust23THRUST_200600_302600_NS5tupleIblNS6_9null_typeES8_S8_S8_S8_S8_S8_S8_EEEEZNS1_11reduce_implILb1ES3_NS6_12zip_iteratorINS7_INS6_11hip_rocprim26transform_input_iterator_tIbNSD_35transform_pair_of_input_iterators_tIbNS6_6detail15normal_iteratorINS6_10device_ptrIKjEEEESL_NS6_8equal_toIjEEEENSG_9not_fun_tINSD_8identityEEEEENSD_19counting_iterator_tIlEES8_S8_S8_S8_S8_S8_S8_S8_EEEEPS9_S9_NSD_9__find_if7functorIS9_EEEE10hipError_tPvRmT1_T2_T3_mT4_P12ihipStream_tbEUlT_E0_NS1_11comp_targetILNS1_3genE8ELNS1_11target_archE1030ELNS1_3gpuE2ELNS1_3repE0EEENS1_30default_config_static_selectorELNS0_4arch9wavefront6targetE0EEEvS14_.has_recursion, 0
	.set _ZN7rocprim17ROCPRIM_400000_NS6detail17trampoline_kernelINS0_14default_configENS1_22reduce_config_selectorIN6thrust23THRUST_200600_302600_NS5tupleIblNS6_9null_typeES8_S8_S8_S8_S8_S8_S8_EEEEZNS1_11reduce_implILb1ES3_NS6_12zip_iteratorINS7_INS6_11hip_rocprim26transform_input_iterator_tIbNSD_35transform_pair_of_input_iterators_tIbNS6_6detail15normal_iteratorINS6_10device_ptrIKjEEEESL_NS6_8equal_toIjEEEENSG_9not_fun_tINSD_8identityEEEEENSD_19counting_iterator_tIlEES8_S8_S8_S8_S8_S8_S8_S8_EEEEPS9_S9_NSD_9__find_if7functorIS9_EEEE10hipError_tPvRmT1_T2_T3_mT4_P12ihipStream_tbEUlT_E0_NS1_11comp_targetILNS1_3genE8ELNS1_11target_archE1030ELNS1_3gpuE2ELNS1_3repE0EEENS1_30default_config_static_selectorELNS0_4arch9wavefront6targetE0EEEvS14_.has_indirect_call, 0
	.section	.AMDGPU.csdata,"",@progbits
; Kernel info:
; codeLenInByte = 0
; TotalNumSgprs: 0
; NumVgprs: 0
; ScratchSize: 0
; MemoryBound: 0
; FloatMode: 240
; IeeeMode: 1
; LDSByteSize: 0 bytes/workgroup (compile time only)
; SGPRBlocks: 0
; VGPRBlocks: 0
; NumSGPRsForWavesPerEU: 1
; NumVGPRsForWavesPerEU: 1
; NamedBarCnt: 0
; Occupancy: 16
; WaveLimiterHint : 0
; COMPUTE_PGM_RSRC2:SCRATCH_EN: 0
; COMPUTE_PGM_RSRC2:USER_SGPR: 2
; COMPUTE_PGM_RSRC2:TRAP_HANDLER: 0
; COMPUTE_PGM_RSRC2:TGID_X_EN: 1
; COMPUTE_PGM_RSRC2:TGID_Y_EN: 0
; COMPUTE_PGM_RSRC2:TGID_Z_EN: 0
; COMPUTE_PGM_RSRC2:TIDIG_COMP_CNT: 0
	.section	.text._ZN7rocprim17ROCPRIM_400000_NS6detail17trampoline_kernelINS0_14default_configENS1_22reduce_config_selectorIN6thrust23THRUST_200600_302600_NS5tupleIblNS6_9null_typeES8_S8_S8_S8_S8_S8_S8_EEEEZNS1_11reduce_implILb1ES3_NS6_12zip_iteratorINS7_INS6_11hip_rocprim26transform_input_iterator_tIbNSD_35transform_pair_of_input_iterators_tIbNS6_6detail15normal_iteratorINS6_10device_ptrIKjEEEESL_NS6_8equal_toIjEEEENSG_9not_fun_tINSD_8identityEEEEENSD_19counting_iterator_tIlEES8_S8_S8_S8_S8_S8_S8_S8_EEEEPS9_S9_NSD_9__find_if7functorIS9_EEEE10hipError_tPvRmT1_T2_T3_mT4_P12ihipStream_tbEUlT_E1_NS1_11comp_targetILNS1_3genE0ELNS1_11target_archE4294967295ELNS1_3gpuE0ELNS1_3repE0EEENS1_30default_config_static_selectorELNS0_4arch9wavefront6targetE0EEEvS14_,"axG",@progbits,_ZN7rocprim17ROCPRIM_400000_NS6detail17trampoline_kernelINS0_14default_configENS1_22reduce_config_selectorIN6thrust23THRUST_200600_302600_NS5tupleIblNS6_9null_typeES8_S8_S8_S8_S8_S8_S8_EEEEZNS1_11reduce_implILb1ES3_NS6_12zip_iteratorINS7_INS6_11hip_rocprim26transform_input_iterator_tIbNSD_35transform_pair_of_input_iterators_tIbNS6_6detail15normal_iteratorINS6_10device_ptrIKjEEEESL_NS6_8equal_toIjEEEENSG_9not_fun_tINSD_8identityEEEEENSD_19counting_iterator_tIlEES8_S8_S8_S8_S8_S8_S8_S8_EEEEPS9_S9_NSD_9__find_if7functorIS9_EEEE10hipError_tPvRmT1_T2_T3_mT4_P12ihipStream_tbEUlT_E1_NS1_11comp_targetILNS1_3genE0ELNS1_11target_archE4294967295ELNS1_3gpuE0ELNS1_3repE0EEENS1_30default_config_static_selectorELNS0_4arch9wavefront6targetE0EEEvS14_,comdat
	.protected	_ZN7rocprim17ROCPRIM_400000_NS6detail17trampoline_kernelINS0_14default_configENS1_22reduce_config_selectorIN6thrust23THRUST_200600_302600_NS5tupleIblNS6_9null_typeES8_S8_S8_S8_S8_S8_S8_EEEEZNS1_11reduce_implILb1ES3_NS6_12zip_iteratorINS7_INS6_11hip_rocprim26transform_input_iterator_tIbNSD_35transform_pair_of_input_iterators_tIbNS6_6detail15normal_iteratorINS6_10device_ptrIKjEEEESL_NS6_8equal_toIjEEEENSG_9not_fun_tINSD_8identityEEEEENSD_19counting_iterator_tIlEES8_S8_S8_S8_S8_S8_S8_S8_EEEEPS9_S9_NSD_9__find_if7functorIS9_EEEE10hipError_tPvRmT1_T2_T3_mT4_P12ihipStream_tbEUlT_E1_NS1_11comp_targetILNS1_3genE0ELNS1_11target_archE4294967295ELNS1_3gpuE0ELNS1_3repE0EEENS1_30default_config_static_selectorELNS0_4arch9wavefront6targetE0EEEvS14_ ; -- Begin function _ZN7rocprim17ROCPRIM_400000_NS6detail17trampoline_kernelINS0_14default_configENS1_22reduce_config_selectorIN6thrust23THRUST_200600_302600_NS5tupleIblNS6_9null_typeES8_S8_S8_S8_S8_S8_S8_EEEEZNS1_11reduce_implILb1ES3_NS6_12zip_iteratorINS7_INS6_11hip_rocprim26transform_input_iterator_tIbNSD_35transform_pair_of_input_iterators_tIbNS6_6detail15normal_iteratorINS6_10device_ptrIKjEEEESL_NS6_8equal_toIjEEEENSG_9not_fun_tINSD_8identityEEEEENSD_19counting_iterator_tIlEES8_S8_S8_S8_S8_S8_S8_S8_EEEEPS9_S9_NSD_9__find_if7functorIS9_EEEE10hipError_tPvRmT1_T2_T3_mT4_P12ihipStream_tbEUlT_E1_NS1_11comp_targetILNS1_3genE0ELNS1_11target_archE4294967295ELNS1_3gpuE0ELNS1_3repE0EEENS1_30default_config_static_selectorELNS0_4arch9wavefront6targetE0EEEvS14_
	.globl	_ZN7rocprim17ROCPRIM_400000_NS6detail17trampoline_kernelINS0_14default_configENS1_22reduce_config_selectorIN6thrust23THRUST_200600_302600_NS5tupleIblNS6_9null_typeES8_S8_S8_S8_S8_S8_S8_EEEEZNS1_11reduce_implILb1ES3_NS6_12zip_iteratorINS7_INS6_11hip_rocprim26transform_input_iterator_tIbNSD_35transform_pair_of_input_iterators_tIbNS6_6detail15normal_iteratorINS6_10device_ptrIKjEEEESL_NS6_8equal_toIjEEEENSG_9not_fun_tINSD_8identityEEEEENSD_19counting_iterator_tIlEES8_S8_S8_S8_S8_S8_S8_S8_EEEEPS9_S9_NSD_9__find_if7functorIS9_EEEE10hipError_tPvRmT1_T2_T3_mT4_P12ihipStream_tbEUlT_E1_NS1_11comp_targetILNS1_3genE0ELNS1_11target_archE4294967295ELNS1_3gpuE0ELNS1_3repE0EEENS1_30default_config_static_selectorELNS0_4arch9wavefront6targetE0EEEvS14_
	.p2align	8
	.type	_ZN7rocprim17ROCPRIM_400000_NS6detail17trampoline_kernelINS0_14default_configENS1_22reduce_config_selectorIN6thrust23THRUST_200600_302600_NS5tupleIblNS6_9null_typeES8_S8_S8_S8_S8_S8_S8_EEEEZNS1_11reduce_implILb1ES3_NS6_12zip_iteratorINS7_INS6_11hip_rocprim26transform_input_iterator_tIbNSD_35transform_pair_of_input_iterators_tIbNS6_6detail15normal_iteratorINS6_10device_ptrIKjEEEESL_NS6_8equal_toIjEEEENSG_9not_fun_tINSD_8identityEEEEENSD_19counting_iterator_tIlEES8_S8_S8_S8_S8_S8_S8_S8_EEEEPS9_S9_NSD_9__find_if7functorIS9_EEEE10hipError_tPvRmT1_T2_T3_mT4_P12ihipStream_tbEUlT_E1_NS1_11comp_targetILNS1_3genE0ELNS1_11target_archE4294967295ELNS1_3gpuE0ELNS1_3repE0EEENS1_30default_config_static_selectorELNS0_4arch9wavefront6targetE0EEEvS14_,@function
_ZN7rocprim17ROCPRIM_400000_NS6detail17trampoline_kernelINS0_14default_configENS1_22reduce_config_selectorIN6thrust23THRUST_200600_302600_NS5tupleIblNS6_9null_typeES8_S8_S8_S8_S8_S8_S8_EEEEZNS1_11reduce_implILb1ES3_NS6_12zip_iteratorINS7_INS6_11hip_rocprim26transform_input_iterator_tIbNSD_35transform_pair_of_input_iterators_tIbNS6_6detail15normal_iteratorINS6_10device_ptrIKjEEEESL_NS6_8equal_toIjEEEENSG_9not_fun_tINSD_8identityEEEEENSD_19counting_iterator_tIlEES8_S8_S8_S8_S8_S8_S8_S8_EEEEPS9_S9_NSD_9__find_if7functorIS9_EEEE10hipError_tPvRmT1_T2_T3_mT4_P12ihipStream_tbEUlT_E1_NS1_11comp_targetILNS1_3genE0ELNS1_11target_archE4294967295ELNS1_3gpuE0ELNS1_3repE0EEENS1_30default_config_static_selectorELNS0_4arch9wavefront6targetE0EEEvS14_: ; @_ZN7rocprim17ROCPRIM_400000_NS6detail17trampoline_kernelINS0_14default_configENS1_22reduce_config_selectorIN6thrust23THRUST_200600_302600_NS5tupleIblNS6_9null_typeES8_S8_S8_S8_S8_S8_S8_EEEEZNS1_11reduce_implILb1ES3_NS6_12zip_iteratorINS7_INS6_11hip_rocprim26transform_input_iterator_tIbNSD_35transform_pair_of_input_iterators_tIbNS6_6detail15normal_iteratorINS6_10device_ptrIKjEEEESL_NS6_8equal_toIjEEEENSG_9not_fun_tINSD_8identityEEEEENSD_19counting_iterator_tIlEES8_S8_S8_S8_S8_S8_S8_S8_EEEEPS9_S9_NSD_9__find_if7functorIS9_EEEE10hipError_tPvRmT1_T2_T3_mT4_P12ihipStream_tbEUlT_E1_NS1_11comp_targetILNS1_3genE0ELNS1_11target_archE4294967295ELNS1_3gpuE0ELNS1_3repE0EEENS1_30default_config_static_selectorELNS0_4arch9wavefront6targetE0EEEvS14_
; %bb.0:
	s_clause 0x2
	s_load_b32 s24, s[0:1], 0x4
	s_load_b128 s[16:19], s[0:1], 0x8
	s_load_b128 s[12:15], s[0:1], 0x28
	s_wait_kmcnt 0x0
	s_cmp_lt_i32 s24, 4
	s_cbranch_scc1 .LBB160_14
; %bb.1:
	s_cmp_gt_i32 s24, 7
	s_cbranch_scc0 .LBB160_15
; %bb.2:
	s_cmp_eq_u32 s24, 8
	s_mov_b32 s25, 0
	s_cbranch_scc0 .LBB160_16
; %bb.3:
	s_bfe_u32 s2, ttmp6, 0x4000c
	s_and_b32 s3, ttmp6, 15
	s_add_co_i32 s2, s2, 1
	s_getreg_b32 s4, hwreg(HW_REG_IB_STS2, 6, 4)
	s_mul_i32 s2, ttmp9, s2
	s_mov_b32 s11, 0
	s_add_co_i32 s3, s3, s2
	s_cmp_eq_u32 s4, 0
	s_mov_b32 s7, s11
	s_cselect_b32 s10, ttmp9, s3
	s_lshr_b64 s[2:3], s[14:15], 10
	s_lshl_b32 s6, s10, 10
	s_delay_alu instid0(SALU_CYCLE_1)
	s_lshl_b64 s[4:5], s[6:7], 2
	s_cmp_lg_u64 s[2:3], s[10:11]
	s_add_nc_u64 s[8:9], s[16:17], s[4:5]
	s_add_nc_u64 s[22:23], s[18:19], s[4:5]
	s_add_nc_u64 s[20:21], s[12:13], s[6:7]
	s_cbranch_scc0 .LBB160_29
; %bb.4:
	s_clause 0xf
	global_load_b32 v1, v0, s[8:9] offset:512 scale_offset
	global_load_b32 v2, v0, s[22:23] scale_offset
	global_load_b32 v3, v0, s[22:23] offset:512 scale_offset
	global_load_b32 v4, v0, s[22:23] offset:1024 scale_offset
	;; [unrolled: 1-line block ×4, first 2 shown]
	global_load_b32 v7, v0, s[8:9] scale_offset
	global_load_b32 v8, v0, s[8:9] offset:1024 scale_offset
	global_load_b32 v9, v0, s[8:9] offset:2048 scale_offset
	;; [unrolled: 1-line block ×9, first 2 shown]
	v_mov_b32_e32 v17, 0x80
	v_mov_b32_e32 v18, 0x180
	;; [unrolled: 1-line block ×3, first 2 shown]
	s_wait_loadcnt 0xd
	v_cmp_ne_u32_e32 vcc_lo, v1, v3
	s_wait_loadcnt 0x9
	v_cmp_ne_u32_e64 s2, v7, v2
	v_cndmask_b32_e32 v1, 0x100, v17, vcc_lo
	s_wait_loadcnt 0x8
	v_cmp_ne_u32_e64 s3, v8, v4
	s_wait_loadcnt 0x6
	v_cmp_ne_u32_e64 s5, v10, v5
	v_cmp_ne_u32_e64 s4, v9, v6
	v_cndmask_b32_e64 v1, v1, 0, s2
	s_or_b32 s2, s2, vcc_lo
	v_cndmask_b32_e64 v2, 0x200, v18, s5
	s_wait_loadcnt 0x4
	v_cmp_ne_u32_e32 vcc_lo, v11, v12
	s_or_b32 s2, s2, s3
	s_delay_alu instid0(SALU_CYCLE_1)
	s_or_b32 s3, s2, s5
	v_cndmask_b32_e64 v2, v2, v1, s2
	v_cndmask_b32_e32 v3, 0x300, v19, vcc_lo
	v_mov_b32_e32 v1, 0
	s_wait_loadcnt 0x2
	v_cmp_ne_u32_e64 s2, v14, v13
	s_or_b32 s3, s3, s4
	s_delay_alu instid0(SALU_CYCLE_1)
	v_dual_mov_b32 v5, v1 :: v_dual_cndmask_b32 v4, v3, v2, s3
	s_or_b32 s3, s3, vcc_lo
	v_add_nc_u64_e32 v[2:3], s[20:21], v[0:1]
	s_or_b32 vcc_lo, s3, s2
	s_wait_loadcnt 0x0
	v_cmp_ne_u32_e64 s2, v15, v16
	v_cndmask_b32_e32 v4, 0x380, v4, vcc_lo
	s_or_b32 vcc_lo, vcc_lo, s2
	s_delay_alu instid0(VALU_DEP_1) | instskip(SKIP_2) | instid1(VALU_DEP_1)
	v_add_nc_u64_e32 v[2:3], v[2:3], v[4:5]
	v_cndmask_b32_e64 v8, 0, 1, vcc_lo
	s_mov_b32 s2, exec_lo
	v_mov_b32_dpp v9, v8 quad_perm:[1,0,3,2] row_mask:0xf bank_mask:0xf
	s_delay_alu instid0(VALU_DEP_3) | instskip(NEXT) | instid1(VALU_DEP_4)
	v_mov_b32_dpp v4, v2 quad_perm:[1,0,3,2] row_mask:0xf bank_mask:0xf
	v_mov_b32_dpp v5, v3 quad_perm:[1,0,3,2] row_mask:0xf bank_mask:0xf
	s_delay_alu instid0(VALU_DEP_3) | instskip(NEXT) | instid1(VALU_DEP_2)
	v_and_b32_e32 v9, 1, v9
	v_min_i64 v[6:7], v[2:3], v[4:5]
	s_delay_alu instid0(VALU_DEP_1) | instskip(NEXT) | instid1(VALU_DEP_3)
	v_dual_cndmask_b32 v4, v4, v6 :: v_dual_cndmask_b32 v5, v5, v7
	v_cmp_eq_u32_e32 vcc_lo, 1, v9
	v_cndmask_b32_e64 v8, v8, 1, vcc_lo
	s_delay_alu instid0(VALU_DEP_3) | instskip(NEXT) | instid1(VALU_DEP_2)
	v_cndmask_b32_e32 v2, v2, v4, vcc_lo
	v_and_b32_e32 v9, 1, v8
	v_mov_b32_dpp v10, v8 quad_perm:[2,3,0,1] row_mask:0xf bank_mask:0xf
	v_cndmask_b32_e32 v3, v3, v5, vcc_lo
	s_delay_alu instid0(VALU_DEP_4) | instskip(NEXT) | instid1(VALU_DEP_4)
	v_mov_b32_dpp v4, v2 quad_perm:[2,3,0,1] row_mask:0xf bank_mask:0xf
	v_cmp_eq_u32_e32 vcc_lo, 1, v9
	s_delay_alu instid0(VALU_DEP_4) | instskip(NEXT) | instid1(VALU_DEP_4)
	v_and_b32_e32 v9, 1, v10
	v_mov_b32_dpp v5, v3 quad_perm:[2,3,0,1] row_mask:0xf bank_mask:0xf
	s_delay_alu instid0(VALU_DEP_1) | instskip(NEXT) | instid1(VALU_DEP_1)
	v_min_i64 v[6:7], v[2:3], v[4:5]
	v_dual_cndmask_b32 v4, v4, v6 :: v_dual_cndmask_b32 v5, v5, v7
	s_delay_alu instid0(VALU_DEP_4) | instskip(NEXT) | instid1(VALU_DEP_2)
	v_cmp_eq_u32_e32 vcc_lo, 1, v9
	v_dual_cndmask_b32 v3, v3, v5 :: v_dual_cndmask_b32 v2, v2, v4
	v_cndmask_b32_e64 v8, v8, 1, vcc_lo
	s_delay_alu instid0(VALU_DEP_2) | instskip(NEXT) | instid1(VALU_DEP_3)
	v_mov_b32_dpp v5, v3 row_ror:4 row_mask:0xf bank_mask:0xf
	v_mov_b32_dpp v4, v2 row_ror:4 row_mask:0xf bank_mask:0xf
	s_delay_alu instid0(VALU_DEP_3) | instskip(NEXT) | instid1(VALU_DEP_2)
	v_mov_b32_dpp v10, v8 row_ror:4 row_mask:0xf bank_mask:0xf
	v_min_i64 v[6:7], v[2:3], v[4:5]
	v_and_b32_e32 v9, 1, v8
	s_delay_alu instid0(VALU_DEP_1) | instskip(NEXT) | instid1(VALU_DEP_3)
	v_cmp_eq_u32_e32 vcc_lo, 1, v9
	v_dual_cndmask_b32 v5, v5, v7, vcc_lo :: v_dual_bitop2_b32 v9, 1, v10 bitop3:0x40
	s_delay_alu instid0(VALU_DEP_4) | instskip(NEXT) | instid1(VALU_DEP_2)
	v_cndmask_b32_e32 v4, v4, v6, vcc_lo
	v_cmp_eq_u32_e32 vcc_lo, 1, v9
	s_delay_alu instid0(VALU_DEP_2) | instskip(SKIP_1) | instid1(VALU_DEP_2)
	v_dual_cndmask_b32 v3, v3, v5 :: v_dual_cndmask_b32 v2, v2, v4
	v_cndmask_b32_e64 v8, v8, 1, vcc_lo
	v_mov_b32_dpp v5, v3 row_ror:8 row_mask:0xf bank_mask:0xf
	s_delay_alu instid0(VALU_DEP_3) | instskip(NEXT) | instid1(VALU_DEP_3)
	v_mov_b32_dpp v4, v2 row_ror:8 row_mask:0xf bank_mask:0xf
	v_mov_b32_dpp v10, v8 row_ror:8 row_mask:0xf bank_mask:0xf
	s_delay_alu instid0(VALU_DEP_2) | instskip(SKIP_1) | instid1(VALU_DEP_1)
	v_min_i64 v[6:7], v[2:3], v[4:5]
	v_and_b32_e32 v9, 1, v8
	v_cmp_eq_u32_e32 vcc_lo, 1, v9
	s_delay_alu instid0(VALU_DEP_3) | instskip(NEXT) | instid1(VALU_DEP_4)
	v_dual_cndmask_b32 v5, v5, v7, vcc_lo :: v_dual_bitop2_b32 v9, 1, v10 bitop3:0x40
	v_cndmask_b32_e32 v4, v4, v6, vcc_lo
	s_delay_alu instid0(VALU_DEP_2) | instskip(NEXT) | instid1(VALU_DEP_2)
	v_cmp_eq_u32_e32 vcc_lo, 1, v9
	v_dual_cndmask_b32 v3, v3, v5 :: v_dual_cndmask_b32 v2, v2, v4
	v_cndmask_b32_e64 v8, v8, 1, vcc_lo
	ds_swizzle_b32 v5, v3 offset:swizzle(BROADCAST,32,15)
	ds_swizzle_b32 v4, v2 offset:swizzle(BROADCAST,32,15)
	;; [unrolled: 1-line block ×3, first 2 shown]
	s_wait_dscnt 0x1
	v_min_i64 v[6:7], v[2:3], v[4:5]
	v_and_b32_e32 v10, 1, v8
	s_delay_alu instid0(VALU_DEP_1) | instskip(SKIP_1) | instid1(VALU_DEP_3)
	v_cmp_eq_u32_e32 vcc_lo, 1, v10
	s_wait_dscnt 0x0
	v_dual_cndmask_b32 v5, v5, v7, vcc_lo :: v_dual_bitop2_b32 v9, 1, v9 bitop3:0x40
	s_delay_alu instid0(VALU_DEP_4) | instskip(NEXT) | instid1(VALU_DEP_2)
	v_cndmask_b32_e32 v4, v4, v6, vcc_lo
	v_cmp_eq_u32_e32 vcc_lo, 1, v9
	s_delay_alu instid0(VALU_DEP_2)
	v_dual_cndmask_b32 v3, v3, v5 :: v_dual_cndmask_b32 v2, v2, v4
	v_cndmask_b32_e64 v5, v8, 1, vcc_lo
	ds_bpermute_b32 v3, v1, v3 offset:124
	ds_bpermute_b32 v2, v1, v2 offset:124
	;; [unrolled: 1-line block ×3, first 2 shown]
	v_mbcnt_lo_u32_b32 v1, -1, 0
	s_delay_alu instid0(VALU_DEP_1)
	v_cmpx_eq_u32_e32 0, v1
	s_cbranch_execz .LBB160_6
; %bb.5:
	v_lshrrev_b32_e32 v4, 1, v0
	s_delay_alu instid0(VALU_DEP_1)
	v_and_b32_e32 v4, 48, v4
	s_wait_dscnt 0x0
	ds_store_b8 v4, v20 offset:192
	ds_store_b64 v4, v[2:3] offset:200
.LBB160_6:
	s_or_b32 exec_lo, exec_lo, s2
	s_delay_alu instid0(SALU_CYCLE_1)
	s_mov_b32 s2, exec_lo
	s_wait_dscnt 0x0
	s_barrier_signal -1
	s_barrier_wait -1
	v_cmpx_gt_u32_e32 32, v0
	s_cbranch_execz .LBB160_12
; %bb.7:
	v_and_b32_e32 v2, 3, v1
	s_delay_alu instid0(VALU_DEP_1) | instskip(SKIP_2) | instid1(VALU_DEP_1)
	v_cmp_ne_u32_e32 vcc_lo, 3, v2
	v_lshlrev_b32_e32 v3, 4, v2
	v_add_co_ci_u32_e64 v2, null, 0, v1, vcc_lo
	v_lshlrev_b32_e32 v2, 2, v2
	ds_load_u8 v8, v3 offset:192
	ds_load_b64 v[4:5], v3 offset:200
	s_wait_dscnt 0x1
	v_and_b32_e32 v3, 0xff, v8
	s_wait_dscnt 0x0
	ds_bpermute_b32 v6, v2, v4
	ds_bpermute_b32 v7, v2, v5
	;; [unrolled: 1-line block ×3, first 2 shown]
	s_wait_dscnt 0x0
	v_and_b32_e32 v2, v8, v9
	s_delay_alu instid0(VALU_DEP_1) | instskip(NEXT) | instid1(VALU_DEP_1)
	v_and_b32_e32 v2, 1, v2
	v_cmp_eq_u32_e32 vcc_lo, 1, v2
                                        ; implicit-def: $vgpr2_vgpr3
	s_and_saveexec_b32 s3, vcc_lo
	s_delay_alu instid0(SALU_CYCLE_1)
	s_xor_b32 s3, exec_lo, s3
; %bb.8:
	v_min_i64 v[2:3], v[6:7], v[4:5]
                                        ; implicit-def: $vgpr8
                                        ; implicit-def: $vgpr6_vgpr7
                                        ; implicit-def: $vgpr4_vgpr5
                                        ; implicit-def: $vgpr9
; %bb.9:
	s_or_saveexec_b32 s3, s3
	v_dual_mov_b32 v10, 1 :: v_dual_lshlrev_b32 v1, 2, v1
	s_xor_b32 exec_lo, exec_lo, s3
; %bb.10:
	v_and_b32_e32 v2, 1, v8
	v_and_b32_e32 v8, 0xff, v9
	s_delay_alu instid0(VALU_DEP_2) | instskip(SKIP_1) | instid1(VALU_DEP_3)
	v_cmp_eq_u32_e32 vcc_lo, 1, v2
	v_dual_cndmask_b32 v3, v7, v5 :: v_dual_cndmask_b32 v2, v6, v4
	v_cndmask_b32_e64 v10, v8, 1, vcc_lo
; %bb.11:
	s_or_b32 exec_lo, exec_lo, s3
	s_delay_alu instid0(VALU_DEP_1) | instskip(NEXT) | instid1(VALU_DEP_1)
	v_and_b32_e32 v8, 1, v10
	v_cmp_eq_u32_e32 vcc_lo, 1, v8
	v_or_b32_e32 v1, 8, v1
	ds_bpermute_b32 v4, v1, v2
	ds_bpermute_b32 v5, v1, v3
	s_wait_dscnt 0x0
	v_min_i64 v[6:7], v[4:5], v[2:3]
	v_cndmask_b32_e32 v2, v4, v2, vcc_lo
	ds_bpermute_b32 v1, v1, v10
	v_cndmask_b32_e32 v3, v5, v3, vcc_lo
	s_wait_dscnt 0x0
	v_bitop3_b32 v8, v10, 1, v1 bitop3:0x80
	v_cndmask_b32_e64 v1, v1, 1, vcc_lo
	s_delay_alu instid0(VALU_DEP_2) | instskip(NEXT) | instid1(VALU_DEP_2)
	v_cmp_eq_u32_e32 vcc_lo, 0, v8
	v_dual_cndmask_b32 v20, 1, v1 :: v_dual_cndmask_b32 v3, v7, v3
	v_cndmask_b32_e32 v2, v6, v2, vcc_lo
.LBB160_12:
	s_or_b32 exec_lo, exec_lo, s2
.LBB160_13:
	v_cmp_eq_u32_e64 s2, 0, v0
	s_and_b32 vcc_lo, exec_lo, s25
	s_cbranch_vccnz .LBB160_17
	s_branch .LBB160_118
.LBB160_14:
	s_mov_b32 s2, 0
                                        ; implicit-def: $sgpr10_sgpr11
                                        ; implicit-def: $vgpr2_vgpr3
                                        ; implicit-def: $vgpr20
	s_cbranch_execnz .LBB160_155
	s_branch .LBB160_211
.LBB160_15:
	s_mov_b32 s25, -1
.LBB160_16:
	s_mov_b32 s2, 0
                                        ; implicit-def: $sgpr10_sgpr11
                                        ; implicit-def: $vgpr2_vgpr3
                                        ; implicit-def: $vgpr20
	s_and_b32 vcc_lo, exec_lo, s25
	s_cbranch_vccz .LBB160_118
.LBB160_17:
	s_cmp_eq_u32 s24, 4
	s_cbranch_scc0 .LBB160_28
; %bb.18:
	s_bfe_u32 s2, ttmp6, 0x4000c
	s_and_b32 s3, ttmp6, 15
	s_add_co_i32 s2, s2, 1
	s_getreg_b32 s4, hwreg(HW_REG_IB_STS2, 6, 4)
	s_mul_i32 s2, ttmp9, s2
	s_mov_b32 s11, 0
	s_add_co_i32 s3, s3, s2
	s_cmp_eq_u32 s4, 0
	s_mov_b32 s21, s11
	s_cselect_b32 s10, ttmp9, s3
	s_lshr_b64 s[2:3], s[14:15], 9
	s_lshl_b32 s20, s10, 9
	s_delay_alu instid0(SALU_CYCLE_1)
	s_lshl_b64 s[4:5], s[20:21], 2
	s_cmp_lg_u64 s[2:3], s[10:11]
	s_add_nc_u64 s[6:7], s[16:17], s[4:5]
	s_add_nc_u64 s[8:9], s[18:19], s[4:5]
	;; [unrolled: 1-line block ×3, first 2 shown]
	s_cbranch_scc0 .LBB160_52
; %bb.19:
	s_wait_dscnt 0x2
	s_clause 0x2
	global_load_b32 v1, v0, s[6:7] offset:512 scale_offset
	global_load_b32 v2, v0, s[8:9] offset:512 scale_offset
	global_load_b32 v3, v0, s[6:7] scale_offset
	s_wait_dscnt 0x1
	global_load_b32 v4, v0, s[8:9] scale_offset
	s_wait_dscnt 0x0
	s_clause 0x3
	global_load_b32 v5, v0, s[6:7] offset:1024 scale_offset
	global_load_b32 v6, v0, s[8:9] offset:1024 scale_offset
	;; [unrolled: 1-line block ×4, first 2 shown]
	v_mov_b32_e32 v7, 0x80
	s_wait_loadcnt 0x6
	v_cmp_ne_u32_e32 vcc_lo, v1, v2
	v_mov_b32_e32 v1, 0
	s_wait_loadcnt 0x4
	v_cmp_ne_u32_e64 s2, v3, v4
	s_wait_loadcnt 0x2
	v_cmp_ne_u32_e64 s3, v5, v6
	v_cndmask_b32_e32 v2, 0x100, v7, vcc_lo
	s_delay_alu instid0(VALU_DEP_1) | instskip(SKIP_3) | instid1(VALU_DEP_2)
	v_cndmask_b32_e64 v4, v2, 0, s2
	s_or_b32 s2, s2, vcc_lo
	v_add_nc_u64_e32 v[2:3], s[4:5], v[0:1]
	s_or_b32 vcc_lo, s2, s3
	v_dual_mov_b32 v5, v1 :: v_dual_cndmask_b32 v4, 0x180, v4
	s_wait_loadcnt 0x0
	v_cmp_ne_u32_e64 s2, v9, v8
	s_delay_alu instid0(VALU_DEP_2) | instskip(SKIP_3) | instid1(VALU_DEP_2)
	v_add_nc_u64_e32 v[2:3], v[2:3], v[4:5]
	s_or_b32 vcc_lo, vcc_lo, s2
	s_mov_b32 s2, exec_lo
	v_cndmask_b32_e64 v8, 0, 1, vcc_lo
	v_mov_b32_dpp v4, v2 quad_perm:[1,0,3,2] row_mask:0xf bank_mask:0xf
	s_delay_alu instid0(VALU_DEP_3) | instskip(NEXT) | instid1(VALU_DEP_3)
	v_mov_b32_dpp v5, v3 quad_perm:[1,0,3,2] row_mask:0xf bank_mask:0xf
	v_mov_b32_dpp v9, v8 quad_perm:[1,0,3,2] row_mask:0xf bank_mask:0xf
	s_delay_alu instid0(VALU_DEP_2) | instskip(NEXT) | instid1(VALU_DEP_1)
	v_min_i64 v[6:7], v[2:3], v[4:5]
	v_dual_cndmask_b32 v5, v5, v7, vcc_lo :: v_dual_bitop2_b32 v9, 1, v9 bitop3:0x40
	s_delay_alu instid0(VALU_DEP_2) | instskip(NEXT) | instid1(VALU_DEP_2)
	v_cndmask_b32_e32 v4, v4, v6, vcc_lo
	v_cmp_eq_u32_e32 vcc_lo, 1, v9
	s_delay_alu instid0(VALU_DEP_2) | instskip(SKIP_1) | instid1(VALU_DEP_2)
	v_dual_cndmask_b32 v3, v3, v5 :: v_dual_cndmask_b32 v2, v2, v4
	v_cndmask_b32_e64 v8, v8, 1, vcc_lo
	v_mov_b32_dpp v5, v3 quad_perm:[2,3,0,1] row_mask:0xf bank_mask:0xf
	s_delay_alu instid0(VALU_DEP_3) | instskip(NEXT) | instid1(VALU_DEP_3)
	v_mov_b32_dpp v4, v2 quad_perm:[2,3,0,1] row_mask:0xf bank_mask:0xf
	v_mov_b32_dpp v10, v8 quad_perm:[2,3,0,1] row_mask:0xf bank_mask:0xf
	s_delay_alu instid0(VALU_DEP_2) | instskip(SKIP_1) | instid1(VALU_DEP_1)
	v_min_i64 v[6:7], v[2:3], v[4:5]
	v_and_b32_e32 v9, 1, v8
	v_cmp_eq_u32_e32 vcc_lo, 1, v9
	s_delay_alu instid0(VALU_DEP_3) | instskip(NEXT) | instid1(VALU_DEP_4)
	v_dual_cndmask_b32 v5, v5, v7, vcc_lo :: v_dual_bitop2_b32 v9, 1, v10 bitop3:0x40
	v_cndmask_b32_e32 v4, v4, v6, vcc_lo
	s_delay_alu instid0(VALU_DEP_2) | instskip(NEXT) | instid1(VALU_DEP_2)
	v_cmp_eq_u32_e32 vcc_lo, 1, v9
	v_dual_cndmask_b32 v3, v3, v5 :: v_dual_cndmask_b32 v2, v2, v4
	v_cndmask_b32_e64 v8, v8, 1, vcc_lo
	s_delay_alu instid0(VALU_DEP_2) | instskip(NEXT) | instid1(VALU_DEP_3)
	v_mov_b32_dpp v5, v3 row_ror:4 row_mask:0xf bank_mask:0xf
	v_mov_b32_dpp v4, v2 row_ror:4 row_mask:0xf bank_mask:0xf
	s_delay_alu instid0(VALU_DEP_3) | instskip(NEXT) | instid1(VALU_DEP_2)
	v_mov_b32_dpp v10, v8 row_ror:4 row_mask:0xf bank_mask:0xf
	v_min_i64 v[6:7], v[2:3], v[4:5]
	v_and_b32_e32 v9, 1, v8
	s_delay_alu instid0(VALU_DEP_1) | instskip(NEXT) | instid1(VALU_DEP_3)
	v_cmp_eq_u32_e32 vcc_lo, 1, v9
	v_dual_cndmask_b32 v5, v5, v7, vcc_lo :: v_dual_bitop2_b32 v9, 1, v10 bitop3:0x40
	s_delay_alu instid0(VALU_DEP_4) | instskip(NEXT) | instid1(VALU_DEP_2)
	v_cndmask_b32_e32 v4, v4, v6, vcc_lo
	v_cmp_eq_u32_e32 vcc_lo, 1, v9
	s_delay_alu instid0(VALU_DEP_2) | instskip(SKIP_1) | instid1(VALU_DEP_2)
	v_dual_cndmask_b32 v3, v3, v5 :: v_dual_cndmask_b32 v2, v2, v4
	v_cndmask_b32_e64 v8, v8, 1, vcc_lo
	v_mov_b32_dpp v5, v3 row_ror:8 row_mask:0xf bank_mask:0xf
	s_delay_alu instid0(VALU_DEP_3) | instskip(NEXT) | instid1(VALU_DEP_3)
	v_mov_b32_dpp v4, v2 row_ror:8 row_mask:0xf bank_mask:0xf
	v_mov_b32_dpp v10, v8 row_ror:8 row_mask:0xf bank_mask:0xf
	s_delay_alu instid0(VALU_DEP_2) | instskip(SKIP_1) | instid1(VALU_DEP_1)
	v_min_i64 v[6:7], v[2:3], v[4:5]
	v_and_b32_e32 v9, 1, v8
	v_cmp_eq_u32_e32 vcc_lo, 1, v9
	s_delay_alu instid0(VALU_DEP_3) | instskip(NEXT) | instid1(VALU_DEP_4)
	v_dual_cndmask_b32 v5, v5, v7, vcc_lo :: v_dual_bitop2_b32 v9, 1, v10 bitop3:0x40
	v_cndmask_b32_e32 v4, v4, v6, vcc_lo
	s_delay_alu instid0(VALU_DEP_2) | instskip(NEXT) | instid1(VALU_DEP_2)
	v_cmp_eq_u32_e32 vcc_lo, 1, v9
	v_dual_cndmask_b32 v3, v3, v5 :: v_dual_cndmask_b32 v2, v2, v4
	v_cndmask_b32_e64 v8, v8, 1, vcc_lo
	ds_swizzle_b32 v5, v3 offset:swizzle(BROADCAST,32,15)
	ds_swizzle_b32 v4, v2 offset:swizzle(BROADCAST,32,15)
	;; [unrolled: 1-line block ×3, first 2 shown]
	s_wait_dscnt 0x1
	v_min_i64 v[6:7], v[2:3], v[4:5]
	v_and_b32_e32 v10, 1, v8
	s_delay_alu instid0(VALU_DEP_1) | instskip(SKIP_1) | instid1(VALU_DEP_3)
	v_cmp_eq_u32_e32 vcc_lo, 1, v10
	s_wait_dscnt 0x0
	v_dual_cndmask_b32 v5, v5, v7, vcc_lo :: v_dual_bitop2_b32 v9, 1, v9 bitop3:0x40
	s_delay_alu instid0(VALU_DEP_4) | instskip(NEXT) | instid1(VALU_DEP_2)
	v_cndmask_b32_e32 v4, v4, v6, vcc_lo
	v_cmp_eq_u32_e32 vcc_lo, 1, v9
	s_delay_alu instid0(VALU_DEP_2)
	v_dual_cndmask_b32 v3, v3, v5 :: v_dual_cndmask_b32 v2, v2, v4
	v_cndmask_b32_e64 v5, v8, 1, vcc_lo
	ds_bpermute_b32 v3, v1, v3 offset:124
	ds_bpermute_b32 v2, v1, v2 offset:124
	ds_bpermute_b32 v20, v1, v5 offset:124
	v_mbcnt_lo_u32_b32 v1, -1, 0
	s_delay_alu instid0(VALU_DEP_1)
	v_cmpx_eq_u32_e32 0, v1
	s_cbranch_execz .LBB160_21
; %bb.20:
	v_lshrrev_b32_e32 v4, 1, v0
	s_delay_alu instid0(VALU_DEP_1)
	v_and_b32_e32 v4, 48, v4
	s_wait_dscnt 0x0
	ds_store_b8 v4, v20 offset:128
	ds_store_b64 v4, v[2:3] offset:136
.LBB160_21:
	s_or_b32 exec_lo, exec_lo, s2
	s_delay_alu instid0(SALU_CYCLE_1)
	s_mov_b32 s2, exec_lo
	s_wait_dscnt 0x0
	s_barrier_signal -1
	s_barrier_wait -1
	v_cmpx_gt_u32_e32 32, v0
	s_cbranch_execz .LBB160_27
; %bb.22:
	v_and_b32_e32 v2, 3, v1
	s_delay_alu instid0(VALU_DEP_1) | instskip(SKIP_2) | instid1(VALU_DEP_1)
	v_cmp_ne_u32_e32 vcc_lo, 3, v2
	v_lshlrev_b32_e32 v3, 4, v2
	v_add_co_ci_u32_e64 v2, null, 0, v1, vcc_lo
	v_lshlrev_b32_e32 v2, 2, v2
	ds_load_u8 v8, v3 offset:128
	ds_load_b64 v[4:5], v3 offset:136
	s_wait_dscnt 0x1
	v_and_b32_e32 v3, 0xff, v8
	s_wait_dscnt 0x0
	ds_bpermute_b32 v6, v2, v4
	ds_bpermute_b32 v7, v2, v5
	;; [unrolled: 1-line block ×3, first 2 shown]
	s_wait_dscnt 0x0
	v_and_b32_e32 v2, v8, v9
	s_delay_alu instid0(VALU_DEP_1) | instskip(NEXT) | instid1(VALU_DEP_1)
	v_and_b32_e32 v2, 1, v2
	v_cmp_eq_u32_e32 vcc_lo, 1, v2
                                        ; implicit-def: $vgpr2_vgpr3
	s_and_saveexec_b32 s3, vcc_lo
	s_delay_alu instid0(SALU_CYCLE_1)
	s_xor_b32 s3, exec_lo, s3
; %bb.23:
	v_min_i64 v[2:3], v[6:7], v[4:5]
                                        ; implicit-def: $vgpr8
                                        ; implicit-def: $vgpr6_vgpr7
                                        ; implicit-def: $vgpr4_vgpr5
                                        ; implicit-def: $vgpr9
; %bb.24:
	s_or_saveexec_b32 s3, s3
	v_dual_mov_b32 v10, 1 :: v_dual_lshlrev_b32 v1, 2, v1
	s_xor_b32 exec_lo, exec_lo, s3
; %bb.25:
	v_and_b32_e32 v2, 1, v8
	v_and_b32_e32 v8, 0xff, v9
	s_delay_alu instid0(VALU_DEP_2) | instskip(SKIP_1) | instid1(VALU_DEP_3)
	v_cmp_eq_u32_e32 vcc_lo, 1, v2
	v_dual_cndmask_b32 v3, v7, v5 :: v_dual_cndmask_b32 v2, v6, v4
	v_cndmask_b32_e64 v10, v8, 1, vcc_lo
; %bb.26:
	s_or_b32 exec_lo, exec_lo, s3
	s_delay_alu instid0(VALU_DEP_1) | instskip(NEXT) | instid1(VALU_DEP_1)
	v_and_b32_e32 v8, 1, v10
	v_cmp_eq_u32_e32 vcc_lo, 1, v8
	v_or_b32_e32 v1, 8, v1
	ds_bpermute_b32 v4, v1, v2
	ds_bpermute_b32 v5, v1, v3
	s_wait_dscnt 0x0
	v_min_i64 v[6:7], v[4:5], v[2:3]
	v_cndmask_b32_e32 v2, v4, v2, vcc_lo
	ds_bpermute_b32 v1, v1, v10
	v_cndmask_b32_e32 v3, v5, v3, vcc_lo
	s_wait_dscnt 0x0
	v_bitop3_b32 v8, v10, 1, v1 bitop3:0x80
	v_cndmask_b32_e64 v1, v1, 1, vcc_lo
	s_delay_alu instid0(VALU_DEP_2) | instskip(NEXT) | instid1(VALU_DEP_2)
	v_cmp_eq_u32_e32 vcc_lo, 0, v8
	v_dual_cndmask_b32 v20, 1, v1 :: v_dual_cndmask_b32 v3, v7, v3
	v_cndmask_b32_e32 v2, v6, v2, vcc_lo
.LBB160_27:
	s_or_b32 exec_lo, exec_lo, s2
	s_branch .LBB160_154
.LBB160_28:
                                        ; implicit-def: $sgpr10_sgpr11
                                        ; implicit-def: $vgpr2_vgpr3
                                        ; implicit-def: $vgpr20
	s_branch .LBB160_211
.LBB160_29:
                                        ; implicit-def: $vgpr2_vgpr3
                                        ; implicit-def: $vgpr20
	s_cbranch_execz .LBB160_13
; %bb.30:
	v_mov_b64_e32 v[16:17], 0
	v_mov_b64_e32 v[2:3], 0
	v_dual_mov_b32 v26, 0 :: v_dual_mov_b32 v20, 0
	s_sub_co_i32 s26, s14, s6
	s_mov_b32 s2, exec_lo
	v_cmpx_gt_u32_e64 s26, v0
	s_cbranch_execz .LBB160_32
; %bb.31:
	s_clause 0x1
	global_load_b32 v4, v0, s[8:9] scale_offset
	global_load_b32 v5, v0, s[22:23] scale_offset
	v_mov_b32_e32 v1, 0
	s_delay_alu instid0(VALU_DEP_1)
	v_add_nc_u64_e32 v[2:3], s[20:21], v[0:1]
	s_wait_loadcnt 0x0
	v_cmp_ne_u32_e32 vcc_lo, v4, v5
	v_cndmask_b32_e64 v20, 0, 1, vcc_lo
.LBB160_32:
	s_or_b32 exec_lo, exec_lo, s2
	v_or_b32_e32 v4, 0x80, v0
	s_delay_alu instid0(VALU_DEP_1)
	v_cmp_gt_u32_e64 s7, s26, v4
	s_and_saveexec_b32 s2, s7
	s_cbranch_execz .LBB160_34
; %bb.33:
	s_clause 0x1
	global_load_b32 v1, v0, s[8:9] offset:512 scale_offset
	global_load_b32 v6, v0, s[22:23] offset:512 scale_offset
	v_mov_b32_e32 v5, 0
	s_delay_alu instid0(VALU_DEP_1)
	v_add_nc_u64_e32 v[16:17], s[20:21], v[4:5]
	s_wait_loadcnt 0x0
	v_cmp_ne_u32_e32 vcc_lo, v1, v6
	v_cndmask_b32_e64 v26, 0, 1, vcc_lo
.LBB160_34:
	s_or_b32 exec_lo, exec_lo, s2
	v_or_b32_e32 v4, 0x100, v0
	v_mov_b64_e32 v[12:13], 0
	v_mov_b64_e32 v[14:15], 0
	v_dual_mov_b32 v24, 0 :: v_dual_mov_b32 v25, 0
	s_delay_alu instid0(VALU_DEP_4)
	v_cmp_gt_u32_e64 s6, s26, v4
	s_and_saveexec_b32 s2, s6
	s_cbranch_execz .LBB160_36
; %bb.35:
	s_clause 0x1
	global_load_b32 v1, v0, s[8:9] offset:1024 scale_offset
	global_load_b32 v6, v0, s[22:23] offset:1024 scale_offset
	v_mov_b32_e32 v5, 0
	s_delay_alu instid0(VALU_DEP_1)
	v_add_nc_u64_e32 v[14:15], s[20:21], v[4:5]
	s_wait_loadcnt 0x0
	v_cmp_ne_u32_e32 vcc_lo, v1, v6
	v_cndmask_b32_e64 v25, 0, 1, vcc_lo
.LBB160_36:
	s_or_b32 exec_lo, exec_lo, s2
	v_or_b32_e32 v4, 0x180, v0
	s_delay_alu instid0(VALU_DEP_1)
	v_cmp_gt_u32_e64 s5, s26, v4
	s_and_saveexec_b32 s2, s5
	s_cbranch_execz .LBB160_38
; %bb.37:
	s_clause 0x1
	global_load_b32 v1, v0, s[8:9] offset:1536 scale_offset
	global_load_b32 v6, v0, s[22:23] offset:1536 scale_offset
	v_mov_b32_e32 v5, 0
	s_delay_alu instid0(VALU_DEP_1)
	v_add_nc_u64_e32 v[12:13], s[20:21], v[4:5]
	s_wait_loadcnt 0x0
	v_cmp_ne_u32_e32 vcc_lo, v1, v6
	v_cndmask_b32_e64 v24, 0, 1, vcc_lo
.LBB160_38:
	s_or_b32 exec_lo, exec_lo, s2
	v_or_b32_e32 v4, 0x200, v0
	v_mov_b64_e32 v[8:9], 0
	v_mov_b64_e32 v[10:11], 0
	v_dual_mov_b32 v22, 0 :: v_dual_mov_b32 v23, 0
	s_delay_alu instid0(VALU_DEP_4)
	v_cmp_gt_u32_e64 s4, s26, v4
	s_and_saveexec_b32 s2, s4
	s_cbranch_execz .LBB160_40
; %bb.39:
	s_clause 0x1
	global_load_b32 v1, v0, s[8:9] offset:2048 scale_offset
	global_load_b32 v6, v0, s[22:23] offset:2048 scale_offset
	v_mov_b32_e32 v5, 0
	s_delay_alu instid0(VALU_DEP_1)
	v_add_nc_u64_e32 v[10:11], s[20:21], v[4:5]
	s_wait_loadcnt 0x0
	v_cmp_ne_u32_e32 vcc_lo, v1, v6
	v_cndmask_b32_e64 v23, 0, 1, vcc_lo
.LBB160_40:
	;; [unrolled: 37-line block ×3, first 2 shown]
	s_or_b32 exec_lo, exec_lo, s27
	v_or_b32_e32 v18, 0x380, v0
	s_delay_alu instid0(VALU_DEP_1)
	v_cmp_gt_u32_e32 vcc_lo, s26, v18
	s_and_saveexec_b32 s27, vcc_lo
	s_cbranch_execnz .LBB160_63
; %bb.45:
	s_or_b32 exec_lo, exec_lo, s27
	s_and_saveexec_b32 s9, s7
	s_cbranch_execnz .LBB160_64
.LBB160_46:
	s_or_b32 exec_lo, exec_lo, s9
	s_and_saveexec_b32 s8, s6
	s_cbranch_execnz .LBB160_69
.LBB160_47:
	s_or_b32 exec_lo, exec_lo, s8
	s_and_saveexec_b32 s7, s5
	s_cbranch_execnz .LBB160_74
.LBB160_48:
	s_or_b32 exec_lo, exec_lo, s7
	s_and_saveexec_b32 s6, s4
	s_cbranch_execnz .LBB160_79
.LBB160_49:
	s_or_b32 exec_lo, exec_lo, s6
	s_and_saveexec_b32 s5, s3
	s_cbranch_execnz .LBB160_84
.LBB160_50:
	s_or_b32 exec_lo, exec_lo, s5
	s_and_saveexec_b32 s4, s2
	s_cbranch_execnz .LBB160_89
.LBB160_51:
	s_or_b32 exec_lo, exec_lo, s4
	s_and_saveexec_b32 s3, vcc_lo
	s_cbranch_execnz .LBB160_94
	s_branch .LBB160_99
.LBB160_52:
                                        ; implicit-def: $vgpr2_vgpr3
                                        ; implicit-def: $vgpr20
	s_cbranch_execz .LBB160_154
; %bb.53:
	v_mov_b64_e32 v[8:9], 0
	v_mov_b64_e32 v[2:3], 0
	v_dual_mov_b32 v13, 0 :: v_dual_mov_b32 v20, 0
	s_sub_co_i32 s20, s14, s20
	s_mov_b32 s2, exec_lo
	v_cmpx_gt_u32_e64 s20, v0
	s_cbranch_execz .LBB160_55
; %bb.54:
	s_wait_dscnt 0x1
	global_load_b32 v4, v0, s[6:7] scale_offset
	s_wait_dscnt 0x0
	global_load_b32 v5, v0, s[8:9] scale_offset
	v_mov_b32_e32 v1, 0
	s_delay_alu instid0(VALU_DEP_1)
	v_add_nc_u64_e32 v[2:3], s[4:5], v[0:1]
	s_wait_loadcnt 0x0
	v_cmp_ne_u32_e32 vcc_lo, v4, v5
	v_cndmask_b32_e64 v20, 0, 1, vcc_lo
.LBB160_55:
	s_or_b32 exec_lo, exec_lo, s2
	s_wait_dscnt 0x1
	v_or_b32_e32 v4, 0x80, v0
	s_delay_alu instid0(VALU_DEP_1)
	v_cmp_gt_u32_e64 s3, s20, v4
	s_and_saveexec_b32 s2, s3
	s_cbranch_execz .LBB160_57
; %bb.56:
	s_clause 0x1
	global_load_b32 v1, v0, s[6:7] offset:512 scale_offset
	global_load_b32 v6, v0, s[8:9] offset:512 scale_offset
	s_wait_dscnt 0x0
	v_mov_b32_e32 v5, 0
	s_delay_alu instid0(VALU_DEP_1)
	v_add_nc_u64_e32 v[8:9], s[4:5], v[4:5]
	s_wait_loadcnt 0x0
	v_cmp_ne_u32_e32 vcc_lo, v1, v6
	v_cndmask_b32_e64 v13, 0, 1, vcc_lo
.LBB160_57:
	s_or_b32 exec_lo, exec_lo, s2
	v_or_b32_e32 v10, 0x100, v0
	s_wait_dscnt 0x0
	v_mov_b64_e32 v[4:5], 0
	v_mov_b64_e32 v[6:7], 0
	v_dual_mov_b32 v1, 0 :: v_dual_mov_b32 v12, 0
	v_cmp_gt_u32_e64 s2, s20, v10
	s_and_saveexec_b32 s21, s2
	s_cbranch_execz .LBB160_59
; %bb.58:
	s_clause 0x1
	global_load_b32 v12, v0, s[6:7] offset:1024 scale_offset
	global_load_b32 v14, v0, s[8:9] offset:1024 scale_offset
	v_mov_b32_e32 v11, 0
	s_delay_alu instid0(VALU_DEP_1)
	v_add_nc_u64_e32 v[6:7], s[4:5], v[10:11]
	s_wait_loadcnt 0x0
	v_cmp_ne_u32_e32 vcc_lo, v12, v14
	v_cndmask_b32_e64 v12, 0, 1, vcc_lo
.LBB160_59:
	s_or_b32 exec_lo, exec_lo, s21
	v_or_b32_e32 v10, 0x180, v0
	s_delay_alu instid0(VALU_DEP_1)
	v_cmp_gt_u32_e32 vcc_lo, s20, v10
	s_and_saveexec_b32 s21, vcc_lo
	s_cbranch_execnz .LBB160_119
; %bb.60:
	s_or_b32 exec_lo, exec_lo, s21
	s_and_saveexec_b32 s5, s3
	s_cbranch_execnz .LBB160_120
.LBB160_61:
	s_or_b32 exec_lo, exec_lo, s5
	s_and_saveexec_b32 s4, s2
	s_cbranch_execnz .LBB160_125
.LBB160_62:
	s_or_b32 exec_lo, exec_lo, s4
	s_and_saveexec_b32 s3, vcc_lo
	s_cbranch_execnz .LBB160_130
	s_branch .LBB160_135
.LBB160_63:
	s_clause 0x1
	global_load_b32 v1, v0, s[8:9] offset:3584 scale_offset
	global_load_b32 v27, v0, s[22:23] offset:3584 scale_offset
	v_mov_b32_e32 v19, 0
	s_delay_alu instid0(VALU_DEP_1) | instskip(SKIP_2) | instid1(VALU_DEP_1)
	v_add_nc_u64_e32 v[4:5], s[20:21], v[18:19]
	s_wait_loadcnt 0x0
	v_cmp_ne_u32_e64 s8, v1, v27
	v_cndmask_b32_e64 v1, 0, 1, s8
	s_or_b32 exec_lo, exec_lo, s27
	s_and_saveexec_b32 s9, s7
	s_cbranch_execz .LBB160_46
.LBB160_64:
	v_and_b32_e32 v18, 1, v20
	v_and_b32_e32 v19, 1, v26
                                        ; implicit-def: $vgpr20
	s_delay_alu instid0(VALU_DEP_2) | instskip(NEXT) | instid1(VALU_DEP_2)
	v_cmp_eq_u32_e64 s7, 1, v18
	v_cmp_eq_u32_e64 s8, 1, v19
	s_and_b32 s8, s7, s8
	s_delay_alu instid0(SALU_CYCLE_1) | instskip(NEXT) | instid1(SALU_CYCLE_1)
	s_xor_b32 s8, s8, -1
	s_and_saveexec_b32 s20, s8
	s_delay_alu instid0(SALU_CYCLE_1)
	s_xor_b32 s8, exec_lo, s20
; %bb.65:
	v_and_b32_e32 v18, 0xffff, v26
	v_dual_cndmask_b32 v3, v17, v3, s7 :: v_dual_cndmask_b32 v2, v16, v2, s7
                                        ; implicit-def: $vgpr16_vgpr17
	s_delay_alu instid0(VALU_DEP_2)
	v_cndmask_b32_e64 v20, v18, 1, s7
; %bb.66:
	s_and_not1_saveexec_b32 s7, s8
	s_cbranch_execz .LBB160_68
; %bb.67:
	s_delay_alu instid0(VALU_DEP_2)
	v_min_i64 v[2:3], v[16:17], v[2:3]
	v_mov_b32_e32 v20, 1
.LBB160_68:
	s_or_b32 exec_lo, exec_lo, s7
	s_delay_alu instid0(SALU_CYCLE_1)
	s_or_b32 exec_lo, exec_lo, s9
	s_and_saveexec_b32 s8, s6
	s_cbranch_execz .LBB160_47
.LBB160_69:
	v_and_b32_e32 v16, 1, v20
	v_and_b32_e32 v17, 1, v25
                                        ; implicit-def: $vgpr20
	s_delay_alu instid0(VALU_DEP_2) | instskip(NEXT) | instid1(VALU_DEP_2)
	v_cmp_eq_u32_e64 s6, 1, v16
	v_cmp_eq_u32_e64 s7, 1, v17
	s_and_b32 s7, s6, s7
	s_delay_alu instid0(SALU_CYCLE_1) | instskip(NEXT) | instid1(SALU_CYCLE_1)
	s_xor_b32 s7, s7, -1
	s_and_saveexec_b32 s9, s7
	s_delay_alu instid0(SALU_CYCLE_1)
	s_xor_b32 s7, exec_lo, s9
; %bb.70:
	v_and_b32_e32 v16, 0xffff, v25
	v_dual_cndmask_b32 v3, v15, v3, s6 :: v_dual_cndmask_b32 v2, v14, v2, s6
                                        ; implicit-def: $vgpr14_vgpr15
	s_delay_alu instid0(VALU_DEP_2)
	v_cndmask_b32_e64 v20, v16, 1, s6
; %bb.71:
	s_and_not1_saveexec_b32 s6, s7
	s_cbranch_execz .LBB160_73
; %bb.72:
	s_delay_alu instid0(VALU_DEP_2)
	v_min_i64 v[2:3], v[14:15], v[2:3]
	v_mov_b32_e32 v20, 1
.LBB160_73:
	s_or_b32 exec_lo, exec_lo, s6
	s_delay_alu instid0(SALU_CYCLE_1)
	s_or_b32 exec_lo, exec_lo, s8
	s_and_saveexec_b32 s7, s5
	s_cbranch_execz .LBB160_48
.LBB160_74:
	v_and_b32_e32 v14, 1, v20
	v_and_b32_e32 v15, 1, v24
                                        ; implicit-def: $vgpr20
	s_delay_alu instid0(VALU_DEP_2) | instskip(NEXT) | instid1(VALU_DEP_2)
	v_cmp_eq_u32_e64 s5, 1, v14
	v_cmp_eq_u32_e64 s6, 1, v15
	s_and_b32 s6, s5, s6
	s_delay_alu instid0(SALU_CYCLE_1) | instskip(NEXT) | instid1(SALU_CYCLE_1)
	s_xor_b32 s6, s6, -1
	s_and_saveexec_b32 s8, s6
	s_delay_alu instid0(SALU_CYCLE_1)
	s_xor_b32 s6, exec_lo, s8
; %bb.75:
	v_and_b32_e32 v14, 0xffff, v24
	v_dual_cndmask_b32 v3, v13, v3, s5 :: v_dual_cndmask_b32 v2, v12, v2, s5
                                        ; implicit-def: $vgpr12_vgpr13
	s_delay_alu instid0(VALU_DEP_2)
	v_cndmask_b32_e64 v20, v14, 1, s5
; %bb.76:
	s_and_not1_saveexec_b32 s5, s6
	s_cbranch_execz .LBB160_78
; %bb.77:
	s_delay_alu instid0(VALU_DEP_2)
	v_min_i64 v[2:3], v[12:13], v[2:3]
	v_mov_b32_e32 v20, 1
.LBB160_78:
	s_or_b32 exec_lo, exec_lo, s5
	s_delay_alu instid0(SALU_CYCLE_1)
	s_or_b32 exec_lo, exec_lo, s7
	s_and_saveexec_b32 s6, s4
	s_cbranch_execz .LBB160_49
.LBB160_79:
	v_and_b32_e32 v12, 1, v20
	v_and_b32_e32 v13, 1, v23
                                        ; implicit-def: $vgpr20
	s_delay_alu instid0(VALU_DEP_2) | instskip(NEXT) | instid1(VALU_DEP_2)
	v_cmp_eq_u32_e64 s4, 1, v12
	v_cmp_eq_u32_e64 s5, 1, v13
	s_and_b32 s5, s4, s5
	s_delay_alu instid0(SALU_CYCLE_1) | instskip(NEXT) | instid1(SALU_CYCLE_1)
	s_xor_b32 s5, s5, -1
	s_and_saveexec_b32 s7, s5
	s_delay_alu instid0(SALU_CYCLE_1)
	s_xor_b32 s5, exec_lo, s7
; %bb.80:
	v_and_b32_e32 v12, 0xffff, v23
	v_dual_cndmask_b32 v3, v11, v3, s4 :: v_dual_cndmask_b32 v2, v10, v2, s4
                                        ; implicit-def: $vgpr10_vgpr11
	s_delay_alu instid0(VALU_DEP_2)
	v_cndmask_b32_e64 v20, v12, 1, s4
; %bb.81:
	s_and_not1_saveexec_b32 s4, s5
	s_cbranch_execz .LBB160_83
; %bb.82:
	s_delay_alu instid0(VALU_DEP_2)
	v_min_i64 v[2:3], v[10:11], v[2:3]
	v_mov_b32_e32 v20, 1
.LBB160_83:
	s_or_b32 exec_lo, exec_lo, s4
	s_delay_alu instid0(SALU_CYCLE_1)
	s_or_b32 exec_lo, exec_lo, s6
	s_and_saveexec_b32 s5, s3
	s_cbranch_execz .LBB160_50
.LBB160_84:
	v_and_b32_e32 v10, 1, v20
	v_and_b32_e32 v11, 1, v22
                                        ; implicit-def: $vgpr20
	s_delay_alu instid0(VALU_DEP_2) | instskip(NEXT) | instid1(VALU_DEP_2)
	v_cmp_eq_u32_e64 s3, 1, v10
	v_cmp_eq_u32_e64 s4, 1, v11
	s_and_b32 s4, s3, s4
	s_delay_alu instid0(SALU_CYCLE_1) | instskip(NEXT) | instid1(SALU_CYCLE_1)
	s_xor_b32 s4, s4, -1
	s_and_saveexec_b32 s6, s4
	s_delay_alu instid0(SALU_CYCLE_1)
	s_xor_b32 s4, exec_lo, s6
; %bb.85:
	v_and_b32_e32 v10, 0xffff, v22
	v_dual_cndmask_b32 v3, v9, v3, s3 :: v_dual_cndmask_b32 v2, v8, v2, s3
                                        ; implicit-def: $vgpr8_vgpr9
	s_delay_alu instid0(VALU_DEP_2)
	v_cndmask_b32_e64 v20, v10, 1, s3
; %bb.86:
	s_and_not1_saveexec_b32 s3, s4
	s_cbranch_execz .LBB160_88
; %bb.87:
	s_delay_alu instid0(VALU_DEP_2)
	v_min_i64 v[2:3], v[8:9], v[2:3]
	v_mov_b32_e32 v20, 1
.LBB160_88:
	s_or_b32 exec_lo, exec_lo, s3
	s_delay_alu instid0(SALU_CYCLE_1)
	s_or_b32 exec_lo, exec_lo, s5
	s_and_saveexec_b32 s4, s2
	s_cbranch_execz .LBB160_51
.LBB160_89:
	v_and_b32_e32 v8, 1, v20
	v_and_b32_e32 v9, 1, v21
                                        ; implicit-def: $vgpr20
	s_delay_alu instid0(VALU_DEP_2) | instskip(NEXT) | instid1(VALU_DEP_2)
	v_cmp_eq_u32_e64 s2, 1, v8
	v_cmp_eq_u32_e64 s3, 1, v9
	s_and_b32 s3, s2, s3
	s_delay_alu instid0(SALU_CYCLE_1) | instskip(NEXT) | instid1(SALU_CYCLE_1)
	s_xor_b32 s3, s3, -1
	s_and_saveexec_b32 s5, s3
	s_delay_alu instid0(SALU_CYCLE_1)
	s_xor_b32 s3, exec_lo, s5
; %bb.90:
	v_and_b32_e32 v8, 0xffff, v21
	v_dual_cndmask_b32 v3, v7, v3, s2 :: v_dual_cndmask_b32 v2, v6, v2, s2
                                        ; implicit-def: $vgpr6_vgpr7
	s_delay_alu instid0(VALU_DEP_2)
	v_cndmask_b32_e64 v20, v8, 1, s2
; %bb.91:
	s_and_not1_saveexec_b32 s2, s3
	s_cbranch_execz .LBB160_93
; %bb.92:
	s_delay_alu instid0(VALU_DEP_2)
	v_min_i64 v[2:3], v[6:7], v[2:3]
	v_mov_b32_e32 v20, 1
.LBB160_93:
	s_or_b32 exec_lo, exec_lo, s2
	s_delay_alu instid0(SALU_CYCLE_1)
	s_or_b32 exec_lo, exec_lo, s4
	s_and_saveexec_b32 s3, vcc_lo
	s_cbranch_execz .LBB160_99
.LBB160_94:
	v_and_b32_e32 v6, 1, v20
	v_and_b32_e32 v7, 1, v1
                                        ; implicit-def: $vgpr20
	s_delay_alu instid0(VALU_DEP_2) | instskip(NEXT) | instid1(VALU_DEP_2)
	v_cmp_eq_u32_e32 vcc_lo, 1, v6
	v_cmp_eq_u32_e64 s2, 1, v7
	s_and_b32 s2, vcc_lo, s2
	s_delay_alu instid0(SALU_CYCLE_1) | instskip(NEXT) | instid1(SALU_CYCLE_1)
	s_xor_b32 s2, s2, -1
	s_and_saveexec_b32 s4, s2
	s_delay_alu instid0(SALU_CYCLE_1)
	s_xor_b32 s2, exec_lo, s4
; %bb.95:
	v_and_b32_e32 v1, 0xffff, v1
	v_dual_cndmask_b32 v3, v5, v3 :: v_dual_cndmask_b32 v2, v4, v2
                                        ; implicit-def: $vgpr4_vgpr5
	s_delay_alu instid0(VALU_DEP_2)
	v_cndmask_b32_e64 v20, v1, 1, vcc_lo
; %bb.96:
	s_and_not1_saveexec_b32 s2, s2
	s_cbranch_execz .LBB160_98
; %bb.97:
	s_delay_alu instid0(VALU_DEP_2)
	v_min_i64 v[2:3], v[4:5], v[2:3]
	v_mov_b32_e32 v20, 1
.LBB160_98:
	s_or_b32 exec_lo, exec_lo, s2
.LBB160_99:
	s_delay_alu instid0(SALU_CYCLE_1) | instskip(SKIP_4) | instid1(VALU_DEP_2)
	s_or_b32 exec_lo, exec_lo, s3
	v_mbcnt_lo_u32_b32 v1, -1, 0
	v_and_b32_e32 v6, 0x60, v0
	s_min_u32 s3, s26, 0x80
	s_mov_b32 s2, exec_lo
	v_cmp_ne_u32_e32 vcc_lo, 31, v1
	s_delay_alu instid0(VALU_DEP_2) | instskip(SKIP_2) | instid1(VALU_DEP_1)
	v_sub_nc_u32_e64 v6, s3, v6 clamp
	v_add_nc_u32_e32 v8, 1, v1
	v_add_co_ci_u32_e64 v4, null, 0, v1, vcc_lo
	v_lshlrev_b32_e32 v5, 2, v4
	ds_bpermute_b32 v7, v5, v20
	ds_bpermute_b32 v4, v5, v2
	;; [unrolled: 1-line block ×3, first 2 shown]
	v_cmpx_lt_u32_e64 v8, v6
	s_xor_b32 s4, exec_lo, s2
	s_cbranch_execz .LBB160_101
; %bb.100:
	s_wait_dscnt 0x0
	v_min_i64 v[8:9], v[4:5], v[2:3]
	v_and_b32_e32 v10, 1, v20
	s_delay_alu instid0(VALU_DEP_1) | instskip(SKIP_3) | instid1(VALU_DEP_3)
	v_cmp_eq_u32_e32 vcc_lo, 1, v10
	v_and_b32_e32 v10, v7, v20
	v_and_b32_e32 v7, 0xff, v7
	v_dual_cndmask_b32 v2, v4, v2 :: v_dual_cndmask_b32 v3, v5, v3
	v_cmp_eq_u32_e64 s2, 0, v10
	s_delay_alu instid0(VALU_DEP_3) | instskip(NEXT) | instid1(VALU_DEP_1)
	v_cndmask_b32_e64 v4, v7, 1, vcc_lo
	v_dual_cndmask_b32 v20, 1, v4, s2 :: v_dual_cndmask_b32 v3, v9, v3, s2
	s_delay_alu instid0(VALU_DEP_4)
	v_cndmask_b32_e64 v2, v8, v2, s2
.LBB160_101:
	s_or_b32 exec_lo, exec_lo, s4
	v_cmp_gt_u32_e32 vcc_lo, 30, v1
	v_add_nc_u32_e32 v8, 2, v1
	s_mov_b32 s4, exec_lo
	s_wait_dscnt 0x1
	v_cndmask_b32_e64 v4, 0, 2, vcc_lo
	s_wait_dscnt 0x0
	s_delay_alu instid0(VALU_DEP_1)
	v_add_lshl_u32 v5, v4, v1, 2
	ds_bpermute_b32 v7, v5, v20
	ds_bpermute_b32 v4, v5, v2
	ds_bpermute_b32 v5, v5, v3
	v_cmpx_lt_u32_e64 v8, v6
	s_cbranch_execz .LBB160_103
; %bb.102:
	s_wait_dscnt 0x0
	v_min_i64 v[8:9], v[4:5], v[2:3]
	v_and_b32_e32 v10, 1, v20
	s_delay_alu instid0(VALU_DEP_1) | instskip(SKIP_3) | instid1(VALU_DEP_3)
	v_cmp_eq_u32_e32 vcc_lo, 1, v10
	v_bitop3_b32 v10, v20, 1, v7 bitop3:0x80
	v_and_b32_e32 v7, 0xff, v7
	v_cndmask_b32_e32 v2, v4, v2, vcc_lo
	v_cmp_eq_u32_e64 s2, 0, v10
	v_cndmask_b32_e32 v3, v5, v3, vcc_lo
	s_delay_alu instid0(VALU_DEP_4) | instskip(NEXT) | instid1(VALU_DEP_1)
	v_cndmask_b32_e64 v4, v7, 1, vcc_lo
	v_dual_cndmask_b32 v20, 1, v4, s2 :: v_dual_cndmask_b32 v2, v8, v2, s2
	s_delay_alu instid0(VALU_DEP_3)
	v_cndmask_b32_e64 v3, v9, v3, s2
.LBB160_103:
	s_or_b32 exec_lo, exec_lo, s4
	v_cmp_gt_u32_e32 vcc_lo, 28, v1
	v_add_nc_u32_e32 v8, 4, v1
	s_mov_b32 s4, exec_lo
	s_wait_dscnt 0x1
	v_cndmask_b32_e64 v4, 0, 4, vcc_lo
	s_wait_dscnt 0x0
	s_delay_alu instid0(VALU_DEP_1)
	v_add_lshl_u32 v5, v4, v1, 2
	ds_bpermute_b32 v7, v5, v20
	ds_bpermute_b32 v4, v5, v2
	ds_bpermute_b32 v5, v5, v3
	v_cmpx_lt_u32_e64 v8, v6
	s_cbranch_execz .LBB160_105
; %bb.104:
	s_wait_dscnt 0x0
	v_min_i64 v[8:9], v[4:5], v[2:3]
	v_and_b32_e32 v10, 1, v20
	s_delay_alu instid0(VALU_DEP_1) | instskip(SKIP_3) | instid1(VALU_DEP_3)
	v_cmp_eq_u32_e32 vcc_lo, 1, v10
	v_bitop3_b32 v10, v20, 1, v7 bitop3:0x80
	v_and_b32_e32 v7, 0xff, v7
	v_cndmask_b32_e32 v2, v4, v2, vcc_lo
	v_cmp_eq_u32_e64 s2, 0, v10
	v_cndmask_b32_e32 v3, v5, v3, vcc_lo
	s_delay_alu instid0(VALU_DEP_4) | instskip(NEXT) | instid1(VALU_DEP_1)
	v_cndmask_b32_e64 v4, v7, 1, vcc_lo
	v_dual_cndmask_b32 v20, 1, v4, s2 :: v_dual_cndmask_b32 v2, v8, v2, s2
	s_delay_alu instid0(VALU_DEP_3)
	v_cndmask_b32_e64 v3, v9, v3, s2
.LBB160_105:
	;; [unrolled: 31-line block ×3, first 2 shown]
	s_or_b32 exec_lo, exec_lo, s4
	s_wait_dscnt 0x2
	v_dual_lshlrev_b32 v7, 2, v1 :: v_dual_add_nc_u32 v9, 16, v1
	s_wait_dscnt 0x0
	s_delay_alu instid0(VALU_DEP_1) | instskip(NEXT) | instid1(VALU_DEP_2)
	v_or_b32_e32 v5, 64, v7
	v_cmp_lt_u32_e32 vcc_lo, v9, v6
	v_mov_b32_e32 v6, v20
	ds_bpermute_b32 v8, v5, v20
	ds_bpermute_b32 v4, v5, v2
	;; [unrolled: 1-line block ×3, first 2 shown]
	s_and_saveexec_b32 s4, vcc_lo
	s_cbranch_execz .LBB160_109
; %bb.108:
	s_wait_dscnt 0x0
	v_min_i64 v[10:11], v[4:5], v[2:3]
	v_and_b32_e32 v6, 1, v20
	v_bitop3_b32 v9, v20, 1, v8 bitop3:0x80
	s_delay_alu instid0(VALU_DEP_2) | instskip(NEXT) | instid1(VALU_DEP_2)
	v_cmp_eq_u32_e32 vcc_lo, 1, v6
	v_cmp_eq_u32_e64 s2, 0, v9
	v_cndmask_b32_e64 v6, v8, 1, vcc_lo
	v_dual_cndmask_b32 v3, v5, v3 :: v_dual_cndmask_b32 v2, v4, v2
	s_delay_alu instid0(VALU_DEP_2) | instskip(NEXT) | instid1(VALU_DEP_1)
	v_cndmask_b32_e64 v6, 1, v6, s2
	v_and_b32_e32 v20, 0xff, v6
	s_delay_alu instid0(VALU_DEP_3)
	v_dual_cndmask_b32 v3, v11, v3, s2 :: v_dual_cndmask_b32 v2, v10, v2, s2
.LBB160_109:
	s_or_b32 exec_lo, exec_lo, s4
	s_delay_alu instid0(SALU_CYCLE_1)
	s_mov_b32 s2, exec_lo
	v_cmpx_eq_u32_e32 0, v1
	s_cbranch_execz .LBB160_111
; %bb.110:
	s_wait_dscnt 0x1
	v_lshrrev_b32_e32 v4, 1, v0
	s_delay_alu instid0(VALU_DEP_1)
	v_and_b32_e32 v4, 48, v4
	ds_store_b8 v4, v6 offset:256
	ds_store_b64 v4, v[2:3] offset:264
.LBB160_111:
	s_or_b32 exec_lo, exec_lo, s2
	s_delay_alu instid0(SALU_CYCLE_1)
	s_mov_b32 s4, exec_lo
	s_wait_dscnt 0x0
	s_barrier_signal -1
	s_barrier_wait -1
	v_cmpx_gt_u32_e32 4, v0
	s_cbranch_execz .LBB160_117
; %bb.112:
	v_dual_lshlrev_b32 v2, 4, v1 :: v_dual_bitop2_b32 v6, 3, v1 bitop3:0x40
	s_add_co_i32 s3, s3, 31
	s_mov_b32 s5, exec_lo
	s_lshr_b32 s3, s3, 5
	ds_load_u8 v8, v2 offset:256
	ds_load_b64 v[2:3], v2 offset:264
	v_cmp_ne_u32_e32 vcc_lo, 3, v6
	v_add_nc_u32_e32 v9, 1, v6
	v_add_co_ci_u32_e64 v1, null, 0, v1, vcc_lo
	s_delay_alu instid0(VALU_DEP_1)
	v_lshlrev_b32_e32 v5, 2, v1
	s_wait_dscnt 0x1
	v_and_b32_e32 v20, 0xff, v8
	s_wait_dscnt 0x0
	ds_bpermute_b32 v4, v5, v2
	ds_bpermute_b32 v1, v5, v20
	ds_bpermute_b32 v5, v5, v3
	v_cmpx_gt_u32_e64 s3, v9
	s_cbranch_execz .LBB160_114
; %bb.113:
	s_wait_dscnt 0x0
	v_min_i64 v[10:11], v[4:5], v[2:3]
	v_and_b32_e32 v8, 1, v8
	s_delay_alu instid0(VALU_DEP_1) | instskip(SKIP_3) | instid1(VALU_DEP_3)
	v_cmp_eq_u32_e32 vcc_lo, 1, v8
	v_bitop3_b32 v8, v20, 1, v1 bitop3:0x80
	v_and_b32_e32 v1, 0xff, v1
	v_cndmask_b32_e32 v2, v4, v2, vcc_lo
	v_cmp_eq_u32_e64 s2, 0, v8
	v_cndmask_b32_e32 v3, v5, v3, vcc_lo
	s_delay_alu instid0(VALU_DEP_4) | instskip(NEXT) | instid1(VALU_DEP_1)
	v_cndmask_b32_e64 v1, v1, 1, vcc_lo
	v_dual_cndmask_b32 v20, 1, v1, s2 :: v_dual_cndmask_b32 v2, v10, v2, s2
	s_delay_alu instid0(VALU_DEP_3)
	v_cndmask_b32_e64 v3, v11, v3, s2
.LBB160_114:
	s_or_b32 exec_lo, exec_lo, s5
	s_wait_dscnt 0x0
	v_dual_add_nc_u32 v6, 2, v6 :: v_dual_bitop2_b32 v5, 8, v7 bitop3:0x54
	ds_bpermute_b32 v1, v5, v20
	ds_bpermute_b32 v4, v5, v2
	;; [unrolled: 1-line block ×3, first 2 shown]
	v_cmp_gt_u32_e32 vcc_lo, s3, v6
	s_and_saveexec_b32 s3, vcc_lo
	s_cbranch_execz .LBB160_116
; %bb.115:
	s_wait_dscnt 0x0
	v_min_i64 v[6:7], v[4:5], v[2:3]
	v_and_b32_e32 v8, 1, v20
	s_delay_alu instid0(VALU_DEP_1) | instskip(SKIP_2) | instid1(VALU_DEP_2)
	v_cmp_eq_u32_e32 vcc_lo, 1, v8
	v_bitop3_b32 v8, v20, 1, v1 bitop3:0x80
	v_cndmask_b32_e32 v2, v4, v2, vcc_lo
	v_cmp_eq_u32_e64 s2, 0, v8
	v_cndmask_b32_e32 v3, v5, v3, vcc_lo
	v_cndmask_b32_e64 v1, v1, 1, vcc_lo
	s_delay_alu instid0(VALU_DEP_1) | instskip(NEXT) | instid1(VALU_DEP_3)
	v_dual_cndmask_b32 v20, 1, v1, s2 :: v_dual_cndmask_b32 v2, v6, v2, s2
	v_cndmask_b32_e64 v3, v7, v3, s2
.LBB160_116:
	s_or_b32 exec_lo, exec_lo, s3
.LBB160_117:
	s_delay_alu instid0(SALU_CYCLE_1)
	s_or_b32 exec_lo, exec_lo, s4
	v_cmp_eq_u32_e64 s2, 0, v0
	s_and_b32 vcc_lo, exec_lo, s25
	s_cbranch_vccnz .LBB160_17
.LBB160_118:
	s_branch .LBB160_211
.LBB160_119:
	s_clause 0x1
	global_load_b32 v1, v0, s[6:7] offset:1536 scale_offset
	global_load_b32 v14, v0, s[8:9] offset:1536 scale_offset
	v_mov_b32_e32 v11, 0
	s_delay_alu instid0(VALU_DEP_1) | instskip(SKIP_2) | instid1(VALU_DEP_1)
	v_add_nc_u64_e32 v[4:5], s[4:5], v[10:11]
	s_wait_loadcnt 0x0
	v_cmp_ne_u32_e64 s4, v1, v14
	v_cndmask_b32_e64 v1, 0, 1, s4
	s_or_b32 exec_lo, exec_lo, s21
	s_and_saveexec_b32 s5, s3
	s_cbranch_execz .LBB160_61
.LBB160_120:
	v_and_b32_e32 v10, 1, v20
	v_and_b32_e32 v11, 1, v13
                                        ; implicit-def: $vgpr20
	s_delay_alu instid0(VALU_DEP_2) | instskip(NEXT) | instid1(VALU_DEP_2)
	v_cmp_eq_u32_e64 s3, 1, v10
	v_cmp_eq_u32_e64 s4, 1, v11
	s_and_b32 s4, s3, s4
	s_delay_alu instid0(SALU_CYCLE_1) | instskip(NEXT) | instid1(SALU_CYCLE_1)
	s_xor_b32 s4, s4, -1
	s_and_saveexec_b32 s6, s4
	s_delay_alu instid0(SALU_CYCLE_1)
	s_xor_b32 s4, exec_lo, s6
; %bb.121:
	v_and_b32_e32 v10, 0xffff, v13
	v_dual_cndmask_b32 v3, v9, v3, s3 :: v_dual_cndmask_b32 v2, v8, v2, s3
                                        ; implicit-def: $vgpr8_vgpr9
	s_delay_alu instid0(VALU_DEP_2)
	v_cndmask_b32_e64 v20, v10, 1, s3
; %bb.122:
	s_and_not1_saveexec_b32 s3, s4
	s_cbranch_execz .LBB160_124
; %bb.123:
	s_delay_alu instid0(VALU_DEP_2)
	v_min_i64 v[2:3], v[8:9], v[2:3]
	v_mov_b32_e32 v20, 1
.LBB160_124:
	s_or_b32 exec_lo, exec_lo, s3
	s_delay_alu instid0(SALU_CYCLE_1)
	s_or_b32 exec_lo, exec_lo, s5
	s_and_saveexec_b32 s4, s2
	s_cbranch_execz .LBB160_62
.LBB160_125:
	v_and_b32_e32 v8, 1, v20
	v_and_b32_e32 v9, 1, v12
                                        ; implicit-def: $vgpr20
	s_delay_alu instid0(VALU_DEP_2) | instskip(NEXT) | instid1(VALU_DEP_2)
	v_cmp_eq_u32_e64 s2, 1, v8
	v_cmp_eq_u32_e64 s3, 1, v9
	s_and_b32 s3, s2, s3
	s_delay_alu instid0(SALU_CYCLE_1) | instskip(NEXT) | instid1(SALU_CYCLE_1)
	s_xor_b32 s3, s3, -1
	s_and_saveexec_b32 s5, s3
	s_delay_alu instid0(SALU_CYCLE_1)
	s_xor_b32 s3, exec_lo, s5
; %bb.126:
	v_and_b32_e32 v8, 0xffff, v12
	v_dual_cndmask_b32 v3, v7, v3, s2 :: v_dual_cndmask_b32 v2, v6, v2, s2
                                        ; implicit-def: $vgpr6_vgpr7
	s_delay_alu instid0(VALU_DEP_2)
	v_cndmask_b32_e64 v20, v8, 1, s2
; %bb.127:
	s_and_not1_saveexec_b32 s2, s3
	s_cbranch_execz .LBB160_129
; %bb.128:
	s_delay_alu instid0(VALU_DEP_2)
	v_min_i64 v[2:3], v[6:7], v[2:3]
	v_mov_b32_e32 v20, 1
.LBB160_129:
	s_or_b32 exec_lo, exec_lo, s2
	s_delay_alu instid0(SALU_CYCLE_1)
	s_or_b32 exec_lo, exec_lo, s4
	s_and_saveexec_b32 s3, vcc_lo
	s_cbranch_execz .LBB160_135
.LBB160_130:
	v_and_b32_e32 v6, 1, v20
	v_and_b32_e32 v7, 1, v1
                                        ; implicit-def: $vgpr20
	s_delay_alu instid0(VALU_DEP_2) | instskip(NEXT) | instid1(VALU_DEP_2)
	v_cmp_eq_u32_e32 vcc_lo, 1, v6
	v_cmp_eq_u32_e64 s2, 1, v7
	s_and_b32 s2, vcc_lo, s2
	s_delay_alu instid0(SALU_CYCLE_1) | instskip(NEXT) | instid1(SALU_CYCLE_1)
	s_xor_b32 s2, s2, -1
	s_and_saveexec_b32 s4, s2
	s_delay_alu instid0(SALU_CYCLE_1)
	s_xor_b32 s2, exec_lo, s4
; %bb.131:
	v_and_b32_e32 v1, 0xffff, v1
	v_dual_cndmask_b32 v3, v5, v3 :: v_dual_cndmask_b32 v2, v4, v2
                                        ; implicit-def: $vgpr4_vgpr5
	s_delay_alu instid0(VALU_DEP_2)
	v_cndmask_b32_e64 v20, v1, 1, vcc_lo
; %bb.132:
	s_and_not1_saveexec_b32 s2, s2
	s_cbranch_execz .LBB160_134
; %bb.133:
	s_delay_alu instid0(VALU_DEP_2)
	v_min_i64 v[2:3], v[4:5], v[2:3]
	v_mov_b32_e32 v20, 1
.LBB160_134:
	s_or_b32 exec_lo, exec_lo, s2
.LBB160_135:
	s_delay_alu instid0(SALU_CYCLE_1) | instskip(SKIP_4) | instid1(VALU_DEP_2)
	s_or_b32 exec_lo, exec_lo, s3
	v_mbcnt_lo_u32_b32 v1, -1, 0
	v_and_b32_e32 v6, 0x60, v0
	s_min_u32 s3, s20, 0x80
	s_mov_b32 s2, exec_lo
	v_cmp_ne_u32_e32 vcc_lo, 31, v1
	s_delay_alu instid0(VALU_DEP_2) | instskip(SKIP_2) | instid1(VALU_DEP_1)
	v_sub_nc_u32_e64 v6, s3, v6 clamp
	v_add_nc_u32_e32 v8, 1, v1
	v_add_co_ci_u32_e64 v4, null, 0, v1, vcc_lo
	v_lshlrev_b32_e32 v5, 2, v4
	ds_bpermute_b32 v7, v5, v20
	ds_bpermute_b32 v4, v5, v2
	;; [unrolled: 1-line block ×3, first 2 shown]
	v_cmpx_lt_u32_e64 v8, v6
	s_xor_b32 s4, exec_lo, s2
	s_cbranch_execz .LBB160_137
; %bb.136:
	s_wait_dscnt 0x0
	v_min_i64 v[8:9], v[4:5], v[2:3]
	v_and_b32_e32 v10, 1, v20
	s_delay_alu instid0(VALU_DEP_1) | instskip(SKIP_3) | instid1(VALU_DEP_3)
	v_cmp_eq_u32_e32 vcc_lo, 1, v10
	v_and_b32_e32 v10, v7, v20
	v_and_b32_e32 v7, 0xff, v7
	v_dual_cndmask_b32 v2, v4, v2 :: v_dual_cndmask_b32 v3, v5, v3
	v_cmp_eq_u32_e64 s2, 0, v10
	s_delay_alu instid0(VALU_DEP_3) | instskip(NEXT) | instid1(VALU_DEP_1)
	v_cndmask_b32_e64 v4, v7, 1, vcc_lo
	v_dual_cndmask_b32 v20, 1, v4, s2 :: v_dual_cndmask_b32 v3, v9, v3, s2
	s_delay_alu instid0(VALU_DEP_4)
	v_cndmask_b32_e64 v2, v8, v2, s2
.LBB160_137:
	s_or_b32 exec_lo, exec_lo, s4
	v_cmp_gt_u32_e32 vcc_lo, 30, v1
	v_add_nc_u32_e32 v8, 2, v1
	s_mov_b32 s4, exec_lo
	s_wait_dscnt 0x1
	v_cndmask_b32_e64 v4, 0, 2, vcc_lo
	s_wait_dscnt 0x0
	s_delay_alu instid0(VALU_DEP_1)
	v_add_lshl_u32 v5, v4, v1, 2
	ds_bpermute_b32 v7, v5, v20
	ds_bpermute_b32 v4, v5, v2
	ds_bpermute_b32 v5, v5, v3
	v_cmpx_lt_u32_e64 v8, v6
	s_cbranch_execz .LBB160_139
; %bb.138:
	s_wait_dscnt 0x0
	v_min_i64 v[8:9], v[4:5], v[2:3]
	v_and_b32_e32 v10, 1, v20
	s_delay_alu instid0(VALU_DEP_1) | instskip(SKIP_3) | instid1(VALU_DEP_3)
	v_cmp_eq_u32_e32 vcc_lo, 1, v10
	v_bitop3_b32 v10, v20, 1, v7 bitop3:0x80
	v_and_b32_e32 v7, 0xff, v7
	v_cndmask_b32_e32 v2, v4, v2, vcc_lo
	v_cmp_eq_u32_e64 s2, 0, v10
	v_cndmask_b32_e32 v3, v5, v3, vcc_lo
	s_delay_alu instid0(VALU_DEP_4) | instskip(NEXT) | instid1(VALU_DEP_1)
	v_cndmask_b32_e64 v4, v7, 1, vcc_lo
	v_dual_cndmask_b32 v20, 1, v4, s2 :: v_dual_cndmask_b32 v2, v8, v2, s2
	s_delay_alu instid0(VALU_DEP_3)
	v_cndmask_b32_e64 v3, v9, v3, s2
.LBB160_139:
	s_or_b32 exec_lo, exec_lo, s4
	v_cmp_gt_u32_e32 vcc_lo, 28, v1
	v_add_nc_u32_e32 v8, 4, v1
	s_mov_b32 s4, exec_lo
	s_wait_dscnt 0x1
	v_cndmask_b32_e64 v4, 0, 4, vcc_lo
	s_wait_dscnt 0x0
	s_delay_alu instid0(VALU_DEP_1)
	v_add_lshl_u32 v5, v4, v1, 2
	ds_bpermute_b32 v7, v5, v20
	ds_bpermute_b32 v4, v5, v2
	ds_bpermute_b32 v5, v5, v3
	v_cmpx_lt_u32_e64 v8, v6
	s_cbranch_execz .LBB160_141
; %bb.140:
	s_wait_dscnt 0x0
	v_min_i64 v[8:9], v[4:5], v[2:3]
	v_and_b32_e32 v10, 1, v20
	s_delay_alu instid0(VALU_DEP_1) | instskip(SKIP_3) | instid1(VALU_DEP_3)
	v_cmp_eq_u32_e32 vcc_lo, 1, v10
	v_bitop3_b32 v10, v20, 1, v7 bitop3:0x80
	v_and_b32_e32 v7, 0xff, v7
	v_cndmask_b32_e32 v2, v4, v2, vcc_lo
	v_cmp_eq_u32_e64 s2, 0, v10
	v_cndmask_b32_e32 v3, v5, v3, vcc_lo
	s_delay_alu instid0(VALU_DEP_4) | instskip(NEXT) | instid1(VALU_DEP_1)
	v_cndmask_b32_e64 v4, v7, 1, vcc_lo
	v_dual_cndmask_b32 v20, 1, v4, s2 :: v_dual_cndmask_b32 v2, v8, v2, s2
	s_delay_alu instid0(VALU_DEP_3)
	v_cndmask_b32_e64 v3, v9, v3, s2
.LBB160_141:
	;; [unrolled: 31-line block ×3, first 2 shown]
	s_or_b32 exec_lo, exec_lo, s4
	s_wait_dscnt 0x2
	v_dual_lshlrev_b32 v7, 2, v1 :: v_dual_add_nc_u32 v9, 16, v1
	s_wait_dscnt 0x0
	s_delay_alu instid0(VALU_DEP_1) | instskip(NEXT) | instid1(VALU_DEP_2)
	v_or_b32_e32 v5, 64, v7
	v_cmp_lt_u32_e32 vcc_lo, v9, v6
	v_mov_b32_e32 v6, v20
	ds_bpermute_b32 v8, v5, v20
	ds_bpermute_b32 v4, v5, v2
	ds_bpermute_b32 v5, v5, v3
	s_and_saveexec_b32 s4, vcc_lo
	s_cbranch_execz .LBB160_145
; %bb.144:
	s_wait_dscnt 0x0
	v_min_i64 v[10:11], v[4:5], v[2:3]
	v_and_b32_e32 v6, 1, v20
	v_bitop3_b32 v9, v20, 1, v8 bitop3:0x80
	s_delay_alu instid0(VALU_DEP_2) | instskip(NEXT) | instid1(VALU_DEP_2)
	v_cmp_eq_u32_e32 vcc_lo, 1, v6
	v_cmp_eq_u32_e64 s2, 0, v9
	v_cndmask_b32_e64 v6, v8, 1, vcc_lo
	v_dual_cndmask_b32 v3, v5, v3 :: v_dual_cndmask_b32 v2, v4, v2
	s_delay_alu instid0(VALU_DEP_2) | instskip(NEXT) | instid1(VALU_DEP_1)
	v_cndmask_b32_e64 v6, 1, v6, s2
	v_and_b32_e32 v20, 0xff, v6
	s_delay_alu instid0(VALU_DEP_3)
	v_dual_cndmask_b32 v3, v11, v3, s2 :: v_dual_cndmask_b32 v2, v10, v2, s2
.LBB160_145:
	s_or_b32 exec_lo, exec_lo, s4
	s_delay_alu instid0(SALU_CYCLE_1)
	s_mov_b32 s2, exec_lo
	v_cmpx_eq_u32_e32 0, v1
	s_cbranch_execz .LBB160_147
; %bb.146:
	s_wait_dscnt 0x1
	v_lshrrev_b32_e32 v4, 1, v0
	s_delay_alu instid0(VALU_DEP_1)
	v_and_b32_e32 v4, 48, v4
	ds_store_b8 v4, v6 offset:256
	ds_store_b64 v4, v[2:3] offset:264
.LBB160_147:
	s_or_b32 exec_lo, exec_lo, s2
	s_delay_alu instid0(SALU_CYCLE_1)
	s_mov_b32 s4, exec_lo
	s_wait_dscnt 0x0
	s_barrier_signal -1
	s_barrier_wait -1
	v_cmpx_gt_u32_e32 4, v0
	s_cbranch_execz .LBB160_153
; %bb.148:
	v_dual_lshlrev_b32 v2, 4, v1 :: v_dual_bitop2_b32 v6, 3, v1 bitop3:0x40
	s_add_co_i32 s3, s3, 31
	s_mov_b32 s5, exec_lo
	s_lshr_b32 s3, s3, 5
	ds_load_u8 v8, v2 offset:256
	ds_load_b64 v[2:3], v2 offset:264
	v_cmp_ne_u32_e32 vcc_lo, 3, v6
	v_add_nc_u32_e32 v9, 1, v6
	v_add_co_ci_u32_e64 v1, null, 0, v1, vcc_lo
	s_delay_alu instid0(VALU_DEP_1)
	v_lshlrev_b32_e32 v5, 2, v1
	s_wait_dscnt 0x1
	v_and_b32_e32 v20, 0xff, v8
	s_wait_dscnt 0x0
	ds_bpermute_b32 v4, v5, v2
	ds_bpermute_b32 v1, v5, v20
	ds_bpermute_b32 v5, v5, v3
	v_cmpx_gt_u32_e64 s3, v9
	s_cbranch_execz .LBB160_150
; %bb.149:
	s_wait_dscnt 0x0
	v_min_i64 v[10:11], v[4:5], v[2:3]
	v_and_b32_e32 v8, 1, v8
	s_delay_alu instid0(VALU_DEP_1) | instskip(SKIP_3) | instid1(VALU_DEP_3)
	v_cmp_eq_u32_e32 vcc_lo, 1, v8
	v_bitop3_b32 v8, v20, 1, v1 bitop3:0x80
	v_and_b32_e32 v1, 0xff, v1
	v_cndmask_b32_e32 v2, v4, v2, vcc_lo
	v_cmp_eq_u32_e64 s2, 0, v8
	v_cndmask_b32_e32 v3, v5, v3, vcc_lo
	s_delay_alu instid0(VALU_DEP_4) | instskip(NEXT) | instid1(VALU_DEP_1)
	v_cndmask_b32_e64 v1, v1, 1, vcc_lo
	v_dual_cndmask_b32 v20, 1, v1, s2 :: v_dual_cndmask_b32 v2, v10, v2, s2
	s_delay_alu instid0(VALU_DEP_3)
	v_cndmask_b32_e64 v3, v11, v3, s2
.LBB160_150:
	s_or_b32 exec_lo, exec_lo, s5
	s_wait_dscnt 0x0
	v_dual_add_nc_u32 v6, 2, v6 :: v_dual_bitop2_b32 v5, 8, v7 bitop3:0x54
	ds_bpermute_b32 v1, v5, v20
	ds_bpermute_b32 v4, v5, v2
	;; [unrolled: 1-line block ×3, first 2 shown]
	v_cmp_gt_u32_e32 vcc_lo, s3, v6
	s_and_saveexec_b32 s3, vcc_lo
	s_cbranch_execz .LBB160_152
; %bb.151:
	s_wait_dscnt 0x0
	v_min_i64 v[6:7], v[4:5], v[2:3]
	v_and_b32_e32 v8, 1, v20
	s_delay_alu instid0(VALU_DEP_1) | instskip(SKIP_2) | instid1(VALU_DEP_2)
	v_cmp_eq_u32_e32 vcc_lo, 1, v8
	v_bitop3_b32 v8, v20, 1, v1 bitop3:0x80
	v_cndmask_b32_e32 v2, v4, v2, vcc_lo
	v_cmp_eq_u32_e64 s2, 0, v8
	v_cndmask_b32_e32 v3, v5, v3, vcc_lo
	v_cndmask_b32_e64 v1, v1, 1, vcc_lo
	s_delay_alu instid0(VALU_DEP_1) | instskip(NEXT) | instid1(VALU_DEP_3)
	v_dual_cndmask_b32 v20, 1, v1, s2 :: v_dual_cndmask_b32 v2, v6, v2, s2
	v_cndmask_b32_e64 v3, v7, v3, s2
.LBB160_152:
	s_or_b32 exec_lo, exec_lo, s3
.LBB160_153:
	s_delay_alu instid0(SALU_CYCLE_1)
	s_or_b32 exec_lo, exec_lo, s4
.LBB160_154:
	v_cmp_eq_u32_e64 s2, 0, v0
	s_branch .LBB160_211
.LBB160_155:
	s_cmp_gt_i32 s24, 1
	s_cbranch_scc0 .LBB160_167
; %bb.156:
	s_cmp_eq_u32 s24, 2
	s_cbranch_scc0 .LBB160_168
; %bb.157:
	s_bfe_u32 s2, ttmp6, 0x4000c
	s_and_b32 s3, ttmp6, 15
	s_add_co_i32 s2, s2, 1
	s_getreg_b32 s4, hwreg(HW_REG_IB_STS2, 6, 4)
	s_mul_i32 s2, ttmp9, s2
	s_mov_b32 s11, 0
	s_add_co_i32 s3, s3, s2
	s_cmp_eq_u32 s4, 0
	s_mov_b32 s21, s11
	s_cselect_b32 s10, ttmp9, s3
	s_lshr_b64 s[2:3], s[14:15], 8
	s_lshl_b32 s20, s10, 8
	s_delay_alu instid0(SALU_CYCLE_1)
	s_lshl_b64 s[6:7], s[20:21], 2
	s_cmp_lg_u64 s[2:3], s[10:11]
	s_add_nc_u64 s[4:5], s[16:17], s[6:7]
	s_add_nc_u64 s[8:9], s[18:19], s[6:7]
	;; [unrolled: 1-line block ×3, first 2 shown]
	s_cbranch_scc0 .LBB160_169
; %bb.158:
	s_clause 0x3
	global_load_b32 v6, v0, s[4:5] scale_offset
	global_load_b32 v7, v0, s[8:9] scale_offset
	global_load_b32 v8, v0, s[8:9] offset:512 scale_offset
	global_load_b32 v9, v0, s[4:5] offset:512 scale_offset
	s_wait_loadcnt 0x2
	v_cmp_ne_u32_e32 vcc_lo, v6, v7
	s_wait_dscnt 0x2
	v_mov_b32_e32 v1, 0
	s_wait_loadcnt 0x0
	v_cmp_ne_u32_e64 s2, v9, v8
	s_delay_alu instid0(VALU_DEP_2) | instskip(SKIP_1) | instid1(VALU_DEP_1)
	v_add_nc_u64_e32 v[2:3], s[6:7], v[0:1]
	s_wait_dscnt 0x0
	v_add_nc_u64_e32 v[4:5], 0x80, v[2:3]
	s_delay_alu instid0(VALU_DEP_1) | instskip(SKIP_3) | instid1(VALU_DEP_2)
	v_dual_cndmask_b32 v3, v5, v3 :: v_dual_cndmask_b32 v2, v4, v2
	s_or_b32 vcc_lo, vcc_lo, s2
	s_mov_b32 s2, exec_lo
	v_cndmask_b32_e64 v8, 0, 1, vcc_lo
	v_mov_b32_dpp v5, v3 quad_perm:[1,0,3,2] row_mask:0xf bank_mask:0xf
	s_delay_alu instid0(VALU_DEP_2) | instskip(NEXT) | instid1(VALU_DEP_1)
	v_mov_b32_dpp v9, v8 quad_perm:[1,0,3,2] row_mask:0xf bank_mask:0xf
	v_and_b32_e32 v9, 1, v9
	v_mov_b32_dpp v4, v2 quad_perm:[1,0,3,2] row_mask:0xf bank_mask:0xf
	s_delay_alu instid0(VALU_DEP_1) | instskip(NEXT) | instid1(VALU_DEP_1)
	v_min_i64 v[6:7], v[2:3], v[4:5]
	v_dual_cndmask_b32 v4, v4, v6 :: v_dual_cndmask_b32 v5, v5, v7
	s_delay_alu instid0(VALU_DEP_4) | instskip(NEXT) | instid1(VALU_DEP_2)
	v_cmp_eq_u32_e32 vcc_lo, 1, v9
	v_dual_cndmask_b32 v3, v3, v5 :: v_dual_cndmask_b32 v2, v2, v4
	v_cndmask_b32_e64 v8, v8, 1, vcc_lo
	s_delay_alu instid0(VALU_DEP_2) | instskip(NEXT) | instid1(VALU_DEP_3)
	v_mov_b32_dpp v5, v3 quad_perm:[2,3,0,1] row_mask:0xf bank_mask:0xf
	v_mov_b32_dpp v4, v2 quad_perm:[2,3,0,1] row_mask:0xf bank_mask:0xf
	s_delay_alu instid0(VALU_DEP_3) | instskip(NEXT) | instid1(VALU_DEP_2)
	v_mov_b32_dpp v10, v8 quad_perm:[2,3,0,1] row_mask:0xf bank_mask:0xf
	v_min_i64 v[6:7], v[2:3], v[4:5]
	v_and_b32_e32 v9, 1, v8
	s_delay_alu instid0(VALU_DEP_1) | instskip(NEXT) | instid1(VALU_DEP_3)
	v_cmp_eq_u32_e32 vcc_lo, 1, v9
	v_dual_cndmask_b32 v5, v5, v7, vcc_lo :: v_dual_bitop2_b32 v9, 1, v10 bitop3:0x40
	s_delay_alu instid0(VALU_DEP_4) | instskip(NEXT) | instid1(VALU_DEP_2)
	v_cndmask_b32_e32 v4, v4, v6, vcc_lo
	v_cmp_eq_u32_e32 vcc_lo, 1, v9
	s_delay_alu instid0(VALU_DEP_2) | instskip(SKIP_1) | instid1(VALU_DEP_2)
	v_dual_cndmask_b32 v3, v3, v5 :: v_dual_cndmask_b32 v2, v2, v4
	v_cndmask_b32_e64 v8, v8, 1, vcc_lo
	v_mov_b32_dpp v5, v3 row_ror:4 row_mask:0xf bank_mask:0xf
	s_delay_alu instid0(VALU_DEP_3) | instskip(NEXT) | instid1(VALU_DEP_3)
	v_mov_b32_dpp v4, v2 row_ror:4 row_mask:0xf bank_mask:0xf
	v_mov_b32_dpp v10, v8 row_ror:4 row_mask:0xf bank_mask:0xf
	s_delay_alu instid0(VALU_DEP_2) | instskip(SKIP_1) | instid1(VALU_DEP_1)
	v_min_i64 v[6:7], v[2:3], v[4:5]
	v_and_b32_e32 v9, 1, v8
	v_cmp_eq_u32_e32 vcc_lo, 1, v9
	s_delay_alu instid0(VALU_DEP_3) | instskip(NEXT) | instid1(VALU_DEP_4)
	v_dual_cndmask_b32 v5, v5, v7, vcc_lo :: v_dual_bitop2_b32 v9, 1, v10 bitop3:0x40
	v_cndmask_b32_e32 v4, v4, v6, vcc_lo
	s_delay_alu instid0(VALU_DEP_2) | instskip(NEXT) | instid1(VALU_DEP_2)
	v_cmp_eq_u32_e32 vcc_lo, 1, v9
	v_dual_cndmask_b32 v3, v3, v5 :: v_dual_cndmask_b32 v2, v2, v4
	v_cndmask_b32_e64 v8, v8, 1, vcc_lo
	s_delay_alu instid0(VALU_DEP_2) | instskip(NEXT) | instid1(VALU_DEP_3)
	v_mov_b32_dpp v5, v3 row_ror:8 row_mask:0xf bank_mask:0xf
	v_mov_b32_dpp v4, v2 row_ror:8 row_mask:0xf bank_mask:0xf
	s_delay_alu instid0(VALU_DEP_3) | instskip(NEXT) | instid1(VALU_DEP_2)
	v_mov_b32_dpp v10, v8 row_ror:8 row_mask:0xf bank_mask:0xf
	v_min_i64 v[6:7], v[2:3], v[4:5]
	v_and_b32_e32 v9, 1, v8
	s_delay_alu instid0(VALU_DEP_1) | instskip(NEXT) | instid1(VALU_DEP_3)
	v_cmp_eq_u32_e32 vcc_lo, 1, v9
	v_dual_cndmask_b32 v5, v5, v7, vcc_lo :: v_dual_bitop2_b32 v9, 1, v10 bitop3:0x40
	s_delay_alu instid0(VALU_DEP_4) | instskip(NEXT) | instid1(VALU_DEP_2)
	v_cndmask_b32_e32 v4, v4, v6, vcc_lo
	v_cmp_eq_u32_e32 vcc_lo, 1, v9
	s_delay_alu instid0(VALU_DEP_2)
	v_dual_cndmask_b32 v3, v3, v5 :: v_dual_cndmask_b32 v2, v2, v4
	v_cndmask_b32_e64 v8, v8, 1, vcc_lo
	ds_swizzle_b32 v5, v3 offset:swizzle(BROADCAST,32,15)
	ds_swizzle_b32 v4, v2 offset:swizzle(BROADCAST,32,15)
	;; [unrolled: 1-line block ×3, first 2 shown]
	s_wait_dscnt 0x1
	v_min_i64 v[6:7], v[2:3], v[4:5]
	v_and_b32_e32 v10, 1, v8
	s_delay_alu instid0(VALU_DEP_1) | instskip(SKIP_1) | instid1(VALU_DEP_3)
	v_cmp_eq_u32_e32 vcc_lo, 1, v10
	s_wait_dscnt 0x0
	v_dual_cndmask_b32 v5, v5, v7, vcc_lo :: v_dual_bitop2_b32 v9, 1, v9 bitop3:0x40
	s_delay_alu instid0(VALU_DEP_4) | instskip(NEXT) | instid1(VALU_DEP_2)
	v_cndmask_b32_e32 v4, v4, v6, vcc_lo
	v_cmp_eq_u32_e32 vcc_lo, 1, v9
	s_delay_alu instid0(VALU_DEP_2)
	v_dual_cndmask_b32 v3, v3, v5 :: v_dual_cndmask_b32 v2, v2, v4
	v_cndmask_b32_e64 v5, v8, 1, vcc_lo
	ds_bpermute_b32 v3, v1, v3 offset:124
	ds_bpermute_b32 v2, v1, v2 offset:124
	;; [unrolled: 1-line block ×3, first 2 shown]
	v_mbcnt_lo_u32_b32 v1, -1, 0
	s_delay_alu instid0(VALU_DEP_1)
	v_cmpx_eq_u32_e32 0, v1
	s_cbranch_execz .LBB160_160
; %bb.159:
	v_lshrrev_b32_e32 v4, 1, v0
	s_delay_alu instid0(VALU_DEP_1)
	v_and_b32_e32 v4, 48, v4
	s_wait_dscnt 0x0
	ds_store_b8 v4, v20 offset:64
	ds_store_b64 v4, v[2:3] offset:72
.LBB160_160:
	s_or_b32 exec_lo, exec_lo, s2
	s_delay_alu instid0(SALU_CYCLE_1)
	s_mov_b32 s2, exec_lo
	s_wait_dscnt 0x0
	s_barrier_signal -1
	s_barrier_wait -1
	v_cmpx_gt_u32_e32 32, v0
	s_cbranch_execz .LBB160_166
; %bb.161:
	v_and_b32_e32 v2, 3, v1
	s_delay_alu instid0(VALU_DEP_1) | instskip(SKIP_2) | instid1(VALU_DEP_1)
	v_cmp_ne_u32_e32 vcc_lo, 3, v2
	v_lshlrev_b32_e32 v3, 4, v2
	v_add_co_ci_u32_e64 v2, null, 0, v1, vcc_lo
	v_lshlrev_b32_e32 v2, 2, v2
	ds_load_u8 v8, v3 offset:64
	ds_load_b64 v[4:5], v3 offset:72
	s_wait_dscnt 0x1
	v_and_b32_e32 v3, 0xff, v8
	s_wait_dscnt 0x0
	ds_bpermute_b32 v6, v2, v4
	ds_bpermute_b32 v7, v2, v5
	;; [unrolled: 1-line block ×3, first 2 shown]
	s_wait_dscnt 0x0
	v_and_b32_e32 v2, v8, v9
	s_delay_alu instid0(VALU_DEP_1) | instskip(NEXT) | instid1(VALU_DEP_1)
	v_and_b32_e32 v2, 1, v2
	v_cmp_eq_u32_e32 vcc_lo, 1, v2
                                        ; implicit-def: $vgpr2_vgpr3
	s_and_saveexec_b32 s3, vcc_lo
	s_delay_alu instid0(SALU_CYCLE_1)
	s_xor_b32 s3, exec_lo, s3
; %bb.162:
	v_min_i64 v[2:3], v[6:7], v[4:5]
                                        ; implicit-def: $vgpr8
                                        ; implicit-def: $vgpr6_vgpr7
                                        ; implicit-def: $vgpr4_vgpr5
                                        ; implicit-def: $vgpr9
; %bb.163:
	s_or_saveexec_b32 s3, s3
	v_dual_mov_b32 v10, 1 :: v_dual_lshlrev_b32 v1, 2, v1
	s_xor_b32 exec_lo, exec_lo, s3
; %bb.164:
	v_and_b32_e32 v2, 1, v8
	v_and_b32_e32 v8, 0xff, v9
	s_delay_alu instid0(VALU_DEP_2) | instskip(SKIP_1) | instid1(VALU_DEP_3)
	v_cmp_eq_u32_e32 vcc_lo, 1, v2
	v_dual_cndmask_b32 v3, v7, v5 :: v_dual_cndmask_b32 v2, v6, v4
	v_cndmask_b32_e64 v10, v8, 1, vcc_lo
; %bb.165:
	s_or_b32 exec_lo, exec_lo, s3
	s_delay_alu instid0(VALU_DEP_1) | instskip(NEXT) | instid1(VALU_DEP_1)
	v_and_b32_e32 v8, 1, v10
	v_cmp_eq_u32_e32 vcc_lo, 1, v8
	v_or_b32_e32 v1, 8, v1
	ds_bpermute_b32 v4, v1, v2
	ds_bpermute_b32 v5, v1, v3
	s_wait_dscnt 0x0
	v_min_i64 v[6:7], v[4:5], v[2:3]
	v_cndmask_b32_e32 v2, v4, v2, vcc_lo
	ds_bpermute_b32 v1, v1, v10
	v_cndmask_b32_e32 v3, v5, v3, vcc_lo
	s_wait_dscnt 0x0
	v_bitop3_b32 v8, v10, 1, v1 bitop3:0x80
	v_cndmask_b32_e64 v1, v1, 1, vcc_lo
	s_delay_alu instid0(VALU_DEP_2) | instskip(NEXT) | instid1(VALU_DEP_2)
	v_cmp_eq_u32_e32 vcc_lo, 0, v8
	v_dual_cndmask_b32 v20, 1, v1 :: v_dual_cndmask_b32 v3, v7, v3
	v_cndmask_b32_e32 v2, v6, v2, vcc_lo
.LBB160_166:
	s_or_b32 exec_lo, exec_lo, s2
	s_branch .LBB160_193
.LBB160_167:
                                        ; implicit-def: $sgpr10_sgpr11
                                        ; implicit-def: $vgpr2_vgpr3
                                        ; implicit-def: $vgpr20
	s_cbranch_execnz .LBB160_194
	s_branch .LBB160_211
.LBB160_168:
                                        ; implicit-def: $sgpr10_sgpr11
                                        ; implicit-def: $vgpr2_vgpr3
                                        ; implicit-def: $vgpr20
	s_branch .LBB160_211
.LBB160_169:
                                        ; implicit-def: $vgpr2_vgpr3
                                        ; implicit-def: $vgpr20
	s_cbranch_execz .LBB160_193
; %bb.170:
	s_wait_dscnt 0x0
	v_mov_b64_e32 v[4:5], 0
	v_mov_b64_e32 v[2:3], 0
	v_dual_mov_b32 v7, 0 :: v_dual_mov_b32 v1, 0
	s_sub_co_i32 s20, s14, s20
	s_mov_b32 s2, exec_lo
	v_cmpx_gt_u32_e64 s20, v0
	s_cbranch_execz .LBB160_172
; %bb.171:
	s_clause 0x1
	global_load_b32 v6, v0, s[4:5] scale_offset
	global_load_b32 v8, v0, s[8:9] scale_offset
	v_mov_b32_e32 v1, 0
	s_delay_alu instid0(VALU_DEP_1)
	v_add_nc_u64_e32 v[2:3], s[6:7], v[0:1]
	s_wait_loadcnt 0x0
	v_cmp_ne_u32_e32 vcc_lo, v6, v8
	v_cndmask_b32_e64 v1, 0, 1, vcc_lo
.LBB160_172:
	s_or_b32 exec_lo, exec_lo, s2
	v_or_b32_e32 v6, 0x80, v0
	s_delay_alu instid0(VALU_DEP_1)
	v_cmp_gt_u32_e32 vcc_lo, s20, v6
	s_and_saveexec_b32 s3, vcc_lo
	s_cbranch_execz .LBB160_174
; %bb.173:
	s_clause 0x1
	global_load_b32 v8, v0, s[4:5] offset:512 scale_offset
	global_load_b32 v9, v0, s[8:9] offset:512 scale_offset
	v_mov_b32_e32 v7, 0
	s_delay_alu instid0(VALU_DEP_1) | instskip(SKIP_2) | instid1(VALU_DEP_1)
	v_add_nc_u64_e32 v[4:5], s[6:7], v[6:7]
	s_wait_loadcnt 0x0
	v_cmp_ne_u32_e64 s2, v8, v9
	v_cndmask_b32_e64 v7, 0, 1, s2
.LBB160_174:
	s_or_b32 exec_lo, exec_lo, s3
	s_delay_alu instid0(VALU_DEP_3) | instskip(NEXT) | instid1(VALU_DEP_2)
	v_min_i64 v[8:9], v[4:5], v[2:3]
	v_and_b32_e32 v6, 1, v7
	v_and_b32_e32 v10, 0xffff, v1
	;; [unrolled: 1-line block ×3, first 2 shown]
	s_mov_b32 s4, exec_lo
	s_delay_alu instid0(VALU_DEP_3) | instskip(SKIP_2) | instid1(VALU_DEP_1)
	v_cmp_eq_u32_e64 s2, 1, v6
	v_and_b32_e32 v6, 1, v1
	v_mbcnt_lo_u32_b32 v1, -1, 0
	v_cmp_ne_u32_e64 s3, 31, v1
	s_delay_alu instid0(VALU_DEP_4) | instskip(NEXT) | instid1(VALU_DEP_4)
	v_dual_cndmask_b32 v9, v3, v9, s2 :: v_dual_cndmask_b32 v8, v2, v8, s2
	v_cmp_eq_u32_e64 s2, 1, v6
	s_delay_alu instid0(VALU_DEP_1) | instskip(NEXT) | instid1(VALU_DEP_4)
	v_cndmask_b32_e64 v6, v7, 1, s2
	v_add_co_ci_u32_e64 v7, null, 0, v1, s3
	s_delay_alu instid0(VALU_DEP_4) | instskip(NEXT) | instid1(VALU_DEP_2)
	v_dual_cndmask_b32 v4, v4, v8, s2 :: v_dual_cndmask_b32 v5, v5, v9, s2
	v_dual_cndmask_b32 v20, v10, v6, vcc_lo :: v_dual_lshlrev_b32 v6, 2, v7
	s_min_u32 s3, s20, 0x80
	s_delay_alu instid0(VALU_DEP_2)
	v_dual_cndmask_b32 v2, v2, v4 :: v_dual_cndmask_b32 v3, v3, v5
	v_add_nc_u32_e32 v8, 1, v1
	ds_bpermute_b32 v7, v6, v20
	ds_bpermute_b32 v4, v6, v2
	;; [unrolled: 1-line block ×3, first 2 shown]
	v_and_b32_e32 v6, 0x60, v0
	s_delay_alu instid0(VALU_DEP_1) | instskip(NEXT) | instid1(VALU_DEP_1)
	v_sub_nc_u32_e64 v6, s3, v6 clamp
	v_cmpx_lt_u32_e64 v8, v6
	s_cbranch_execz .LBB160_176
; %bb.175:
	s_wait_dscnt 0x0
	v_min_i64 v[8:9], v[4:5], v[2:3]
	v_and_b32_e32 v10, 1, v20
	s_delay_alu instid0(VALU_DEP_1) | instskip(SKIP_3) | instid1(VALU_DEP_3)
	v_cmp_eq_u32_e32 vcc_lo, 1, v10
	v_and_b32_e32 v10, v20, v7
	v_and_b32_e32 v7, 0xff, v7
	v_cndmask_b32_e32 v2, v4, v2, vcc_lo
	v_cmp_eq_u32_e64 s2, 0, v10
	v_cndmask_b32_e32 v3, v5, v3, vcc_lo
	s_delay_alu instid0(VALU_DEP_4) | instskip(NEXT) | instid1(VALU_DEP_1)
	v_cndmask_b32_e64 v4, v7, 1, vcc_lo
	v_dual_cndmask_b32 v20, 1, v4, s2 :: v_dual_cndmask_b32 v2, v8, v2, s2
	s_delay_alu instid0(VALU_DEP_3)
	v_cndmask_b32_e64 v3, v9, v3, s2
.LBB160_176:
	s_or_b32 exec_lo, exec_lo, s4
	v_cmp_gt_u32_e32 vcc_lo, 30, v1
	v_add_nc_u32_e32 v8, 2, v1
	s_mov_b32 s4, exec_lo
	s_wait_dscnt 0x1
	v_cndmask_b32_e64 v4, 0, 2, vcc_lo
	s_wait_dscnt 0x0
	s_delay_alu instid0(VALU_DEP_1)
	v_add_lshl_u32 v5, v4, v1, 2
	ds_bpermute_b32 v7, v5, v20
	ds_bpermute_b32 v4, v5, v2
	ds_bpermute_b32 v5, v5, v3
	v_cmpx_lt_u32_e64 v8, v6
	s_cbranch_execz .LBB160_178
; %bb.177:
	s_wait_dscnt 0x0
	v_min_i64 v[8:9], v[4:5], v[2:3]
	v_and_b32_e32 v10, 1, v20
	s_delay_alu instid0(VALU_DEP_1) | instskip(SKIP_3) | instid1(VALU_DEP_3)
	v_cmp_eq_u32_e32 vcc_lo, 1, v10
	v_bitop3_b32 v10, v20, 1, v7 bitop3:0x80
	v_and_b32_e32 v7, 0xff, v7
	v_cndmask_b32_e32 v2, v4, v2, vcc_lo
	v_cmp_eq_u32_e64 s2, 0, v10
	v_cndmask_b32_e32 v3, v5, v3, vcc_lo
	s_delay_alu instid0(VALU_DEP_4) | instskip(NEXT) | instid1(VALU_DEP_1)
	v_cndmask_b32_e64 v4, v7, 1, vcc_lo
	v_dual_cndmask_b32 v20, 1, v4, s2 :: v_dual_cndmask_b32 v2, v8, v2, s2
	s_delay_alu instid0(VALU_DEP_3)
	v_cndmask_b32_e64 v3, v9, v3, s2
.LBB160_178:
	s_or_b32 exec_lo, exec_lo, s4
	v_cmp_gt_u32_e32 vcc_lo, 28, v1
	v_add_nc_u32_e32 v8, 4, v1
	s_mov_b32 s4, exec_lo
	s_wait_dscnt 0x1
	v_cndmask_b32_e64 v4, 0, 4, vcc_lo
	s_wait_dscnt 0x0
	s_delay_alu instid0(VALU_DEP_1)
	v_add_lshl_u32 v5, v4, v1, 2
	ds_bpermute_b32 v7, v5, v20
	ds_bpermute_b32 v4, v5, v2
	ds_bpermute_b32 v5, v5, v3
	v_cmpx_lt_u32_e64 v8, v6
	s_cbranch_execz .LBB160_180
; %bb.179:
	s_wait_dscnt 0x0
	v_min_i64 v[8:9], v[4:5], v[2:3]
	v_and_b32_e32 v10, 1, v20
	s_delay_alu instid0(VALU_DEP_1) | instskip(SKIP_3) | instid1(VALU_DEP_3)
	v_cmp_eq_u32_e32 vcc_lo, 1, v10
	v_bitop3_b32 v10, v20, 1, v7 bitop3:0x80
	v_and_b32_e32 v7, 0xff, v7
	v_cndmask_b32_e32 v2, v4, v2, vcc_lo
	v_cmp_eq_u32_e64 s2, 0, v10
	v_cndmask_b32_e32 v3, v5, v3, vcc_lo
	s_delay_alu instid0(VALU_DEP_4) | instskip(NEXT) | instid1(VALU_DEP_1)
	v_cndmask_b32_e64 v4, v7, 1, vcc_lo
	v_dual_cndmask_b32 v20, 1, v4, s2 :: v_dual_cndmask_b32 v2, v8, v2, s2
	s_delay_alu instid0(VALU_DEP_3)
	v_cndmask_b32_e64 v3, v9, v3, s2
.LBB160_180:
	;; [unrolled: 31-line block ×3, first 2 shown]
	s_or_b32 exec_lo, exec_lo, s4
	s_wait_dscnt 0x2
	v_dual_lshlrev_b32 v7, 2, v1 :: v_dual_add_nc_u32 v9, 16, v1
	s_wait_dscnt 0x0
	s_delay_alu instid0(VALU_DEP_1) | instskip(NEXT) | instid1(VALU_DEP_2)
	v_or_b32_e32 v5, 64, v7
	v_cmp_lt_u32_e32 vcc_lo, v9, v6
	v_mov_b32_e32 v6, v20
	ds_bpermute_b32 v8, v5, v20
	ds_bpermute_b32 v4, v5, v2
	;; [unrolled: 1-line block ×3, first 2 shown]
	s_and_saveexec_b32 s4, vcc_lo
	s_cbranch_execz .LBB160_184
; %bb.183:
	s_wait_dscnt 0x0
	v_min_i64 v[10:11], v[4:5], v[2:3]
	v_and_b32_e32 v6, 1, v20
	v_bitop3_b32 v9, v20, 1, v8 bitop3:0x80
	s_delay_alu instid0(VALU_DEP_2) | instskip(NEXT) | instid1(VALU_DEP_2)
	v_cmp_eq_u32_e32 vcc_lo, 1, v6
	v_cmp_eq_u32_e64 s2, 0, v9
	v_cndmask_b32_e64 v6, v8, 1, vcc_lo
	v_dual_cndmask_b32 v3, v5, v3 :: v_dual_cndmask_b32 v2, v4, v2
	s_delay_alu instid0(VALU_DEP_2) | instskip(NEXT) | instid1(VALU_DEP_1)
	v_cndmask_b32_e64 v6, 1, v6, s2
	v_and_b32_e32 v20, 0xff, v6
	s_delay_alu instid0(VALU_DEP_3)
	v_dual_cndmask_b32 v3, v11, v3, s2 :: v_dual_cndmask_b32 v2, v10, v2, s2
.LBB160_184:
	s_or_b32 exec_lo, exec_lo, s4
	s_delay_alu instid0(SALU_CYCLE_1)
	s_mov_b32 s2, exec_lo
	v_cmpx_eq_u32_e32 0, v1
	s_cbranch_execz .LBB160_186
; %bb.185:
	s_wait_dscnt 0x1
	v_lshrrev_b32_e32 v4, 1, v0
	s_delay_alu instid0(VALU_DEP_1)
	v_and_b32_e32 v4, 48, v4
	ds_store_b8 v4, v6 offset:256
	ds_store_b64 v4, v[2:3] offset:264
.LBB160_186:
	s_or_b32 exec_lo, exec_lo, s2
	s_delay_alu instid0(SALU_CYCLE_1)
	s_mov_b32 s4, exec_lo
	s_wait_dscnt 0x0
	s_barrier_signal -1
	s_barrier_wait -1
	v_cmpx_gt_u32_e32 4, v0
	s_cbranch_execz .LBB160_192
; %bb.187:
	v_dual_lshlrev_b32 v2, 4, v1 :: v_dual_bitop2_b32 v6, 3, v1 bitop3:0x40
	s_add_co_i32 s3, s3, 31
	s_mov_b32 s5, exec_lo
	s_lshr_b32 s3, s3, 5
	ds_load_u8 v8, v2 offset:256
	ds_load_b64 v[2:3], v2 offset:264
	v_cmp_ne_u32_e32 vcc_lo, 3, v6
	v_add_nc_u32_e32 v9, 1, v6
	v_add_co_ci_u32_e64 v1, null, 0, v1, vcc_lo
	s_delay_alu instid0(VALU_DEP_1)
	v_lshlrev_b32_e32 v5, 2, v1
	s_wait_dscnt 0x1
	v_and_b32_e32 v20, 0xff, v8
	s_wait_dscnt 0x0
	ds_bpermute_b32 v4, v5, v2
	ds_bpermute_b32 v1, v5, v20
	;; [unrolled: 1-line block ×3, first 2 shown]
	v_cmpx_gt_u32_e64 s3, v9
	s_cbranch_execz .LBB160_189
; %bb.188:
	s_wait_dscnt 0x0
	v_min_i64 v[10:11], v[4:5], v[2:3]
	v_and_b32_e32 v8, 1, v8
	s_delay_alu instid0(VALU_DEP_1) | instskip(SKIP_3) | instid1(VALU_DEP_3)
	v_cmp_eq_u32_e32 vcc_lo, 1, v8
	v_bitop3_b32 v8, v20, 1, v1 bitop3:0x80
	v_and_b32_e32 v1, 0xff, v1
	v_cndmask_b32_e32 v2, v4, v2, vcc_lo
	v_cmp_eq_u32_e64 s2, 0, v8
	v_cndmask_b32_e32 v3, v5, v3, vcc_lo
	s_delay_alu instid0(VALU_DEP_4) | instskip(NEXT) | instid1(VALU_DEP_1)
	v_cndmask_b32_e64 v1, v1, 1, vcc_lo
	v_dual_cndmask_b32 v20, 1, v1, s2 :: v_dual_cndmask_b32 v2, v10, v2, s2
	s_delay_alu instid0(VALU_DEP_3)
	v_cndmask_b32_e64 v3, v11, v3, s2
.LBB160_189:
	s_or_b32 exec_lo, exec_lo, s5
	s_wait_dscnt 0x0
	v_dual_add_nc_u32 v6, 2, v6 :: v_dual_bitop2_b32 v5, 8, v7 bitop3:0x54
	ds_bpermute_b32 v1, v5, v20
	ds_bpermute_b32 v4, v5, v2
	;; [unrolled: 1-line block ×3, first 2 shown]
	v_cmp_gt_u32_e32 vcc_lo, s3, v6
	s_and_saveexec_b32 s3, vcc_lo
	s_cbranch_execz .LBB160_191
; %bb.190:
	s_wait_dscnt 0x0
	v_min_i64 v[6:7], v[4:5], v[2:3]
	v_and_b32_e32 v8, 1, v20
	s_delay_alu instid0(VALU_DEP_1) | instskip(SKIP_2) | instid1(VALU_DEP_2)
	v_cmp_eq_u32_e32 vcc_lo, 1, v8
	v_bitop3_b32 v8, v20, 1, v1 bitop3:0x80
	v_cndmask_b32_e32 v2, v4, v2, vcc_lo
	v_cmp_eq_u32_e64 s2, 0, v8
	v_cndmask_b32_e32 v3, v5, v3, vcc_lo
	v_cndmask_b32_e64 v1, v1, 1, vcc_lo
	s_delay_alu instid0(VALU_DEP_1) | instskip(NEXT) | instid1(VALU_DEP_3)
	v_dual_cndmask_b32 v20, 1, v1, s2 :: v_dual_cndmask_b32 v2, v6, v2, s2
	v_cndmask_b32_e64 v3, v7, v3, s2
.LBB160_191:
	s_or_b32 exec_lo, exec_lo, s3
.LBB160_192:
	s_delay_alu instid0(SALU_CYCLE_1)
	s_or_b32 exec_lo, exec_lo, s4
.LBB160_193:
	v_cmp_eq_u32_e64 s2, 0, v0
	s_branch .LBB160_211
.LBB160_194:
	s_cmp_eq_u32 s24, 1
	s_cbranch_scc0 .LBB160_210
; %bb.195:
	s_bfe_u32 s2, ttmp6, 0x4000c
	s_and_b32 s3, ttmp6, 15
	s_add_co_i32 s2, s2, 1
	s_getreg_b32 s4, hwreg(HW_REG_IB_STS2, 6, 4)
	s_mul_i32 s2, ttmp9, s2
	s_mov_b32 s5, 0
	s_add_co_i32 s3, s3, s2
	s_cmp_eq_u32 s4, 0
	v_mbcnt_lo_u32_b32 v8, -1, 0
	s_cselect_b32 s10, ttmp9, s3
	s_mov_b32 s11, s5
	s_lshr_b64 s[2:3], s[14:15], 7
	s_lshl_b32 s4, s10, 7
	s_cmp_lg_u64 s[2:3], s[10:11]
	s_cbranch_scc0 .LBB160_214
; %bb.196:
	s_lshl_b64 s[2:3], s[4:5], 2
	s_delay_alu instid0(SALU_CYCLE_1)
	s_add_nc_u64 s[6:7], s[16:17], s[2:3]
	s_add_nc_u64 s[2:3], s[18:19], s[2:3]
	s_clause 0x1
	global_load_b32 v9, v0, s[6:7] scale_offset
	global_load_b32 v10, v0, s[2:3] scale_offset
	s_wait_xcnt 0x0
	s_add_nc_u64 s[2:3], s[12:13], s[4:5]
	s_wait_loadcnt 0x0
	v_cmp_ne_u32_e32 vcc_lo, v9, v10
	v_cndmask_b32_e64 v9, 0, 1, vcc_lo
	s_delay_alu instid0(VALU_DEP_1) | instskip(SKIP_1) | instid1(VALU_DEP_1)
	v_mov_b32_dpp v9, v9 quad_perm:[1,0,3,2] row_mask:0xf bank_mask:0xf
	s_wait_dscnt 0x2
	v_dual_mov_b32 v1, 0 :: v_dual_bitop2_b32 v9, 1, v9 bitop3:0x40
	s_delay_alu instid0(VALU_DEP_1) | instskip(NEXT) | instid1(VALU_DEP_2)
	v_add_nc_u64_e32 v[2:3], s[2:3], v[0:1]
	v_cmp_eq_u32_e64 s2, 1, v9
	s_wait_dscnt 0x1
	s_delay_alu instid0(VALU_DEP_2) | instskip(SKIP_1) | instid1(VALU_DEP_3)
	v_mov_b32_dpp v4, v2 quad_perm:[1,0,3,2] row_mask:0xf bank_mask:0xf
	s_wait_dscnt 0x0
	v_mov_b32_dpp v5, v3 quad_perm:[1,0,3,2] row_mask:0xf bank_mask:0xf
	s_delay_alu instid0(VALU_DEP_1) | instskip(NEXT) | instid1(VALU_DEP_1)
	v_min_i64 v[6:7], v[2:3], v[4:5]
	v_dual_cndmask_b32 v4, v4, v6 :: v_dual_cndmask_b32 v5, v5, v7
	s_or_b32 vcc_lo, s2, vcc_lo
	s_delay_alu instid0(SALU_CYCLE_1) | instskip(NEXT) | instid1(VALU_DEP_2)
	v_cndmask_b32_e64 v9, 0, 1, vcc_lo
	v_dual_cndmask_b32 v2, v2, v4, s2 :: v_dual_cndmask_b32 v3, v3, v5, s2
	s_delay_alu instid0(VALU_DEP_2) | instskip(NEXT) | instid1(VALU_DEP_2)
	v_mov_b32_dpp v9, v9 quad_perm:[2,3,0,1] row_mask:0xf bank_mask:0xf
	v_mov_b32_dpp v4, v2 quad_perm:[2,3,0,1] row_mask:0xf bank_mask:0xf
	s_delay_alu instid0(VALU_DEP_3) | instskip(NEXT) | instid1(VALU_DEP_1)
	v_mov_b32_dpp v5, v3 quad_perm:[2,3,0,1] row_mask:0xf bank_mask:0xf
	v_min_i64 v[6:7], v[2:3], v[4:5]
	s_delay_alu instid0(VALU_DEP_1) | instskip(NEXT) | instid1(VALU_DEP_1)
	v_dual_cndmask_b32 v4, v4, v6, vcc_lo :: v_dual_bitop2_b32 v9, 1, v9 bitop3:0x40
	v_cmp_eq_u32_e64 s2, 1, v9
	s_delay_alu instid0(VALU_DEP_1) | instskip(SKIP_1) | instid1(SALU_CYCLE_1)
	v_dual_cndmask_b32 v5, v5, v7, vcc_lo :: v_dual_cndmask_b32 v2, v2, v4, s2
	s_or_b32 vcc_lo, s2, vcc_lo
	v_cndmask_b32_e64 v9, 0, 1, vcc_lo
	s_delay_alu instid0(VALU_DEP_2) | instskip(NEXT) | instid1(VALU_DEP_3)
	v_mov_b32_dpp v4, v2 row_ror:4 row_mask:0xf bank_mask:0xf
	v_cndmask_b32_e64 v3, v3, v5, s2
	s_delay_alu instid0(VALU_DEP_3) | instskip(NEXT) | instid1(VALU_DEP_2)
	v_mov_b32_dpp v9, v9 row_ror:4 row_mask:0xf bank_mask:0xf
	v_mov_b32_dpp v5, v3 row_ror:4 row_mask:0xf bank_mask:0xf
	s_delay_alu instid0(VALU_DEP_1) | instskip(NEXT) | instid1(VALU_DEP_1)
	v_min_i64 v[6:7], v[2:3], v[4:5]
	v_dual_cndmask_b32 v5, v5, v7, vcc_lo :: v_dual_bitop2_b32 v9, 1, v9 bitop3:0x40
	s_delay_alu instid0(VALU_DEP_2) | instskip(NEXT) | instid1(VALU_DEP_2)
	v_cndmask_b32_e32 v4, v4, v6, vcc_lo
	v_cmp_eq_u32_e64 s2, 1, v9
	s_delay_alu instid0(VALU_DEP_1) | instskip(SKIP_1) | instid1(SALU_CYCLE_1)
	v_dual_cndmask_b32 v3, v3, v5, s2 :: v_dual_cndmask_b32 v2, v2, v4, s2
	s_or_b32 vcc_lo, s2, vcc_lo
	v_cndmask_b32_e64 v9, 0, 1, vcc_lo
	s_delay_alu instid0(VALU_DEP_2) | instskip(NEXT) | instid1(VALU_DEP_3)
	v_mov_b32_dpp v5, v3 row_ror:8 row_mask:0xf bank_mask:0xf
	v_mov_b32_dpp v4, v2 row_ror:8 row_mask:0xf bank_mask:0xf
	s_delay_alu instid0(VALU_DEP_3) | instskip(NEXT) | instid1(VALU_DEP_2)
	v_mov_b32_dpp v9, v9 row_ror:8 row_mask:0xf bank_mask:0xf
	v_min_i64 v[6:7], v[2:3], v[4:5]
	s_delay_alu instid0(VALU_DEP_1) | instskip(NEXT) | instid1(VALU_DEP_1)
	v_dual_cndmask_b32 v4, v4, v6, vcc_lo :: v_dual_bitop2_b32 v9, 1, v9 bitop3:0x40
	v_cmp_eq_u32_e64 s2, 1, v9
	s_delay_alu instid0(VALU_DEP_1) | instskip(SKIP_1) | instid1(VALU_DEP_1)
	v_dual_cndmask_b32 v5, v5, v7, vcc_lo :: v_dual_cndmask_b32 v2, v2, v4, s2
	s_or_b32 vcc_lo, s2, vcc_lo
	v_cndmask_b32_e64 v3, v3, v5, s2
	v_cndmask_b32_e64 v9, 0, 1, vcc_lo
	ds_swizzle_b32 v4, v2 offset:swizzle(BROADCAST,32,15)
	ds_swizzle_b32 v5, v3 offset:swizzle(BROADCAST,32,15)
	ds_swizzle_b32 v9, v9 offset:swizzle(BROADCAST,32,15)
	s_wait_dscnt 0x1
	v_min_i64 v[6:7], v[2:3], v[4:5]
	s_wait_dscnt 0x0
	s_delay_alu instid0(VALU_DEP_1) | instskip(NEXT) | instid1(VALU_DEP_1)
	v_dual_cndmask_b32 v4, v4, v6, vcc_lo :: v_dual_bitop2_b32 v9, 1, v9 bitop3:0x40
	v_cmp_eq_u32_e64 s2, 1, v9
	s_delay_alu instid0(VALU_DEP_3) | instskip(SKIP_1) | instid1(VALU_DEP_1)
	v_cndmask_b32_e32 v5, v5, v7, vcc_lo
	s_or_b32 s3, s2, vcc_lo
	v_dual_cndmask_b32 v3, v3, v5, s2 :: v_dual_cndmask_b32 v2, v2, v4, s2
	v_cndmask_b32_e64 v5, 0, 1, s3
	s_mov_b32 s2, exec_lo
	ds_bpermute_b32 v3, v1, v3 offset:124
	ds_bpermute_b32 v2, v1, v2 offset:124
	;; [unrolled: 1-line block ×3, first 2 shown]
	v_cmpx_eq_u32_e32 0, v8
	s_cbranch_execz .LBB160_198
; %bb.197:
	v_lshrrev_b32_e32 v1, 1, v0
	s_delay_alu instid0(VALU_DEP_1)
	v_and_b32_e32 v1, 48, v1
	s_wait_dscnt 0x0
	ds_store_b8 v1, v20
	ds_store_b64 v1, v[2:3] offset:8
.LBB160_198:
	s_or_b32 exec_lo, exec_lo, s2
	s_delay_alu instid0(SALU_CYCLE_1)
	s_mov_b32 s2, exec_lo
	s_wait_dscnt 0x0
	s_barrier_signal -1
	s_barrier_wait -1
	v_cmpx_gt_u32_e32 32, v0
	s_cbranch_execz .LBB160_208
; %bb.199:
	v_and_b32_e32 v1, 3, v8
	s_mov_b32 s3, exec_lo
	s_delay_alu instid0(VALU_DEP_1) | instskip(SKIP_2) | instid1(VALU_DEP_1)
	v_cmp_ne_u32_e32 vcc_lo, 3, v1
	v_lshlrev_b32_e32 v2, 4, v1
	v_add_co_ci_u32_e64 v1, null, 0, v8, vcc_lo
	v_lshlrev_b32_e32 v1, 2, v1
	ds_load_u8 v9, v2
	ds_load_b64 v[2:3], v2 offset:8
	s_wait_dscnt 0x1
	v_and_b32_e32 v4, 0xff, v9
	s_wait_dscnt 0x0
	ds_bpermute_b32 v6, v1, v2
	ds_bpermute_b32 v7, v1, v3
	;; [unrolled: 1-line block ×3, first 2 shown]
                                        ; implicit-def: $vgpr4_vgpr5
	s_wait_dscnt 0x0
	v_and_b32_e32 v1, v9, v10
	s_delay_alu instid0(VALU_DEP_1) | instskip(NEXT) | instid1(VALU_DEP_1)
	v_and_b32_e32 v1, 1, v1
	v_cmpx_eq_u32_e32 1, v1
	s_xor_b32 s3, exec_lo, s3
; %bb.200:
	v_min_i64 v[4:5], v[6:7], v[2:3]
                                        ; implicit-def: $vgpr9
                                        ; implicit-def: $vgpr6_vgpr7
                                        ; implicit-def: $vgpr2_vgpr3
                                        ; implicit-def: $vgpr10
; %bb.201:
	s_or_saveexec_b32 s3, s3
	v_dual_lshlrev_b32 v11, 2, v8 :: v_dual_mov_b32 v1, 1
	s_xor_b32 exec_lo, exec_lo, s3
; %bb.202:
	v_and_b32_e32 v1, 1, v9
	s_delay_alu instid0(VALU_DEP_1) | instskip(SKIP_2) | instid1(VALU_DEP_2)
	v_cmp_eq_u32_e32 vcc_lo, 1, v1
	v_and_b32_e32 v1, 0xff, v10
	v_dual_cndmask_b32 v5, v7, v3 :: v_dual_cndmask_b32 v4, v6, v2
	v_cndmask_b32_e64 v1, v1, 1, vcc_lo
; %bb.203:
	s_or_b32 exec_lo, exec_lo, s3
	v_or_b32_e32 v2, 8, v11
	ds_bpermute_b32 v9, v2, v1
	ds_bpermute_b32 v6, v2, v4
	;; [unrolled: 1-line block ×3, first 2 shown]
	s_wait_dscnt 0x2
	v_and_b32_e32 v2, v1, v9
	s_delay_alu instid0(VALU_DEP_1) | instskip(NEXT) | instid1(VALU_DEP_1)
	v_and_b32_e32 v2, 1, v2
	v_cmp_eq_u32_e32 vcc_lo, 1, v2
                                        ; implicit-def: $vgpr2_vgpr3
	s_and_saveexec_b32 s3, vcc_lo
	s_delay_alu instid0(SALU_CYCLE_1)
	s_xor_b32 s3, exec_lo, s3
	s_cbranch_execz .LBB160_205
; %bb.204:
	s_wait_dscnt 0x0
	v_min_i64 v[2:3], v[6:7], v[4:5]
                                        ; implicit-def: $vgpr1
                                        ; implicit-def: $vgpr6_vgpr7
                                        ; implicit-def: $vgpr4_vgpr5
                                        ; implicit-def: $vgpr9
.LBB160_205:
	s_or_saveexec_b32 s3, s3
	v_mov_b32_e32 v20, 1
	s_xor_b32 exec_lo, exec_lo, s3
	s_cbranch_execz .LBB160_207
; %bb.206:
	v_and_b32_e32 v1, 1, v1
	s_delay_alu instid0(VALU_DEP_1)
	v_cmp_eq_u32_e32 vcc_lo, 1, v1
	s_wait_dscnt 0x0
	v_dual_cndmask_b32 v3, v7, v5 :: v_dual_cndmask_b32 v2, v6, v4
	v_cndmask_b32_e64 v20, v9, 1, vcc_lo
.LBB160_207:
	s_or_b32 exec_lo, exec_lo, s3
.LBB160_208:
	s_delay_alu instid0(SALU_CYCLE_1)
	s_or_b32 exec_lo, exec_lo, s2
.LBB160_209:
	v_cmp_eq_u32_e64 s2, 0, v0
	s_and_saveexec_b32 s3, s2
	s_cbranch_execnz .LBB160_212
	s_branch .LBB160_213
.LBB160_210:
                                        ; implicit-def: $sgpr10_sgpr11
                                        ; implicit-def: $vgpr2_vgpr3
                                        ; implicit-def: $vgpr20
.LBB160_211:
	s_delay_alu instid0(VALU_DEP_1)
	s_and_saveexec_b32 s3, s2
	s_cbranch_execz .LBB160_213
.LBB160_212:
	s_clause 0x1
	s_load_b64 s[2:3], s[0:1], 0x48
	s_load_b96 s[4:6], s[0:1], 0x38
	s_cmp_eq_u64 s[14:15], 0
	s_wait_xcnt 0x0
	s_cselect_b32 s0, -1, 0
	s_wait_dscnt 0x2
	s_wait_kmcnt 0x0
	v_min_i64 v[0:1], v[2:3], s[2:3]
	s_wait_dscnt 0x1
	v_and_b32_e32 v4, 1, v20
	s_bitcmp1_b32 s6, 0
	s_delay_alu instid0(VALU_DEP_1) | instskip(NEXT) | instid1(VALU_DEP_3)
	v_cmp_eq_u32_e32 vcc_lo, 1, v4
	v_cndmask_b32_e32 v1, s3, v1, vcc_lo
	s_delay_alu instid0(VALU_DEP_4) | instskip(SKIP_1) | instid1(SALU_CYCLE_1)
	v_cndmask_b32_e32 v0, s2, v0, vcc_lo
	s_cselect_b32 vcc_lo, -1, 0
	v_cndmask_b32_e64 v4, v20, 1, vcc_lo
	s_delay_alu instid0(VALU_DEP_2) | instskip(SKIP_1) | instid1(VALU_DEP_3)
	v_dual_cndmask_b32 v1, v3, v1 :: v_dual_cndmask_b32 v0, v2, v0
	v_mov_b32_e32 v2, 0
	v_cndmask_b32_e64 v3, v4, s6, s0
	s_delay_alu instid0(VALU_DEP_3) | instskip(NEXT) | instid1(VALU_DEP_4)
	v_cndmask_b32_e64 v1, v1, s3, s0
	v_cndmask_b32_e64 v0, v0, s2, s0
	s_lshl_b64 s[0:1], s[10:11], 4
	s_delay_alu instid0(SALU_CYCLE_1)
	s_add_nc_u64 s[0:1], s[4:5], s[0:1]
	s_clause 0x1
	global_store_b8 v2, v3, s[0:1]
	global_store_b64 v2, v[0:1], s[0:1] offset:8
.LBB160_213:
	s_endpgm
.LBB160_214:
                                        ; implicit-def: $vgpr2_vgpr3
                                        ; implicit-def: $vgpr20
	s_cbranch_execz .LBB160_209
; %bb.215:
	v_mov_b64_e32 v[2:3], 0
	s_wait_dscnt 0x1
	v_mov_b32_e32 v6, 0
	s_sub_co_i32 s2, s14, s4
	s_mov_b32 s3, exec_lo
	v_cmpx_gt_u32_e64 s2, v0
	s_cbranch_execz .LBB160_217
; %bb.216:
	s_lshl_b64 s[6:7], s[4:5], 2
	v_mov_b32_e32 v1, 0
	s_add_nc_u64 s[8:9], s[16:17], s[6:7]
	s_add_nc_u64 s[6:7], s[18:19], s[6:7]
	global_load_b32 v4, v0, s[8:9] scale_offset
	s_wait_dscnt 0x0
	global_load_b32 v5, v0, s[6:7] scale_offset
	s_add_nc_u64 s[4:5], s[12:13], s[4:5]
	s_delay_alu instid0(SALU_CYCLE_1)
	v_add_nc_u64_e32 v[2:3], s[4:5], v[0:1]
	s_wait_loadcnt 0x0
	v_cmp_ne_u32_e32 vcc_lo, v4, v5
	v_cndmask_b32_e64 v6, 0, 1, vcc_lo
.LBB160_217:
	s_or_b32 exec_lo, exec_lo, s3
	v_cmp_ne_u32_e32 vcc_lo, 31, v8
	s_delay_alu instid0(VALU_DEP_2) | instskip(SKIP_4) | instid1(VALU_DEP_1)
	v_and_b32_e32 v20, 0xffff, v6
	s_min_u32 s3, s2, 0x80
	s_mov_b32 s4, exec_lo
	v_add_nc_u32_e32 v9, 1, v8
	v_add_co_ci_u32_e64 v1, null, 0, v8, vcc_lo
	v_lshlrev_b32_e32 v1, 2, v1
	s_wait_dscnt 0x0
	ds_bpermute_b32 v7, v1, v20
	ds_bpermute_b32 v4, v1, v2
	;; [unrolled: 1-line block ×3, first 2 shown]
	v_and_b32_e32 v1, 0x60, v0
	s_delay_alu instid0(VALU_DEP_1) | instskip(NEXT) | instid1(VALU_DEP_1)
	v_sub_nc_u32_e64 v1, s3, v1 clamp
	v_cmpx_lt_u32_e64 v9, v1
	s_cbranch_execz .LBB160_219
; %bb.218:
	s_wait_dscnt 0x0
	v_min_i64 v[10:11], v[4:5], v[2:3]
	v_and_b32_e32 v6, 1, v6
	s_delay_alu instid0(VALU_DEP_1) | instskip(SKIP_3) | instid1(VALU_DEP_3)
	v_cmp_eq_u32_e32 vcc_lo, 1, v6
	v_and_b32_e32 v6, v7, v20
	v_and_b32_e32 v7, 0xff, v7
	v_dual_cndmask_b32 v2, v4, v2 :: v_dual_cndmask_b32 v3, v5, v3
	v_cmp_eq_u32_e64 s2, 0, v6
	s_delay_alu instid0(VALU_DEP_3) | instskip(NEXT) | instid1(VALU_DEP_1)
	v_cndmask_b32_e64 v4, v7, 1, vcc_lo
	v_dual_cndmask_b32 v20, 1, v4, s2 :: v_dual_cndmask_b32 v3, v11, v3, s2
	s_delay_alu instid0(VALU_DEP_4)
	v_cndmask_b32_e64 v2, v10, v2, s2
.LBB160_219:
	s_or_b32 exec_lo, exec_lo, s4
	v_cmp_gt_u32_e32 vcc_lo, 30, v8
	s_wait_dscnt 0x2
	v_add_nc_u32_e32 v7, 2, v8
	s_mov_b32 s4, exec_lo
	s_wait_dscnt 0x1
	v_cndmask_b32_e64 v4, 0, 2, vcc_lo
	s_wait_dscnt 0x0
	s_delay_alu instid0(VALU_DEP_1)
	v_add_lshl_u32 v5, v4, v8, 2
	ds_bpermute_b32 v6, v5, v20
	ds_bpermute_b32 v4, v5, v2
	;; [unrolled: 1-line block ×3, first 2 shown]
	v_cmpx_lt_u32_e64 v7, v1
	s_cbranch_execz .LBB160_221
; %bb.220:
	s_wait_dscnt 0x0
	v_min_i64 v[10:11], v[4:5], v[2:3]
	v_and_b32_e32 v7, 1, v20
	s_delay_alu instid0(VALU_DEP_1) | instskip(SKIP_3) | instid1(VALU_DEP_3)
	v_cmp_eq_u32_e32 vcc_lo, 1, v7
	v_bitop3_b32 v7, v20, 1, v6 bitop3:0x80
	v_and_b32_e32 v6, 0xff, v6
	v_cndmask_b32_e32 v2, v4, v2, vcc_lo
	v_cmp_eq_u32_e64 s2, 0, v7
	v_cndmask_b32_e32 v3, v5, v3, vcc_lo
	s_delay_alu instid0(VALU_DEP_4) | instskip(NEXT) | instid1(VALU_DEP_1)
	v_cndmask_b32_e64 v4, v6, 1, vcc_lo
	v_dual_cndmask_b32 v20, 1, v4, s2 :: v_dual_cndmask_b32 v2, v10, v2, s2
	s_delay_alu instid0(VALU_DEP_3)
	v_cndmask_b32_e64 v3, v11, v3, s2
.LBB160_221:
	s_or_b32 exec_lo, exec_lo, s4
	v_cmp_gt_u32_e32 vcc_lo, 28, v8
	v_add_nc_u32_e32 v7, 4, v8
	s_mov_b32 s4, exec_lo
	s_wait_dscnt 0x1
	v_cndmask_b32_e64 v4, 0, 4, vcc_lo
	s_wait_dscnt 0x0
	s_delay_alu instid0(VALU_DEP_1)
	v_add_lshl_u32 v5, v4, v8, 2
	ds_bpermute_b32 v6, v5, v20
	ds_bpermute_b32 v4, v5, v2
	;; [unrolled: 1-line block ×3, first 2 shown]
	v_cmpx_lt_u32_e64 v7, v1
	s_cbranch_execz .LBB160_223
; %bb.222:
	s_wait_dscnt 0x0
	v_min_i64 v[10:11], v[4:5], v[2:3]
	v_and_b32_e32 v7, 1, v20
	s_delay_alu instid0(VALU_DEP_1) | instskip(SKIP_3) | instid1(VALU_DEP_3)
	v_cmp_eq_u32_e32 vcc_lo, 1, v7
	v_bitop3_b32 v7, v20, 1, v6 bitop3:0x80
	v_and_b32_e32 v6, 0xff, v6
	v_cndmask_b32_e32 v2, v4, v2, vcc_lo
	v_cmp_eq_u32_e64 s2, 0, v7
	v_cndmask_b32_e32 v3, v5, v3, vcc_lo
	s_delay_alu instid0(VALU_DEP_4) | instskip(NEXT) | instid1(VALU_DEP_1)
	v_cndmask_b32_e64 v4, v6, 1, vcc_lo
	v_dual_cndmask_b32 v20, 1, v4, s2 :: v_dual_cndmask_b32 v2, v10, v2, s2
	s_delay_alu instid0(VALU_DEP_3)
	v_cndmask_b32_e64 v3, v11, v3, s2
.LBB160_223:
	s_or_b32 exec_lo, exec_lo, s4
	v_cmp_gt_u32_e32 vcc_lo, 24, v8
	v_add_nc_u32_e32 v7, 8, v8
	s_mov_b32 s4, exec_lo
	s_wait_dscnt 0x1
	v_cndmask_b32_e64 v4, 0, 8, vcc_lo
	s_wait_dscnt 0x0
	s_delay_alu instid0(VALU_DEP_1)
	v_add_lshl_u32 v5, v4, v8, 2
	ds_bpermute_b32 v6, v5, v20
	ds_bpermute_b32 v4, v5, v2
	;; [unrolled: 1-line block ×3, first 2 shown]
	v_cmpx_lt_u32_e64 v7, v1
	s_cbranch_execz .LBB160_225
; %bb.224:
	s_wait_dscnt 0x0
	v_min_i64 v[10:11], v[4:5], v[2:3]
	v_and_b32_e32 v7, 1, v20
	s_delay_alu instid0(VALU_DEP_1) | instskip(SKIP_3) | instid1(VALU_DEP_3)
	v_cmp_eq_u32_e32 vcc_lo, 1, v7
	v_bitop3_b32 v7, v20, 1, v6 bitop3:0x80
	v_and_b32_e32 v6, 0xff, v6
	v_cndmask_b32_e32 v2, v4, v2, vcc_lo
	v_cmp_eq_u32_e64 s2, 0, v7
	v_cndmask_b32_e32 v3, v5, v3, vcc_lo
	s_delay_alu instid0(VALU_DEP_4) | instskip(NEXT) | instid1(VALU_DEP_1)
	v_cndmask_b32_e64 v4, v6, 1, vcc_lo
	v_dual_cndmask_b32 v20, 1, v4, s2 :: v_dual_cndmask_b32 v2, v10, v2, s2
	s_delay_alu instid0(VALU_DEP_3)
	v_cndmask_b32_e64 v3, v11, v3, s2
.LBB160_225:
	s_or_b32 exec_lo, exec_lo, s4
	s_wait_dscnt 0x2
	v_dual_lshlrev_b32 v6, 2, v8 :: v_dual_add_nc_u32 v9, 16, v8
	s_wait_dscnt 0x0
	s_delay_alu instid0(VALU_DEP_1) | instskip(NEXT) | instid1(VALU_DEP_2)
	v_or_b32_e32 v5, 64, v6
	v_cmp_lt_u32_e32 vcc_lo, v9, v1
	v_mov_b32_e32 v1, v20
	ds_bpermute_b32 v7, v5, v20
	ds_bpermute_b32 v4, v5, v2
	;; [unrolled: 1-line block ×3, first 2 shown]
	s_and_saveexec_b32 s4, vcc_lo
	s_cbranch_execz .LBB160_227
; %bb.226:
	s_wait_dscnt 0x0
	v_min_i64 v[10:11], v[4:5], v[2:3]
	v_and_b32_e32 v1, 1, v20
	v_bitop3_b32 v9, v20, 1, v7 bitop3:0x80
	s_delay_alu instid0(VALU_DEP_2) | instskip(NEXT) | instid1(VALU_DEP_2)
	v_cmp_eq_u32_e32 vcc_lo, 1, v1
	v_cmp_eq_u32_e64 s2, 0, v9
	v_cndmask_b32_e64 v1, v7, 1, vcc_lo
	v_dual_cndmask_b32 v3, v5, v3 :: v_dual_cndmask_b32 v2, v4, v2
	s_delay_alu instid0(VALU_DEP_2) | instskip(NEXT) | instid1(VALU_DEP_1)
	v_cndmask_b32_e64 v1, 1, v1, s2
	v_and_b32_e32 v20, 0xff, v1
	s_delay_alu instid0(VALU_DEP_3)
	v_dual_cndmask_b32 v3, v11, v3, s2 :: v_dual_cndmask_b32 v2, v10, v2, s2
.LBB160_227:
	s_or_b32 exec_lo, exec_lo, s4
	s_delay_alu instid0(SALU_CYCLE_1)
	s_mov_b32 s2, exec_lo
	v_cmpx_eq_u32_e32 0, v8
	s_cbranch_execz .LBB160_229
; %bb.228:
	s_wait_dscnt 0x1
	v_lshrrev_b32_e32 v4, 1, v0
	s_delay_alu instid0(VALU_DEP_1)
	v_and_b32_e32 v4, 48, v4
	ds_store_b8 v4, v1 offset:256
	ds_store_b64 v4, v[2:3] offset:264
.LBB160_229:
	s_or_b32 exec_lo, exec_lo, s2
	s_delay_alu instid0(SALU_CYCLE_1)
	s_mov_b32 s4, exec_lo
	s_wait_dscnt 0x0
	s_barrier_signal -1
	s_barrier_wait -1
	v_cmpx_gt_u32_e32 4, v0
	s_cbranch_execz .LBB160_235
; %bb.230:
	v_lshlrev_b32_e32 v1, 4, v8
	s_add_co_i32 s3, s3, 31
	s_mov_b32 s5, exec_lo
	s_lshr_b32 s3, s3, 5
	ds_load_u8 v7, v1 offset:256
	ds_load_b64 v[2:3], v1 offset:264
	v_and_b32_e32 v1, 3, v8
	s_delay_alu instid0(VALU_DEP_1) | instskip(SKIP_2) | instid1(VALU_DEP_1)
	v_cmp_ne_u32_e32 vcc_lo, 3, v1
	v_add_nc_u32_e32 v9, 1, v1
	v_add_co_ci_u32_e64 v4, null, 0, v8, vcc_lo
	v_lshlrev_b32_e32 v5, 2, v4
	s_wait_dscnt 0x1
	v_and_b32_e32 v20, 0xff, v7
	s_wait_dscnt 0x0
	ds_bpermute_b32 v4, v5, v2
	ds_bpermute_b32 v8, v5, v20
	;; [unrolled: 1-line block ×3, first 2 shown]
	v_cmpx_gt_u32_e64 s3, v9
	s_cbranch_execz .LBB160_232
; %bb.231:
	s_wait_dscnt 0x0
	v_min_i64 v[10:11], v[4:5], v[2:3]
	v_and_b32_e32 v7, 1, v7
	s_delay_alu instid0(VALU_DEP_1) | instskip(SKIP_3) | instid1(VALU_DEP_3)
	v_cmp_eq_u32_e32 vcc_lo, 1, v7
	v_bitop3_b32 v7, v20, 1, v8 bitop3:0x80
	v_and_b32_e32 v8, 0xff, v8
	v_cndmask_b32_e32 v2, v4, v2, vcc_lo
	v_cmp_eq_u32_e64 s2, 0, v7
	v_cndmask_b32_e32 v3, v5, v3, vcc_lo
	s_delay_alu instid0(VALU_DEP_4) | instskip(NEXT) | instid1(VALU_DEP_1)
	v_cndmask_b32_e64 v4, v8, 1, vcc_lo
	v_dual_cndmask_b32 v20, 1, v4, s2 :: v_dual_cndmask_b32 v2, v10, v2, s2
	s_delay_alu instid0(VALU_DEP_3)
	v_cndmask_b32_e64 v3, v11, v3, s2
.LBB160_232:
	s_or_b32 exec_lo, exec_lo, s5
	s_wait_dscnt 0x0
	v_dual_add_nc_u32 v1, 2, v1 :: v_dual_bitop2_b32 v5, 8, v6 bitop3:0x54
	ds_bpermute_b32 v6, v5, v20
	ds_bpermute_b32 v4, v5, v2
	;; [unrolled: 1-line block ×3, first 2 shown]
	v_cmp_gt_u32_e32 vcc_lo, s3, v1
	s_and_saveexec_b32 s3, vcc_lo
	s_cbranch_execz .LBB160_234
; %bb.233:
	s_wait_dscnt 0x0
	v_min_i64 v[8:9], v[4:5], v[2:3]
	v_and_b32_e32 v1, 1, v20
	s_delay_alu instid0(VALU_DEP_1) | instskip(SKIP_2) | instid1(VALU_DEP_2)
	v_cmp_eq_u32_e32 vcc_lo, 1, v1
	v_bitop3_b32 v1, v20, 1, v6 bitop3:0x80
	v_cndmask_b32_e32 v2, v4, v2, vcc_lo
	v_cmp_eq_u32_e64 s2, 0, v1
	v_cndmask_b32_e32 v3, v5, v3, vcc_lo
	v_cndmask_b32_e64 v1, v6, 1, vcc_lo
	s_delay_alu instid0(VALU_DEP_1) | instskip(NEXT) | instid1(VALU_DEP_3)
	v_dual_cndmask_b32 v20, 1, v1, s2 :: v_dual_cndmask_b32 v2, v8, v2, s2
	v_cndmask_b32_e64 v3, v9, v3, s2
.LBB160_234:
	s_or_b32 exec_lo, exec_lo, s3
.LBB160_235:
	s_delay_alu instid0(SALU_CYCLE_1)
	s_or_b32 exec_lo, exec_lo, s4
	v_cmp_eq_u32_e64 s2, 0, v0
	s_and_saveexec_b32 s3, s2
	s_cbranch_execnz .LBB160_212
	s_branch .LBB160_213
	.section	.rodata,"a",@progbits
	.p2align	6, 0x0
	.amdhsa_kernel _ZN7rocprim17ROCPRIM_400000_NS6detail17trampoline_kernelINS0_14default_configENS1_22reduce_config_selectorIN6thrust23THRUST_200600_302600_NS5tupleIblNS6_9null_typeES8_S8_S8_S8_S8_S8_S8_EEEEZNS1_11reduce_implILb1ES3_NS6_12zip_iteratorINS7_INS6_11hip_rocprim26transform_input_iterator_tIbNSD_35transform_pair_of_input_iterators_tIbNS6_6detail15normal_iteratorINS6_10device_ptrIKjEEEESL_NS6_8equal_toIjEEEENSG_9not_fun_tINSD_8identityEEEEENSD_19counting_iterator_tIlEES8_S8_S8_S8_S8_S8_S8_S8_EEEEPS9_S9_NSD_9__find_if7functorIS9_EEEE10hipError_tPvRmT1_T2_T3_mT4_P12ihipStream_tbEUlT_E1_NS1_11comp_targetILNS1_3genE0ELNS1_11target_archE4294967295ELNS1_3gpuE0ELNS1_3repE0EEENS1_30default_config_static_selectorELNS0_4arch9wavefront6targetE0EEEvS14_
		.amdhsa_group_segment_fixed_size 320
		.amdhsa_private_segment_fixed_size 0
		.amdhsa_kernarg_size 88
		.amdhsa_user_sgpr_count 2
		.amdhsa_user_sgpr_dispatch_ptr 0
		.amdhsa_user_sgpr_queue_ptr 0
		.amdhsa_user_sgpr_kernarg_segment_ptr 1
		.amdhsa_user_sgpr_dispatch_id 0
		.amdhsa_user_sgpr_kernarg_preload_length 0
		.amdhsa_user_sgpr_kernarg_preload_offset 0
		.amdhsa_user_sgpr_private_segment_size 0
		.amdhsa_wavefront_size32 1
		.amdhsa_uses_dynamic_stack 0
		.amdhsa_enable_private_segment 0
		.amdhsa_system_sgpr_workgroup_id_x 1
		.amdhsa_system_sgpr_workgroup_id_y 0
		.amdhsa_system_sgpr_workgroup_id_z 0
		.amdhsa_system_sgpr_workgroup_info 0
		.amdhsa_system_vgpr_workitem_id 0
		.amdhsa_next_free_vgpr 28
		.amdhsa_next_free_sgpr 28
		.amdhsa_named_barrier_count 0
		.amdhsa_reserve_vcc 1
		.amdhsa_float_round_mode_32 0
		.amdhsa_float_round_mode_16_64 0
		.amdhsa_float_denorm_mode_32 3
		.amdhsa_float_denorm_mode_16_64 3
		.amdhsa_fp16_overflow 0
		.amdhsa_memory_ordered 1
		.amdhsa_forward_progress 1
		.amdhsa_inst_pref_size 104
		.amdhsa_round_robin_scheduling 0
		.amdhsa_exception_fp_ieee_invalid_op 0
		.amdhsa_exception_fp_denorm_src 0
		.amdhsa_exception_fp_ieee_div_zero 0
		.amdhsa_exception_fp_ieee_overflow 0
		.amdhsa_exception_fp_ieee_underflow 0
		.amdhsa_exception_fp_ieee_inexact 0
		.amdhsa_exception_int_div_zero 0
	.end_amdhsa_kernel
	.section	.text._ZN7rocprim17ROCPRIM_400000_NS6detail17trampoline_kernelINS0_14default_configENS1_22reduce_config_selectorIN6thrust23THRUST_200600_302600_NS5tupleIblNS6_9null_typeES8_S8_S8_S8_S8_S8_S8_EEEEZNS1_11reduce_implILb1ES3_NS6_12zip_iteratorINS7_INS6_11hip_rocprim26transform_input_iterator_tIbNSD_35transform_pair_of_input_iterators_tIbNS6_6detail15normal_iteratorINS6_10device_ptrIKjEEEESL_NS6_8equal_toIjEEEENSG_9not_fun_tINSD_8identityEEEEENSD_19counting_iterator_tIlEES8_S8_S8_S8_S8_S8_S8_S8_EEEEPS9_S9_NSD_9__find_if7functorIS9_EEEE10hipError_tPvRmT1_T2_T3_mT4_P12ihipStream_tbEUlT_E1_NS1_11comp_targetILNS1_3genE0ELNS1_11target_archE4294967295ELNS1_3gpuE0ELNS1_3repE0EEENS1_30default_config_static_selectorELNS0_4arch9wavefront6targetE0EEEvS14_,"axG",@progbits,_ZN7rocprim17ROCPRIM_400000_NS6detail17trampoline_kernelINS0_14default_configENS1_22reduce_config_selectorIN6thrust23THRUST_200600_302600_NS5tupleIblNS6_9null_typeES8_S8_S8_S8_S8_S8_S8_EEEEZNS1_11reduce_implILb1ES3_NS6_12zip_iteratorINS7_INS6_11hip_rocprim26transform_input_iterator_tIbNSD_35transform_pair_of_input_iterators_tIbNS6_6detail15normal_iteratorINS6_10device_ptrIKjEEEESL_NS6_8equal_toIjEEEENSG_9not_fun_tINSD_8identityEEEEENSD_19counting_iterator_tIlEES8_S8_S8_S8_S8_S8_S8_S8_EEEEPS9_S9_NSD_9__find_if7functorIS9_EEEE10hipError_tPvRmT1_T2_T3_mT4_P12ihipStream_tbEUlT_E1_NS1_11comp_targetILNS1_3genE0ELNS1_11target_archE4294967295ELNS1_3gpuE0ELNS1_3repE0EEENS1_30default_config_static_selectorELNS0_4arch9wavefront6targetE0EEEvS14_,comdat
.Lfunc_end160:
	.size	_ZN7rocprim17ROCPRIM_400000_NS6detail17trampoline_kernelINS0_14default_configENS1_22reduce_config_selectorIN6thrust23THRUST_200600_302600_NS5tupleIblNS6_9null_typeES8_S8_S8_S8_S8_S8_S8_EEEEZNS1_11reduce_implILb1ES3_NS6_12zip_iteratorINS7_INS6_11hip_rocprim26transform_input_iterator_tIbNSD_35transform_pair_of_input_iterators_tIbNS6_6detail15normal_iteratorINS6_10device_ptrIKjEEEESL_NS6_8equal_toIjEEEENSG_9not_fun_tINSD_8identityEEEEENSD_19counting_iterator_tIlEES8_S8_S8_S8_S8_S8_S8_S8_EEEEPS9_S9_NSD_9__find_if7functorIS9_EEEE10hipError_tPvRmT1_T2_T3_mT4_P12ihipStream_tbEUlT_E1_NS1_11comp_targetILNS1_3genE0ELNS1_11target_archE4294967295ELNS1_3gpuE0ELNS1_3repE0EEENS1_30default_config_static_selectorELNS0_4arch9wavefront6targetE0EEEvS14_, .Lfunc_end160-_ZN7rocprim17ROCPRIM_400000_NS6detail17trampoline_kernelINS0_14default_configENS1_22reduce_config_selectorIN6thrust23THRUST_200600_302600_NS5tupleIblNS6_9null_typeES8_S8_S8_S8_S8_S8_S8_EEEEZNS1_11reduce_implILb1ES3_NS6_12zip_iteratorINS7_INS6_11hip_rocprim26transform_input_iterator_tIbNSD_35transform_pair_of_input_iterators_tIbNS6_6detail15normal_iteratorINS6_10device_ptrIKjEEEESL_NS6_8equal_toIjEEEENSG_9not_fun_tINSD_8identityEEEEENSD_19counting_iterator_tIlEES8_S8_S8_S8_S8_S8_S8_S8_EEEEPS9_S9_NSD_9__find_if7functorIS9_EEEE10hipError_tPvRmT1_T2_T3_mT4_P12ihipStream_tbEUlT_E1_NS1_11comp_targetILNS1_3genE0ELNS1_11target_archE4294967295ELNS1_3gpuE0ELNS1_3repE0EEENS1_30default_config_static_selectorELNS0_4arch9wavefront6targetE0EEEvS14_
                                        ; -- End function
	.set _ZN7rocprim17ROCPRIM_400000_NS6detail17trampoline_kernelINS0_14default_configENS1_22reduce_config_selectorIN6thrust23THRUST_200600_302600_NS5tupleIblNS6_9null_typeES8_S8_S8_S8_S8_S8_S8_EEEEZNS1_11reduce_implILb1ES3_NS6_12zip_iteratorINS7_INS6_11hip_rocprim26transform_input_iterator_tIbNSD_35transform_pair_of_input_iterators_tIbNS6_6detail15normal_iteratorINS6_10device_ptrIKjEEEESL_NS6_8equal_toIjEEEENSG_9not_fun_tINSD_8identityEEEEENSD_19counting_iterator_tIlEES8_S8_S8_S8_S8_S8_S8_S8_EEEEPS9_S9_NSD_9__find_if7functorIS9_EEEE10hipError_tPvRmT1_T2_T3_mT4_P12ihipStream_tbEUlT_E1_NS1_11comp_targetILNS1_3genE0ELNS1_11target_archE4294967295ELNS1_3gpuE0ELNS1_3repE0EEENS1_30default_config_static_selectorELNS0_4arch9wavefront6targetE0EEEvS14_.num_vgpr, 28
	.set _ZN7rocprim17ROCPRIM_400000_NS6detail17trampoline_kernelINS0_14default_configENS1_22reduce_config_selectorIN6thrust23THRUST_200600_302600_NS5tupleIblNS6_9null_typeES8_S8_S8_S8_S8_S8_S8_EEEEZNS1_11reduce_implILb1ES3_NS6_12zip_iteratorINS7_INS6_11hip_rocprim26transform_input_iterator_tIbNSD_35transform_pair_of_input_iterators_tIbNS6_6detail15normal_iteratorINS6_10device_ptrIKjEEEESL_NS6_8equal_toIjEEEENSG_9not_fun_tINSD_8identityEEEEENSD_19counting_iterator_tIlEES8_S8_S8_S8_S8_S8_S8_S8_EEEEPS9_S9_NSD_9__find_if7functorIS9_EEEE10hipError_tPvRmT1_T2_T3_mT4_P12ihipStream_tbEUlT_E1_NS1_11comp_targetILNS1_3genE0ELNS1_11target_archE4294967295ELNS1_3gpuE0ELNS1_3repE0EEENS1_30default_config_static_selectorELNS0_4arch9wavefront6targetE0EEEvS14_.num_agpr, 0
	.set _ZN7rocprim17ROCPRIM_400000_NS6detail17trampoline_kernelINS0_14default_configENS1_22reduce_config_selectorIN6thrust23THRUST_200600_302600_NS5tupleIblNS6_9null_typeES8_S8_S8_S8_S8_S8_S8_EEEEZNS1_11reduce_implILb1ES3_NS6_12zip_iteratorINS7_INS6_11hip_rocprim26transform_input_iterator_tIbNSD_35transform_pair_of_input_iterators_tIbNS6_6detail15normal_iteratorINS6_10device_ptrIKjEEEESL_NS6_8equal_toIjEEEENSG_9not_fun_tINSD_8identityEEEEENSD_19counting_iterator_tIlEES8_S8_S8_S8_S8_S8_S8_S8_EEEEPS9_S9_NSD_9__find_if7functorIS9_EEEE10hipError_tPvRmT1_T2_T3_mT4_P12ihipStream_tbEUlT_E1_NS1_11comp_targetILNS1_3genE0ELNS1_11target_archE4294967295ELNS1_3gpuE0ELNS1_3repE0EEENS1_30default_config_static_selectorELNS0_4arch9wavefront6targetE0EEEvS14_.numbered_sgpr, 28
	.set _ZN7rocprim17ROCPRIM_400000_NS6detail17trampoline_kernelINS0_14default_configENS1_22reduce_config_selectorIN6thrust23THRUST_200600_302600_NS5tupleIblNS6_9null_typeES8_S8_S8_S8_S8_S8_S8_EEEEZNS1_11reduce_implILb1ES3_NS6_12zip_iteratorINS7_INS6_11hip_rocprim26transform_input_iterator_tIbNSD_35transform_pair_of_input_iterators_tIbNS6_6detail15normal_iteratorINS6_10device_ptrIKjEEEESL_NS6_8equal_toIjEEEENSG_9not_fun_tINSD_8identityEEEEENSD_19counting_iterator_tIlEES8_S8_S8_S8_S8_S8_S8_S8_EEEEPS9_S9_NSD_9__find_if7functorIS9_EEEE10hipError_tPvRmT1_T2_T3_mT4_P12ihipStream_tbEUlT_E1_NS1_11comp_targetILNS1_3genE0ELNS1_11target_archE4294967295ELNS1_3gpuE0ELNS1_3repE0EEENS1_30default_config_static_selectorELNS0_4arch9wavefront6targetE0EEEvS14_.num_named_barrier, 0
	.set _ZN7rocprim17ROCPRIM_400000_NS6detail17trampoline_kernelINS0_14default_configENS1_22reduce_config_selectorIN6thrust23THRUST_200600_302600_NS5tupleIblNS6_9null_typeES8_S8_S8_S8_S8_S8_S8_EEEEZNS1_11reduce_implILb1ES3_NS6_12zip_iteratorINS7_INS6_11hip_rocprim26transform_input_iterator_tIbNSD_35transform_pair_of_input_iterators_tIbNS6_6detail15normal_iteratorINS6_10device_ptrIKjEEEESL_NS6_8equal_toIjEEEENSG_9not_fun_tINSD_8identityEEEEENSD_19counting_iterator_tIlEES8_S8_S8_S8_S8_S8_S8_S8_EEEEPS9_S9_NSD_9__find_if7functorIS9_EEEE10hipError_tPvRmT1_T2_T3_mT4_P12ihipStream_tbEUlT_E1_NS1_11comp_targetILNS1_3genE0ELNS1_11target_archE4294967295ELNS1_3gpuE0ELNS1_3repE0EEENS1_30default_config_static_selectorELNS0_4arch9wavefront6targetE0EEEvS14_.private_seg_size, 0
	.set _ZN7rocprim17ROCPRIM_400000_NS6detail17trampoline_kernelINS0_14default_configENS1_22reduce_config_selectorIN6thrust23THRUST_200600_302600_NS5tupleIblNS6_9null_typeES8_S8_S8_S8_S8_S8_S8_EEEEZNS1_11reduce_implILb1ES3_NS6_12zip_iteratorINS7_INS6_11hip_rocprim26transform_input_iterator_tIbNSD_35transform_pair_of_input_iterators_tIbNS6_6detail15normal_iteratorINS6_10device_ptrIKjEEEESL_NS6_8equal_toIjEEEENSG_9not_fun_tINSD_8identityEEEEENSD_19counting_iterator_tIlEES8_S8_S8_S8_S8_S8_S8_S8_EEEEPS9_S9_NSD_9__find_if7functorIS9_EEEE10hipError_tPvRmT1_T2_T3_mT4_P12ihipStream_tbEUlT_E1_NS1_11comp_targetILNS1_3genE0ELNS1_11target_archE4294967295ELNS1_3gpuE0ELNS1_3repE0EEENS1_30default_config_static_selectorELNS0_4arch9wavefront6targetE0EEEvS14_.uses_vcc, 1
	.set _ZN7rocprim17ROCPRIM_400000_NS6detail17trampoline_kernelINS0_14default_configENS1_22reduce_config_selectorIN6thrust23THRUST_200600_302600_NS5tupleIblNS6_9null_typeES8_S8_S8_S8_S8_S8_S8_EEEEZNS1_11reduce_implILb1ES3_NS6_12zip_iteratorINS7_INS6_11hip_rocprim26transform_input_iterator_tIbNSD_35transform_pair_of_input_iterators_tIbNS6_6detail15normal_iteratorINS6_10device_ptrIKjEEEESL_NS6_8equal_toIjEEEENSG_9not_fun_tINSD_8identityEEEEENSD_19counting_iterator_tIlEES8_S8_S8_S8_S8_S8_S8_S8_EEEEPS9_S9_NSD_9__find_if7functorIS9_EEEE10hipError_tPvRmT1_T2_T3_mT4_P12ihipStream_tbEUlT_E1_NS1_11comp_targetILNS1_3genE0ELNS1_11target_archE4294967295ELNS1_3gpuE0ELNS1_3repE0EEENS1_30default_config_static_selectorELNS0_4arch9wavefront6targetE0EEEvS14_.uses_flat_scratch, 0
	.set _ZN7rocprim17ROCPRIM_400000_NS6detail17trampoline_kernelINS0_14default_configENS1_22reduce_config_selectorIN6thrust23THRUST_200600_302600_NS5tupleIblNS6_9null_typeES8_S8_S8_S8_S8_S8_S8_EEEEZNS1_11reduce_implILb1ES3_NS6_12zip_iteratorINS7_INS6_11hip_rocprim26transform_input_iterator_tIbNSD_35transform_pair_of_input_iterators_tIbNS6_6detail15normal_iteratorINS6_10device_ptrIKjEEEESL_NS6_8equal_toIjEEEENSG_9not_fun_tINSD_8identityEEEEENSD_19counting_iterator_tIlEES8_S8_S8_S8_S8_S8_S8_S8_EEEEPS9_S9_NSD_9__find_if7functorIS9_EEEE10hipError_tPvRmT1_T2_T3_mT4_P12ihipStream_tbEUlT_E1_NS1_11comp_targetILNS1_3genE0ELNS1_11target_archE4294967295ELNS1_3gpuE0ELNS1_3repE0EEENS1_30default_config_static_selectorELNS0_4arch9wavefront6targetE0EEEvS14_.has_dyn_sized_stack, 0
	.set _ZN7rocprim17ROCPRIM_400000_NS6detail17trampoline_kernelINS0_14default_configENS1_22reduce_config_selectorIN6thrust23THRUST_200600_302600_NS5tupleIblNS6_9null_typeES8_S8_S8_S8_S8_S8_S8_EEEEZNS1_11reduce_implILb1ES3_NS6_12zip_iteratorINS7_INS6_11hip_rocprim26transform_input_iterator_tIbNSD_35transform_pair_of_input_iterators_tIbNS6_6detail15normal_iteratorINS6_10device_ptrIKjEEEESL_NS6_8equal_toIjEEEENSG_9not_fun_tINSD_8identityEEEEENSD_19counting_iterator_tIlEES8_S8_S8_S8_S8_S8_S8_S8_EEEEPS9_S9_NSD_9__find_if7functorIS9_EEEE10hipError_tPvRmT1_T2_T3_mT4_P12ihipStream_tbEUlT_E1_NS1_11comp_targetILNS1_3genE0ELNS1_11target_archE4294967295ELNS1_3gpuE0ELNS1_3repE0EEENS1_30default_config_static_selectorELNS0_4arch9wavefront6targetE0EEEvS14_.has_recursion, 0
	.set _ZN7rocprim17ROCPRIM_400000_NS6detail17trampoline_kernelINS0_14default_configENS1_22reduce_config_selectorIN6thrust23THRUST_200600_302600_NS5tupleIblNS6_9null_typeES8_S8_S8_S8_S8_S8_S8_EEEEZNS1_11reduce_implILb1ES3_NS6_12zip_iteratorINS7_INS6_11hip_rocprim26transform_input_iterator_tIbNSD_35transform_pair_of_input_iterators_tIbNS6_6detail15normal_iteratorINS6_10device_ptrIKjEEEESL_NS6_8equal_toIjEEEENSG_9not_fun_tINSD_8identityEEEEENSD_19counting_iterator_tIlEES8_S8_S8_S8_S8_S8_S8_S8_EEEEPS9_S9_NSD_9__find_if7functorIS9_EEEE10hipError_tPvRmT1_T2_T3_mT4_P12ihipStream_tbEUlT_E1_NS1_11comp_targetILNS1_3genE0ELNS1_11target_archE4294967295ELNS1_3gpuE0ELNS1_3repE0EEENS1_30default_config_static_selectorELNS0_4arch9wavefront6targetE0EEEvS14_.has_indirect_call, 0
	.section	.AMDGPU.csdata,"",@progbits
; Kernel info:
; codeLenInByte = 13312
; TotalNumSgprs: 30
; NumVgprs: 28
; ScratchSize: 0
; MemoryBound: 0
; FloatMode: 240
; IeeeMode: 1
; LDSByteSize: 320 bytes/workgroup (compile time only)
; SGPRBlocks: 0
; VGPRBlocks: 1
; NumSGPRsForWavesPerEU: 30
; NumVGPRsForWavesPerEU: 28
; NamedBarCnt: 0
; Occupancy: 16
; WaveLimiterHint : 0
; COMPUTE_PGM_RSRC2:SCRATCH_EN: 0
; COMPUTE_PGM_RSRC2:USER_SGPR: 2
; COMPUTE_PGM_RSRC2:TRAP_HANDLER: 0
; COMPUTE_PGM_RSRC2:TGID_X_EN: 1
; COMPUTE_PGM_RSRC2:TGID_Y_EN: 0
; COMPUTE_PGM_RSRC2:TGID_Z_EN: 0
; COMPUTE_PGM_RSRC2:TIDIG_COMP_CNT: 0
	.section	.text._ZN7rocprim17ROCPRIM_400000_NS6detail17trampoline_kernelINS0_14default_configENS1_22reduce_config_selectorIN6thrust23THRUST_200600_302600_NS5tupleIblNS6_9null_typeES8_S8_S8_S8_S8_S8_S8_EEEEZNS1_11reduce_implILb1ES3_NS6_12zip_iteratorINS7_INS6_11hip_rocprim26transform_input_iterator_tIbNSD_35transform_pair_of_input_iterators_tIbNS6_6detail15normal_iteratorINS6_10device_ptrIKjEEEESL_NS6_8equal_toIjEEEENSG_9not_fun_tINSD_8identityEEEEENSD_19counting_iterator_tIlEES8_S8_S8_S8_S8_S8_S8_S8_EEEEPS9_S9_NSD_9__find_if7functorIS9_EEEE10hipError_tPvRmT1_T2_T3_mT4_P12ihipStream_tbEUlT_E1_NS1_11comp_targetILNS1_3genE5ELNS1_11target_archE942ELNS1_3gpuE9ELNS1_3repE0EEENS1_30default_config_static_selectorELNS0_4arch9wavefront6targetE0EEEvS14_,"axG",@progbits,_ZN7rocprim17ROCPRIM_400000_NS6detail17trampoline_kernelINS0_14default_configENS1_22reduce_config_selectorIN6thrust23THRUST_200600_302600_NS5tupleIblNS6_9null_typeES8_S8_S8_S8_S8_S8_S8_EEEEZNS1_11reduce_implILb1ES3_NS6_12zip_iteratorINS7_INS6_11hip_rocprim26transform_input_iterator_tIbNSD_35transform_pair_of_input_iterators_tIbNS6_6detail15normal_iteratorINS6_10device_ptrIKjEEEESL_NS6_8equal_toIjEEEENSG_9not_fun_tINSD_8identityEEEEENSD_19counting_iterator_tIlEES8_S8_S8_S8_S8_S8_S8_S8_EEEEPS9_S9_NSD_9__find_if7functorIS9_EEEE10hipError_tPvRmT1_T2_T3_mT4_P12ihipStream_tbEUlT_E1_NS1_11comp_targetILNS1_3genE5ELNS1_11target_archE942ELNS1_3gpuE9ELNS1_3repE0EEENS1_30default_config_static_selectorELNS0_4arch9wavefront6targetE0EEEvS14_,comdat
	.protected	_ZN7rocprim17ROCPRIM_400000_NS6detail17trampoline_kernelINS0_14default_configENS1_22reduce_config_selectorIN6thrust23THRUST_200600_302600_NS5tupleIblNS6_9null_typeES8_S8_S8_S8_S8_S8_S8_EEEEZNS1_11reduce_implILb1ES3_NS6_12zip_iteratorINS7_INS6_11hip_rocprim26transform_input_iterator_tIbNSD_35transform_pair_of_input_iterators_tIbNS6_6detail15normal_iteratorINS6_10device_ptrIKjEEEESL_NS6_8equal_toIjEEEENSG_9not_fun_tINSD_8identityEEEEENSD_19counting_iterator_tIlEES8_S8_S8_S8_S8_S8_S8_S8_EEEEPS9_S9_NSD_9__find_if7functorIS9_EEEE10hipError_tPvRmT1_T2_T3_mT4_P12ihipStream_tbEUlT_E1_NS1_11comp_targetILNS1_3genE5ELNS1_11target_archE942ELNS1_3gpuE9ELNS1_3repE0EEENS1_30default_config_static_selectorELNS0_4arch9wavefront6targetE0EEEvS14_ ; -- Begin function _ZN7rocprim17ROCPRIM_400000_NS6detail17trampoline_kernelINS0_14default_configENS1_22reduce_config_selectorIN6thrust23THRUST_200600_302600_NS5tupleIblNS6_9null_typeES8_S8_S8_S8_S8_S8_S8_EEEEZNS1_11reduce_implILb1ES3_NS6_12zip_iteratorINS7_INS6_11hip_rocprim26transform_input_iterator_tIbNSD_35transform_pair_of_input_iterators_tIbNS6_6detail15normal_iteratorINS6_10device_ptrIKjEEEESL_NS6_8equal_toIjEEEENSG_9not_fun_tINSD_8identityEEEEENSD_19counting_iterator_tIlEES8_S8_S8_S8_S8_S8_S8_S8_EEEEPS9_S9_NSD_9__find_if7functorIS9_EEEE10hipError_tPvRmT1_T2_T3_mT4_P12ihipStream_tbEUlT_E1_NS1_11comp_targetILNS1_3genE5ELNS1_11target_archE942ELNS1_3gpuE9ELNS1_3repE0EEENS1_30default_config_static_selectorELNS0_4arch9wavefront6targetE0EEEvS14_
	.globl	_ZN7rocprim17ROCPRIM_400000_NS6detail17trampoline_kernelINS0_14default_configENS1_22reduce_config_selectorIN6thrust23THRUST_200600_302600_NS5tupleIblNS6_9null_typeES8_S8_S8_S8_S8_S8_S8_EEEEZNS1_11reduce_implILb1ES3_NS6_12zip_iteratorINS7_INS6_11hip_rocprim26transform_input_iterator_tIbNSD_35transform_pair_of_input_iterators_tIbNS6_6detail15normal_iteratorINS6_10device_ptrIKjEEEESL_NS6_8equal_toIjEEEENSG_9not_fun_tINSD_8identityEEEEENSD_19counting_iterator_tIlEES8_S8_S8_S8_S8_S8_S8_S8_EEEEPS9_S9_NSD_9__find_if7functorIS9_EEEE10hipError_tPvRmT1_T2_T3_mT4_P12ihipStream_tbEUlT_E1_NS1_11comp_targetILNS1_3genE5ELNS1_11target_archE942ELNS1_3gpuE9ELNS1_3repE0EEENS1_30default_config_static_selectorELNS0_4arch9wavefront6targetE0EEEvS14_
	.p2align	8
	.type	_ZN7rocprim17ROCPRIM_400000_NS6detail17trampoline_kernelINS0_14default_configENS1_22reduce_config_selectorIN6thrust23THRUST_200600_302600_NS5tupleIblNS6_9null_typeES8_S8_S8_S8_S8_S8_S8_EEEEZNS1_11reduce_implILb1ES3_NS6_12zip_iteratorINS7_INS6_11hip_rocprim26transform_input_iterator_tIbNSD_35transform_pair_of_input_iterators_tIbNS6_6detail15normal_iteratorINS6_10device_ptrIKjEEEESL_NS6_8equal_toIjEEEENSG_9not_fun_tINSD_8identityEEEEENSD_19counting_iterator_tIlEES8_S8_S8_S8_S8_S8_S8_S8_EEEEPS9_S9_NSD_9__find_if7functorIS9_EEEE10hipError_tPvRmT1_T2_T3_mT4_P12ihipStream_tbEUlT_E1_NS1_11comp_targetILNS1_3genE5ELNS1_11target_archE942ELNS1_3gpuE9ELNS1_3repE0EEENS1_30default_config_static_selectorELNS0_4arch9wavefront6targetE0EEEvS14_,@function
_ZN7rocprim17ROCPRIM_400000_NS6detail17trampoline_kernelINS0_14default_configENS1_22reduce_config_selectorIN6thrust23THRUST_200600_302600_NS5tupleIblNS6_9null_typeES8_S8_S8_S8_S8_S8_S8_EEEEZNS1_11reduce_implILb1ES3_NS6_12zip_iteratorINS7_INS6_11hip_rocprim26transform_input_iterator_tIbNSD_35transform_pair_of_input_iterators_tIbNS6_6detail15normal_iteratorINS6_10device_ptrIKjEEEESL_NS6_8equal_toIjEEEENSG_9not_fun_tINSD_8identityEEEEENSD_19counting_iterator_tIlEES8_S8_S8_S8_S8_S8_S8_S8_EEEEPS9_S9_NSD_9__find_if7functorIS9_EEEE10hipError_tPvRmT1_T2_T3_mT4_P12ihipStream_tbEUlT_E1_NS1_11comp_targetILNS1_3genE5ELNS1_11target_archE942ELNS1_3gpuE9ELNS1_3repE0EEENS1_30default_config_static_selectorELNS0_4arch9wavefront6targetE0EEEvS14_: ; @_ZN7rocprim17ROCPRIM_400000_NS6detail17trampoline_kernelINS0_14default_configENS1_22reduce_config_selectorIN6thrust23THRUST_200600_302600_NS5tupleIblNS6_9null_typeES8_S8_S8_S8_S8_S8_S8_EEEEZNS1_11reduce_implILb1ES3_NS6_12zip_iteratorINS7_INS6_11hip_rocprim26transform_input_iterator_tIbNSD_35transform_pair_of_input_iterators_tIbNS6_6detail15normal_iteratorINS6_10device_ptrIKjEEEESL_NS6_8equal_toIjEEEENSG_9not_fun_tINSD_8identityEEEEENSD_19counting_iterator_tIlEES8_S8_S8_S8_S8_S8_S8_S8_EEEEPS9_S9_NSD_9__find_if7functorIS9_EEEE10hipError_tPvRmT1_T2_T3_mT4_P12ihipStream_tbEUlT_E1_NS1_11comp_targetILNS1_3genE5ELNS1_11target_archE942ELNS1_3gpuE9ELNS1_3repE0EEENS1_30default_config_static_selectorELNS0_4arch9wavefront6targetE0EEEvS14_
; %bb.0:
	.section	.rodata,"a",@progbits
	.p2align	6, 0x0
	.amdhsa_kernel _ZN7rocprim17ROCPRIM_400000_NS6detail17trampoline_kernelINS0_14default_configENS1_22reduce_config_selectorIN6thrust23THRUST_200600_302600_NS5tupleIblNS6_9null_typeES8_S8_S8_S8_S8_S8_S8_EEEEZNS1_11reduce_implILb1ES3_NS6_12zip_iteratorINS7_INS6_11hip_rocprim26transform_input_iterator_tIbNSD_35transform_pair_of_input_iterators_tIbNS6_6detail15normal_iteratorINS6_10device_ptrIKjEEEESL_NS6_8equal_toIjEEEENSG_9not_fun_tINSD_8identityEEEEENSD_19counting_iterator_tIlEES8_S8_S8_S8_S8_S8_S8_S8_EEEEPS9_S9_NSD_9__find_if7functorIS9_EEEE10hipError_tPvRmT1_T2_T3_mT4_P12ihipStream_tbEUlT_E1_NS1_11comp_targetILNS1_3genE5ELNS1_11target_archE942ELNS1_3gpuE9ELNS1_3repE0EEENS1_30default_config_static_selectorELNS0_4arch9wavefront6targetE0EEEvS14_
		.amdhsa_group_segment_fixed_size 0
		.amdhsa_private_segment_fixed_size 0
		.amdhsa_kernarg_size 88
		.amdhsa_user_sgpr_count 2
		.amdhsa_user_sgpr_dispatch_ptr 0
		.amdhsa_user_sgpr_queue_ptr 0
		.amdhsa_user_sgpr_kernarg_segment_ptr 1
		.amdhsa_user_sgpr_dispatch_id 0
		.amdhsa_user_sgpr_kernarg_preload_length 0
		.amdhsa_user_sgpr_kernarg_preload_offset 0
		.amdhsa_user_sgpr_private_segment_size 0
		.amdhsa_wavefront_size32 1
		.amdhsa_uses_dynamic_stack 0
		.amdhsa_enable_private_segment 0
		.amdhsa_system_sgpr_workgroup_id_x 1
		.amdhsa_system_sgpr_workgroup_id_y 0
		.amdhsa_system_sgpr_workgroup_id_z 0
		.amdhsa_system_sgpr_workgroup_info 0
		.amdhsa_system_vgpr_workitem_id 0
		.amdhsa_next_free_vgpr 1
		.amdhsa_next_free_sgpr 1
		.amdhsa_named_barrier_count 0
		.amdhsa_reserve_vcc 0
		.amdhsa_float_round_mode_32 0
		.amdhsa_float_round_mode_16_64 0
		.amdhsa_float_denorm_mode_32 3
		.amdhsa_float_denorm_mode_16_64 3
		.amdhsa_fp16_overflow 0
		.amdhsa_memory_ordered 1
		.amdhsa_forward_progress 1
		.amdhsa_inst_pref_size 0
		.amdhsa_round_robin_scheduling 0
		.amdhsa_exception_fp_ieee_invalid_op 0
		.amdhsa_exception_fp_denorm_src 0
		.amdhsa_exception_fp_ieee_div_zero 0
		.amdhsa_exception_fp_ieee_overflow 0
		.amdhsa_exception_fp_ieee_underflow 0
		.amdhsa_exception_fp_ieee_inexact 0
		.amdhsa_exception_int_div_zero 0
	.end_amdhsa_kernel
	.section	.text._ZN7rocprim17ROCPRIM_400000_NS6detail17trampoline_kernelINS0_14default_configENS1_22reduce_config_selectorIN6thrust23THRUST_200600_302600_NS5tupleIblNS6_9null_typeES8_S8_S8_S8_S8_S8_S8_EEEEZNS1_11reduce_implILb1ES3_NS6_12zip_iteratorINS7_INS6_11hip_rocprim26transform_input_iterator_tIbNSD_35transform_pair_of_input_iterators_tIbNS6_6detail15normal_iteratorINS6_10device_ptrIKjEEEESL_NS6_8equal_toIjEEEENSG_9not_fun_tINSD_8identityEEEEENSD_19counting_iterator_tIlEES8_S8_S8_S8_S8_S8_S8_S8_EEEEPS9_S9_NSD_9__find_if7functorIS9_EEEE10hipError_tPvRmT1_T2_T3_mT4_P12ihipStream_tbEUlT_E1_NS1_11comp_targetILNS1_3genE5ELNS1_11target_archE942ELNS1_3gpuE9ELNS1_3repE0EEENS1_30default_config_static_selectorELNS0_4arch9wavefront6targetE0EEEvS14_,"axG",@progbits,_ZN7rocprim17ROCPRIM_400000_NS6detail17trampoline_kernelINS0_14default_configENS1_22reduce_config_selectorIN6thrust23THRUST_200600_302600_NS5tupleIblNS6_9null_typeES8_S8_S8_S8_S8_S8_S8_EEEEZNS1_11reduce_implILb1ES3_NS6_12zip_iteratorINS7_INS6_11hip_rocprim26transform_input_iterator_tIbNSD_35transform_pair_of_input_iterators_tIbNS6_6detail15normal_iteratorINS6_10device_ptrIKjEEEESL_NS6_8equal_toIjEEEENSG_9not_fun_tINSD_8identityEEEEENSD_19counting_iterator_tIlEES8_S8_S8_S8_S8_S8_S8_S8_EEEEPS9_S9_NSD_9__find_if7functorIS9_EEEE10hipError_tPvRmT1_T2_T3_mT4_P12ihipStream_tbEUlT_E1_NS1_11comp_targetILNS1_3genE5ELNS1_11target_archE942ELNS1_3gpuE9ELNS1_3repE0EEENS1_30default_config_static_selectorELNS0_4arch9wavefront6targetE0EEEvS14_,comdat
.Lfunc_end161:
	.size	_ZN7rocprim17ROCPRIM_400000_NS6detail17trampoline_kernelINS0_14default_configENS1_22reduce_config_selectorIN6thrust23THRUST_200600_302600_NS5tupleIblNS6_9null_typeES8_S8_S8_S8_S8_S8_S8_EEEEZNS1_11reduce_implILb1ES3_NS6_12zip_iteratorINS7_INS6_11hip_rocprim26transform_input_iterator_tIbNSD_35transform_pair_of_input_iterators_tIbNS6_6detail15normal_iteratorINS6_10device_ptrIKjEEEESL_NS6_8equal_toIjEEEENSG_9not_fun_tINSD_8identityEEEEENSD_19counting_iterator_tIlEES8_S8_S8_S8_S8_S8_S8_S8_EEEEPS9_S9_NSD_9__find_if7functorIS9_EEEE10hipError_tPvRmT1_T2_T3_mT4_P12ihipStream_tbEUlT_E1_NS1_11comp_targetILNS1_3genE5ELNS1_11target_archE942ELNS1_3gpuE9ELNS1_3repE0EEENS1_30default_config_static_selectorELNS0_4arch9wavefront6targetE0EEEvS14_, .Lfunc_end161-_ZN7rocprim17ROCPRIM_400000_NS6detail17trampoline_kernelINS0_14default_configENS1_22reduce_config_selectorIN6thrust23THRUST_200600_302600_NS5tupleIblNS6_9null_typeES8_S8_S8_S8_S8_S8_S8_EEEEZNS1_11reduce_implILb1ES3_NS6_12zip_iteratorINS7_INS6_11hip_rocprim26transform_input_iterator_tIbNSD_35transform_pair_of_input_iterators_tIbNS6_6detail15normal_iteratorINS6_10device_ptrIKjEEEESL_NS6_8equal_toIjEEEENSG_9not_fun_tINSD_8identityEEEEENSD_19counting_iterator_tIlEES8_S8_S8_S8_S8_S8_S8_S8_EEEEPS9_S9_NSD_9__find_if7functorIS9_EEEE10hipError_tPvRmT1_T2_T3_mT4_P12ihipStream_tbEUlT_E1_NS1_11comp_targetILNS1_3genE5ELNS1_11target_archE942ELNS1_3gpuE9ELNS1_3repE0EEENS1_30default_config_static_selectorELNS0_4arch9wavefront6targetE0EEEvS14_
                                        ; -- End function
	.set _ZN7rocprim17ROCPRIM_400000_NS6detail17trampoline_kernelINS0_14default_configENS1_22reduce_config_selectorIN6thrust23THRUST_200600_302600_NS5tupleIblNS6_9null_typeES8_S8_S8_S8_S8_S8_S8_EEEEZNS1_11reduce_implILb1ES3_NS6_12zip_iteratorINS7_INS6_11hip_rocprim26transform_input_iterator_tIbNSD_35transform_pair_of_input_iterators_tIbNS6_6detail15normal_iteratorINS6_10device_ptrIKjEEEESL_NS6_8equal_toIjEEEENSG_9not_fun_tINSD_8identityEEEEENSD_19counting_iterator_tIlEES8_S8_S8_S8_S8_S8_S8_S8_EEEEPS9_S9_NSD_9__find_if7functorIS9_EEEE10hipError_tPvRmT1_T2_T3_mT4_P12ihipStream_tbEUlT_E1_NS1_11comp_targetILNS1_3genE5ELNS1_11target_archE942ELNS1_3gpuE9ELNS1_3repE0EEENS1_30default_config_static_selectorELNS0_4arch9wavefront6targetE0EEEvS14_.num_vgpr, 0
	.set _ZN7rocprim17ROCPRIM_400000_NS6detail17trampoline_kernelINS0_14default_configENS1_22reduce_config_selectorIN6thrust23THRUST_200600_302600_NS5tupleIblNS6_9null_typeES8_S8_S8_S8_S8_S8_S8_EEEEZNS1_11reduce_implILb1ES3_NS6_12zip_iteratorINS7_INS6_11hip_rocprim26transform_input_iterator_tIbNSD_35transform_pair_of_input_iterators_tIbNS6_6detail15normal_iteratorINS6_10device_ptrIKjEEEESL_NS6_8equal_toIjEEEENSG_9not_fun_tINSD_8identityEEEEENSD_19counting_iterator_tIlEES8_S8_S8_S8_S8_S8_S8_S8_EEEEPS9_S9_NSD_9__find_if7functorIS9_EEEE10hipError_tPvRmT1_T2_T3_mT4_P12ihipStream_tbEUlT_E1_NS1_11comp_targetILNS1_3genE5ELNS1_11target_archE942ELNS1_3gpuE9ELNS1_3repE0EEENS1_30default_config_static_selectorELNS0_4arch9wavefront6targetE0EEEvS14_.num_agpr, 0
	.set _ZN7rocprim17ROCPRIM_400000_NS6detail17trampoline_kernelINS0_14default_configENS1_22reduce_config_selectorIN6thrust23THRUST_200600_302600_NS5tupleIblNS6_9null_typeES8_S8_S8_S8_S8_S8_S8_EEEEZNS1_11reduce_implILb1ES3_NS6_12zip_iteratorINS7_INS6_11hip_rocprim26transform_input_iterator_tIbNSD_35transform_pair_of_input_iterators_tIbNS6_6detail15normal_iteratorINS6_10device_ptrIKjEEEESL_NS6_8equal_toIjEEEENSG_9not_fun_tINSD_8identityEEEEENSD_19counting_iterator_tIlEES8_S8_S8_S8_S8_S8_S8_S8_EEEEPS9_S9_NSD_9__find_if7functorIS9_EEEE10hipError_tPvRmT1_T2_T3_mT4_P12ihipStream_tbEUlT_E1_NS1_11comp_targetILNS1_3genE5ELNS1_11target_archE942ELNS1_3gpuE9ELNS1_3repE0EEENS1_30default_config_static_selectorELNS0_4arch9wavefront6targetE0EEEvS14_.numbered_sgpr, 0
	.set _ZN7rocprim17ROCPRIM_400000_NS6detail17trampoline_kernelINS0_14default_configENS1_22reduce_config_selectorIN6thrust23THRUST_200600_302600_NS5tupleIblNS6_9null_typeES8_S8_S8_S8_S8_S8_S8_EEEEZNS1_11reduce_implILb1ES3_NS6_12zip_iteratorINS7_INS6_11hip_rocprim26transform_input_iterator_tIbNSD_35transform_pair_of_input_iterators_tIbNS6_6detail15normal_iteratorINS6_10device_ptrIKjEEEESL_NS6_8equal_toIjEEEENSG_9not_fun_tINSD_8identityEEEEENSD_19counting_iterator_tIlEES8_S8_S8_S8_S8_S8_S8_S8_EEEEPS9_S9_NSD_9__find_if7functorIS9_EEEE10hipError_tPvRmT1_T2_T3_mT4_P12ihipStream_tbEUlT_E1_NS1_11comp_targetILNS1_3genE5ELNS1_11target_archE942ELNS1_3gpuE9ELNS1_3repE0EEENS1_30default_config_static_selectorELNS0_4arch9wavefront6targetE0EEEvS14_.num_named_barrier, 0
	.set _ZN7rocprim17ROCPRIM_400000_NS6detail17trampoline_kernelINS0_14default_configENS1_22reduce_config_selectorIN6thrust23THRUST_200600_302600_NS5tupleIblNS6_9null_typeES8_S8_S8_S8_S8_S8_S8_EEEEZNS1_11reduce_implILb1ES3_NS6_12zip_iteratorINS7_INS6_11hip_rocprim26transform_input_iterator_tIbNSD_35transform_pair_of_input_iterators_tIbNS6_6detail15normal_iteratorINS6_10device_ptrIKjEEEESL_NS6_8equal_toIjEEEENSG_9not_fun_tINSD_8identityEEEEENSD_19counting_iterator_tIlEES8_S8_S8_S8_S8_S8_S8_S8_EEEEPS9_S9_NSD_9__find_if7functorIS9_EEEE10hipError_tPvRmT1_T2_T3_mT4_P12ihipStream_tbEUlT_E1_NS1_11comp_targetILNS1_3genE5ELNS1_11target_archE942ELNS1_3gpuE9ELNS1_3repE0EEENS1_30default_config_static_selectorELNS0_4arch9wavefront6targetE0EEEvS14_.private_seg_size, 0
	.set _ZN7rocprim17ROCPRIM_400000_NS6detail17trampoline_kernelINS0_14default_configENS1_22reduce_config_selectorIN6thrust23THRUST_200600_302600_NS5tupleIblNS6_9null_typeES8_S8_S8_S8_S8_S8_S8_EEEEZNS1_11reduce_implILb1ES3_NS6_12zip_iteratorINS7_INS6_11hip_rocprim26transform_input_iterator_tIbNSD_35transform_pair_of_input_iterators_tIbNS6_6detail15normal_iteratorINS6_10device_ptrIKjEEEESL_NS6_8equal_toIjEEEENSG_9not_fun_tINSD_8identityEEEEENSD_19counting_iterator_tIlEES8_S8_S8_S8_S8_S8_S8_S8_EEEEPS9_S9_NSD_9__find_if7functorIS9_EEEE10hipError_tPvRmT1_T2_T3_mT4_P12ihipStream_tbEUlT_E1_NS1_11comp_targetILNS1_3genE5ELNS1_11target_archE942ELNS1_3gpuE9ELNS1_3repE0EEENS1_30default_config_static_selectorELNS0_4arch9wavefront6targetE0EEEvS14_.uses_vcc, 0
	.set _ZN7rocprim17ROCPRIM_400000_NS6detail17trampoline_kernelINS0_14default_configENS1_22reduce_config_selectorIN6thrust23THRUST_200600_302600_NS5tupleIblNS6_9null_typeES8_S8_S8_S8_S8_S8_S8_EEEEZNS1_11reduce_implILb1ES3_NS6_12zip_iteratorINS7_INS6_11hip_rocprim26transform_input_iterator_tIbNSD_35transform_pair_of_input_iterators_tIbNS6_6detail15normal_iteratorINS6_10device_ptrIKjEEEESL_NS6_8equal_toIjEEEENSG_9not_fun_tINSD_8identityEEEEENSD_19counting_iterator_tIlEES8_S8_S8_S8_S8_S8_S8_S8_EEEEPS9_S9_NSD_9__find_if7functorIS9_EEEE10hipError_tPvRmT1_T2_T3_mT4_P12ihipStream_tbEUlT_E1_NS1_11comp_targetILNS1_3genE5ELNS1_11target_archE942ELNS1_3gpuE9ELNS1_3repE0EEENS1_30default_config_static_selectorELNS0_4arch9wavefront6targetE0EEEvS14_.uses_flat_scratch, 0
	.set _ZN7rocprim17ROCPRIM_400000_NS6detail17trampoline_kernelINS0_14default_configENS1_22reduce_config_selectorIN6thrust23THRUST_200600_302600_NS5tupleIblNS6_9null_typeES8_S8_S8_S8_S8_S8_S8_EEEEZNS1_11reduce_implILb1ES3_NS6_12zip_iteratorINS7_INS6_11hip_rocprim26transform_input_iterator_tIbNSD_35transform_pair_of_input_iterators_tIbNS6_6detail15normal_iteratorINS6_10device_ptrIKjEEEESL_NS6_8equal_toIjEEEENSG_9not_fun_tINSD_8identityEEEEENSD_19counting_iterator_tIlEES8_S8_S8_S8_S8_S8_S8_S8_EEEEPS9_S9_NSD_9__find_if7functorIS9_EEEE10hipError_tPvRmT1_T2_T3_mT4_P12ihipStream_tbEUlT_E1_NS1_11comp_targetILNS1_3genE5ELNS1_11target_archE942ELNS1_3gpuE9ELNS1_3repE0EEENS1_30default_config_static_selectorELNS0_4arch9wavefront6targetE0EEEvS14_.has_dyn_sized_stack, 0
	.set _ZN7rocprim17ROCPRIM_400000_NS6detail17trampoline_kernelINS0_14default_configENS1_22reduce_config_selectorIN6thrust23THRUST_200600_302600_NS5tupleIblNS6_9null_typeES8_S8_S8_S8_S8_S8_S8_EEEEZNS1_11reduce_implILb1ES3_NS6_12zip_iteratorINS7_INS6_11hip_rocprim26transform_input_iterator_tIbNSD_35transform_pair_of_input_iterators_tIbNS6_6detail15normal_iteratorINS6_10device_ptrIKjEEEESL_NS6_8equal_toIjEEEENSG_9not_fun_tINSD_8identityEEEEENSD_19counting_iterator_tIlEES8_S8_S8_S8_S8_S8_S8_S8_EEEEPS9_S9_NSD_9__find_if7functorIS9_EEEE10hipError_tPvRmT1_T2_T3_mT4_P12ihipStream_tbEUlT_E1_NS1_11comp_targetILNS1_3genE5ELNS1_11target_archE942ELNS1_3gpuE9ELNS1_3repE0EEENS1_30default_config_static_selectorELNS0_4arch9wavefront6targetE0EEEvS14_.has_recursion, 0
	.set _ZN7rocprim17ROCPRIM_400000_NS6detail17trampoline_kernelINS0_14default_configENS1_22reduce_config_selectorIN6thrust23THRUST_200600_302600_NS5tupleIblNS6_9null_typeES8_S8_S8_S8_S8_S8_S8_EEEEZNS1_11reduce_implILb1ES3_NS6_12zip_iteratorINS7_INS6_11hip_rocprim26transform_input_iterator_tIbNSD_35transform_pair_of_input_iterators_tIbNS6_6detail15normal_iteratorINS6_10device_ptrIKjEEEESL_NS6_8equal_toIjEEEENSG_9not_fun_tINSD_8identityEEEEENSD_19counting_iterator_tIlEES8_S8_S8_S8_S8_S8_S8_S8_EEEEPS9_S9_NSD_9__find_if7functorIS9_EEEE10hipError_tPvRmT1_T2_T3_mT4_P12ihipStream_tbEUlT_E1_NS1_11comp_targetILNS1_3genE5ELNS1_11target_archE942ELNS1_3gpuE9ELNS1_3repE0EEENS1_30default_config_static_selectorELNS0_4arch9wavefront6targetE0EEEvS14_.has_indirect_call, 0
	.section	.AMDGPU.csdata,"",@progbits
; Kernel info:
; codeLenInByte = 0
; TotalNumSgprs: 0
; NumVgprs: 0
; ScratchSize: 0
; MemoryBound: 0
; FloatMode: 240
; IeeeMode: 1
; LDSByteSize: 0 bytes/workgroup (compile time only)
; SGPRBlocks: 0
; VGPRBlocks: 0
; NumSGPRsForWavesPerEU: 1
; NumVGPRsForWavesPerEU: 1
; NamedBarCnt: 0
; Occupancy: 16
; WaveLimiterHint : 0
; COMPUTE_PGM_RSRC2:SCRATCH_EN: 0
; COMPUTE_PGM_RSRC2:USER_SGPR: 2
; COMPUTE_PGM_RSRC2:TRAP_HANDLER: 0
; COMPUTE_PGM_RSRC2:TGID_X_EN: 1
; COMPUTE_PGM_RSRC2:TGID_Y_EN: 0
; COMPUTE_PGM_RSRC2:TGID_Z_EN: 0
; COMPUTE_PGM_RSRC2:TIDIG_COMP_CNT: 0
	.section	.text._ZN7rocprim17ROCPRIM_400000_NS6detail17trampoline_kernelINS0_14default_configENS1_22reduce_config_selectorIN6thrust23THRUST_200600_302600_NS5tupleIblNS6_9null_typeES8_S8_S8_S8_S8_S8_S8_EEEEZNS1_11reduce_implILb1ES3_NS6_12zip_iteratorINS7_INS6_11hip_rocprim26transform_input_iterator_tIbNSD_35transform_pair_of_input_iterators_tIbNS6_6detail15normal_iteratorINS6_10device_ptrIKjEEEESL_NS6_8equal_toIjEEEENSG_9not_fun_tINSD_8identityEEEEENSD_19counting_iterator_tIlEES8_S8_S8_S8_S8_S8_S8_S8_EEEEPS9_S9_NSD_9__find_if7functorIS9_EEEE10hipError_tPvRmT1_T2_T3_mT4_P12ihipStream_tbEUlT_E1_NS1_11comp_targetILNS1_3genE4ELNS1_11target_archE910ELNS1_3gpuE8ELNS1_3repE0EEENS1_30default_config_static_selectorELNS0_4arch9wavefront6targetE0EEEvS14_,"axG",@progbits,_ZN7rocprim17ROCPRIM_400000_NS6detail17trampoline_kernelINS0_14default_configENS1_22reduce_config_selectorIN6thrust23THRUST_200600_302600_NS5tupleIblNS6_9null_typeES8_S8_S8_S8_S8_S8_S8_EEEEZNS1_11reduce_implILb1ES3_NS6_12zip_iteratorINS7_INS6_11hip_rocprim26transform_input_iterator_tIbNSD_35transform_pair_of_input_iterators_tIbNS6_6detail15normal_iteratorINS6_10device_ptrIKjEEEESL_NS6_8equal_toIjEEEENSG_9not_fun_tINSD_8identityEEEEENSD_19counting_iterator_tIlEES8_S8_S8_S8_S8_S8_S8_S8_EEEEPS9_S9_NSD_9__find_if7functorIS9_EEEE10hipError_tPvRmT1_T2_T3_mT4_P12ihipStream_tbEUlT_E1_NS1_11comp_targetILNS1_3genE4ELNS1_11target_archE910ELNS1_3gpuE8ELNS1_3repE0EEENS1_30default_config_static_selectorELNS0_4arch9wavefront6targetE0EEEvS14_,comdat
	.protected	_ZN7rocprim17ROCPRIM_400000_NS6detail17trampoline_kernelINS0_14default_configENS1_22reduce_config_selectorIN6thrust23THRUST_200600_302600_NS5tupleIblNS6_9null_typeES8_S8_S8_S8_S8_S8_S8_EEEEZNS1_11reduce_implILb1ES3_NS6_12zip_iteratorINS7_INS6_11hip_rocprim26transform_input_iterator_tIbNSD_35transform_pair_of_input_iterators_tIbNS6_6detail15normal_iteratorINS6_10device_ptrIKjEEEESL_NS6_8equal_toIjEEEENSG_9not_fun_tINSD_8identityEEEEENSD_19counting_iterator_tIlEES8_S8_S8_S8_S8_S8_S8_S8_EEEEPS9_S9_NSD_9__find_if7functorIS9_EEEE10hipError_tPvRmT1_T2_T3_mT4_P12ihipStream_tbEUlT_E1_NS1_11comp_targetILNS1_3genE4ELNS1_11target_archE910ELNS1_3gpuE8ELNS1_3repE0EEENS1_30default_config_static_selectorELNS0_4arch9wavefront6targetE0EEEvS14_ ; -- Begin function _ZN7rocprim17ROCPRIM_400000_NS6detail17trampoline_kernelINS0_14default_configENS1_22reduce_config_selectorIN6thrust23THRUST_200600_302600_NS5tupleIblNS6_9null_typeES8_S8_S8_S8_S8_S8_S8_EEEEZNS1_11reduce_implILb1ES3_NS6_12zip_iteratorINS7_INS6_11hip_rocprim26transform_input_iterator_tIbNSD_35transform_pair_of_input_iterators_tIbNS6_6detail15normal_iteratorINS6_10device_ptrIKjEEEESL_NS6_8equal_toIjEEEENSG_9not_fun_tINSD_8identityEEEEENSD_19counting_iterator_tIlEES8_S8_S8_S8_S8_S8_S8_S8_EEEEPS9_S9_NSD_9__find_if7functorIS9_EEEE10hipError_tPvRmT1_T2_T3_mT4_P12ihipStream_tbEUlT_E1_NS1_11comp_targetILNS1_3genE4ELNS1_11target_archE910ELNS1_3gpuE8ELNS1_3repE0EEENS1_30default_config_static_selectorELNS0_4arch9wavefront6targetE0EEEvS14_
	.globl	_ZN7rocprim17ROCPRIM_400000_NS6detail17trampoline_kernelINS0_14default_configENS1_22reduce_config_selectorIN6thrust23THRUST_200600_302600_NS5tupleIblNS6_9null_typeES8_S8_S8_S8_S8_S8_S8_EEEEZNS1_11reduce_implILb1ES3_NS6_12zip_iteratorINS7_INS6_11hip_rocprim26transform_input_iterator_tIbNSD_35transform_pair_of_input_iterators_tIbNS6_6detail15normal_iteratorINS6_10device_ptrIKjEEEESL_NS6_8equal_toIjEEEENSG_9not_fun_tINSD_8identityEEEEENSD_19counting_iterator_tIlEES8_S8_S8_S8_S8_S8_S8_S8_EEEEPS9_S9_NSD_9__find_if7functorIS9_EEEE10hipError_tPvRmT1_T2_T3_mT4_P12ihipStream_tbEUlT_E1_NS1_11comp_targetILNS1_3genE4ELNS1_11target_archE910ELNS1_3gpuE8ELNS1_3repE0EEENS1_30default_config_static_selectorELNS0_4arch9wavefront6targetE0EEEvS14_
	.p2align	8
	.type	_ZN7rocprim17ROCPRIM_400000_NS6detail17trampoline_kernelINS0_14default_configENS1_22reduce_config_selectorIN6thrust23THRUST_200600_302600_NS5tupleIblNS6_9null_typeES8_S8_S8_S8_S8_S8_S8_EEEEZNS1_11reduce_implILb1ES3_NS6_12zip_iteratorINS7_INS6_11hip_rocprim26transform_input_iterator_tIbNSD_35transform_pair_of_input_iterators_tIbNS6_6detail15normal_iteratorINS6_10device_ptrIKjEEEESL_NS6_8equal_toIjEEEENSG_9not_fun_tINSD_8identityEEEEENSD_19counting_iterator_tIlEES8_S8_S8_S8_S8_S8_S8_S8_EEEEPS9_S9_NSD_9__find_if7functorIS9_EEEE10hipError_tPvRmT1_T2_T3_mT4_P12ihipStream_tbEUlT_E1_NS1_11comp_targetILNS1_3genE4ELNS1_11target_archE910ELNS1_3gpuE8ELNS1_3repE0EEENS1_30default_config_static_selectorELNS0_4arch9wavefront6targetE0EEEvS14_,@function
_ZN7rocprim17ROCPRIM_400000_NS6detail17trampoline_kernelINS0_14default_configENS1_22reduce_config_selectorIN6thrust23THRUST_200600_302600_NS5tupleIblNS6_9null_typeES8_S8_S8_S8_S8_S8_S8_EEEEZNS1_11reduce_implILb1ES3_NS6_12zip_iteratorINS7_INS6_11hip_rocprim26transform_input_iterator_tIbNSD_35transform_pair_of_input_iterators_tIbNS6_6detail15normal_iteratorINS6_10device_ptrIKjEEEESL_NS6_8equal_toIjEEEENSG_9not_fun_tINSD_8identityEEEEENSD_19counting_iterator_tIlEES8_S8_S8_S8_S8_S8_S8_S8_EEEEPS9_S9_NSD_9__find_if7functorIS9_EEEE10hipError_tPvRmT1_T2_T3_mT4_P12ihipStream_tbEUlT_E1_NS1_11comp_targetILNS1_3genE4ELNS1_11target_archE910ELNS1_3gpuE8ELNS1_3repE0EEENS1_30default_config_static_selectorELNS0_4arch9wavefront6targetE0EEEvS14_: ; @_ZN7rocprim17ROCPRIM_400000_NS6detail17trampoline_kernelINS0_14default_configENS1_22reduce_config_selectorIN6thrust23THRUST_200600_302600_NS5tupleIblNS6_9null_typeES8_S8_S8_S8_S8_S8_S8_EEEEZNS1_11reduce_implILb1ES3_NS6_12zip_iteratorINS7_INS6_11hip_rocprim26transform_input_iterator_tIbNSD_35transform_pair_of_input_iterators_tIbNS6_6detail15normal_iteratorINS6_10device_ptrIKjEEEESL_NS6_8equal_toIjEEEENSG_9not_fun_tINSD_8identityEEEEENSD_19counting_iterator_tIlEES8_S8_S8_S8_S8_S8_S8_S8_EEEEPS9_S9_NSD_9__find_if7functorIS9_EEEE10hipError_tPvRmT1_T2_T3_mT4_P12ihipStream_tbEUlT_E1_NS1_11comp_targetILNS1_3genE4ELNS1_11target_archE910ELNS1_3gpuE8ELNS1_3repE0EEENS1_30default_config_static_selectorELNS0_4arch9wavefront6targetE0EEEvS14_
; %bb.0:
	.section	.rodata,"a",@progbits
	.p2align	6, 0x0
	.amdhsa_kernel _ZN7rocprim17ROCPRIM_400000_NS6detail17trampoline_kernelINS0_14default_configENS1_22reduce_config_selectorIN6thrust23THRUST_200600_302600_NS5tupleIblNS6_9null_typeES8_S8_S8_S8_S8_S8_S8_EEEEZNS1_11reduce_implILb1ES3_NS6_12zip_iteratorINS7_INS6_11hip_rocprim26transform_input_iterator_tIbNSD_35transform_pair_of_input_iterators_tIbNS6_6detail15normal_iteratorINS6_10device_ptrIKjEEEESL_NS6_8equal_toIjEEEENSG_9not_fun_tINSD_8identityEEEEENSD_19counting_iterator_tIlEES8_S8_S8_S8_S8_S8_S8_S8_EEEEPS9_S9_NSD_9__find_if7functorIS9_EEEE10hipError_tPvRmT1_T2_T3_mT4_P12ihipStream_tbEUlT_E1_NS1_11comp_targetILNS1_3genE4ELNS1_11target_archE910ELNS1_3gpuE8ELNS1_3repE0EEENS1_30default_config_static_selectorELNS0_4arch9wavefront6targetE0EEEvS14_
		.amdhsa_group_segment_fixed_size 0
		.amdhsa_private_segment_fixed_size 0
		.amdhsa_kernarg_size 88
		.amdhsa_user_sgpr_count 2
		.amdhsa_user_sgpr_dispatch_ptr 0
		.amdhsa_user_sgpr_queue_ptr 0
		.amdhsa_user_sgpr_kernarg_segment_ptr 1
		.amdhsa_user_sgpr_dispatch_id 0
		.amdhsa_user_sgpr_kernarg_preload_length 0
		.amdhsa_user_sgpr_kernarg_preload_offset 0
		.amdhsa_user_sgpr_private_segment_size 0
		.amdhsa_wavefront_size32 1
		.amdhsa_uses_dynamic_stack 0
		.amdhsa_enable_private_segment 0
		.amdhsa_system_sgpr_workgroup_id_x 1
		.amdhsa_system_sgpr_workgroup_id_y 0
		.amdhsa_system_sgpr_workgroup_id_z 0
		.amdhsa_system_sgpr_workgroup_info 0
		.amdhsa_system_vgpr_workitem_id 0
		.amdhsa_next_free_vgpr 1
		.amdhsa_next_free_sgpr 1
		.amdhsa_named_barrier_count 0
		.amdhsa_reserve_vcc 0
		.amdhsa_float_round_mode_32 0
		.amdhsa_float_round_mode_16_64 0
		.amdhsa_float_denorm_mode_32 3
		.amdhsa_float_denorm_mode_16_64 3
		.amdhsa_fp16_overflow 0
		.amdhsa_memory_ordered 1
		.amdhsa_forward_progress 1
		.amdhsa_inst_pref_size 0
		.amdhsa_round_robin_scheduling 0
		.amdhsa_exception_fp_ieee_invalid_op 0
		.amdhsa_exception_fp_denorm_src 0
		.amdhsa_exception_fp_ieee_div_zero 0
		.amdhsa_exception_fp_ieee_overflow 0
		.amdhsa_exception_fp_ieee_underflow 0
		.amdhsa_exception_fp_ieee_inexact 0
		.amdhsa_exception_int_div_zero 0
	.end_amdhsa_kernel
	.section	.text._ZN7rocprim17ROCPRIM_400000_NS6detail17trampoline_kernelINS0_14default_configENS1_22reduce_config_selectorIN6thrust23THRUST_200600_302600_NS5tupleIblNS6_9null_typeES8_S8_S8_S8_S8_S8_S8_EEEEZNS1_11reduce_implILb1ES3_NS6_12zip_iteratorINS7_INS6_11hip_rocprim26transform_input_iterator_tIbNSD_35transform_pair_of_input_iterators_tIbNS6_6detail15normal_iteratorINS6_10device_ptrIKjEEEESL_NS6_8equal_toIjEEEENSG_9not_fun_tINSD_8identityEEEEENSD_19counting_iterator_tIlEES8_S8_S8_S8_S8_S8_S8_S8_EEEEPS9_S9_NSD_9__find_if7functorIS9_EEEE10hipError_tPvRmT1_T2_T3_mT4_P12ihipStream_tbEUlT_E1_NS1_11comp_targetILNS1_3genE4ELNS1_11target_archE910ELNS1_3gpuE8ELNS1_3repE0EEENS1_30default_config_static_selectorELNS0_4arch9wavefront6targetE0EEEvS14_,"axG",@progbits,_ZN7rocprim17ROCPRIM_400000_NS6detail17trampoline_kernelINS0_14default_configENS1_22reduce_config_selectorIN6thrust23THRUST_200600_302600_NS5tupleIblNS6_9null_typeES8_S8_S8_S8_S8_S8_S8_EEEEZNS1_11reduce_implILb1ES3_NS6_12zip_iteratorINS7_INS6_11hip_rocprim26transform_input_iterator_tIbNSD_35transform_pair_of_input_iterators_tIbNS6_6detail15normal_iteratorINS6_10device_ptrIKjEEEESL_NS6_8equal_toIjEEEENSG_9not_fun_tINSD_8identityEEEEENSD_19counting_iterator_tIlEES8_S8_S8_S8_S8_S8_S8_S8_EEEEPS9_S9_NSD_9__find_if7functorIS9_EEEE10hipError_tPvRmT1_T2_T3_mT4_P12ihipStream_tbEUlT_E1_NS1_11comp_targetILNS1_3genE4ELNS1_11target_archE910ELNS1_3gpuE8ELNS1_3repE0EEENS1_30default_config_static_selectorELNS0_4arch9wavefront6targetE0EEEvS14_,comdat
.Lfunc_end162:
	.size	_ZN7rocprim17ROCPRIM_400000_NS6detail17trampoline_kernelINS0_14default_configENS1_22reduce_config_selectorIN6thrust23THRUST_200600_302600_NS5tupleIblNS6_9null_typeES8_S8_S8_S8_S8_S8_S8_EEEEZNS1_11reduce_implILb1ES3_NS6_12zip_iteratorINS7_INS6_11hip_rocprim26transform_input_iterator_tIbNSD_35transform_pair_of_input_iterators_tIbNS6_6detail15normal_iteratorINS6_10device_ptrIKjEEEESL_NS6_8equal_toIjEEEENSG_9not_fun_tINSD_8identityEEEEENSD_19counting_iterator_tIlEES8_S8_S8_S8_S8_S8_S8_S8_EEEEPS9_S9_NSD_9__find_if7functorIS9_EEEE10hipError_tPvRmT1_T2_T3_mT4_P12ihipStream_tbEUlT_E1_NS1_11comp_targetILNS1_3genE4ELNS1_11target_archE910ELNS1_3gpuE8ELNS1_3repE0EEENS1_30default_config_static_selectorELNS0_4arch9wavefront6targetE0EEEvS14_, .Lfunc_end162-_ZN7rocprim17ROCPRIM_400000_NS6detail17trampoline_kernelINS0_14default_configENS1_22reduce_config_selectorIN6thrust23THRUST_200600_302600_NS5tupleIblNS6_9null_typeES8_S8_S8_S8_S8_S8_S8_EEEEZNS1_11reduce_implILb1ES3_NS6_12zip_iteratorINS7_INS6_11hip_rocprim26transform_input_iterator_tIbNSD_35transform_pair_of_input_iterators_tIbNS6_6detail15normal_iteratorINS6_10device_ptrIKjEEEESL_NS6_8equal_toIjEEEENSG_9not_fun_tINSD_8identityEEEEENSD_19counting_iterator_tIlEES8_S8_S8_S8_S8_S8_S8_S8_EEEEPS9_S9_NSD_9__find_if7functorIS9_EEEE10hipError_tPvRmT1_T2_T3_mT4_P12ihipStream_tbEUlT_E1_NS1_11comp_targetILNS1_3genE4ELNS1_11target_archE910ELNS1_3gpuE8ELNS1_3repE0EEENS1_30default_config_static_selectorELNS0_4arch9wavefront6targetE0EEEvS14_
                                        ; -- End function
	.set _ZN7rocprim17ROCPRIM_400000_NS6detail17trampoline_kernelINS0_14default_configENS1_22reduce_config_selectorIN6thrust23THRUST_200600_302600_NS5tupleIblNS6_9null_typeES8_S8_S8_S8_S8_S8_S8_EEEEZNS1_11reduce_implILb1ES3_NS6_12zip_iteratorINS7_INS6_11hip_rocprim26transform_input_iterator_tIbNSD_35transform_pair_of_input_iterators_tIbNS6_6detail15normal_iteratorINS6_10device_ptrIKjEEEESL_NS6_8equal_toIjEEEENSG_9not_fun_tINSD_8identityEEEEENSD_19counting_iterator_tIlEES8_S8_S8_S8_S8_S8_S8_S8_EEEEPS9_S9_NSD_9__find_if7functorIS9_EEEE10hipError_tPvRmT1_T2_T3_mT4_P12ihipStream_tbEUlT_E1_NS1_11comp_targetILNS1_3genE4ELNS1_11target_archE910ELNS1_3gpuE8ELNS1_3repE0EEENS1_30default_config_static_selectorELNS0_4arch9wavefront6targetE0EEEvS14_.num_vgpr, 0
	.set _ZN7rocprim17ROCPRIM_400000_NS6detail17trampoline_kernelINS0_14default_configENS1_22reduce_config_selectorIN6thrust23THRUST_200600_302600_NS5tupleIblNS6_9null_typeES8_S8_S8_S8_S8_S8_S8_EEEEZNS1_11reduce_implILb1ES3_NS6_12zip_iteratorINS7_INS6_11hip_rocprim26transform_input_iterator_tIbNSD_35transform_pair_of_input_iterators_tIbNS6_6detail15normal_iteratorINS6_10device_ptrIKjEEEESL_NS6_8equal_toIjEEEENSG_9not_fun_tINSD_8identityEEEEENSD_19counting_iterator_tIlEES8_S8_S8_S8_S8_S8_S8_S8_EEEEPS9_S9_NSD_9__find_if7functorIS9_EEEE10hipError_tPvRmT1_T2_T3_mT4_P12ihipStream_tbEUlT_E1_NS1_11comp_targetILNS1_3genE4ELNS1_11target_archE910ELNS1_3gpuE8ELNS1_3repE0EEENS1_30default_config_static_selectorELNS0_4arch9wavefront6targetE0EEEvS14_.num_agpr, 0
	.set _ZN7rocprim17ROCPRIM_400000_NS6detail17trampoline_kernelINS0_14default_configENS1_22reduce_config_selectorIN6thrust23THRUST_200600_302600_NS5tupleIblNS6_9null_typeES8_S8_S8_S8_S8_S8_S8_EEEEZNS1_11reduce_implILb1ES3_NS6_12zip_iteratorINS7_INS6_11hip_rocprim26transform_input_iterator_tIbNSD_35transform_pair_of_input_iterators_tIbNS6_6detail15normal_iteratorINS6_10device_ptrIKjEEEESL_NS6_8equal_toIjEEEENSG_9not_fun_tINSD_8identityEEEEENSD_19counting_iterator_tIlEES8_S8_S8_S8_S8_S8_S8_S8_EEEEPS9_S9_NSD_9__find_if7functorIS9_EEEE10hipError_tPvRmT1_T2_T3_mT4_P12ihipStream_tbEUlT_E1_NS1_11comp_targetILNS1_3genE4ELNS1_11target_archE910ELNS1_3gpuE8ELNS1_3repE0EEENS1_30default_config_static_selectorELNS0_4arch9wavefront6targetE0EEEvS14_.numbered_sgpr, 0
	.set _ZN7rocprim17ROCPRIM_400000_NS6detail17trampoline_kernelINS0_14default_configENS1_22reduce_config_selectorIN6thrust23THRUST_200600_302600_NS5tupleIblNS6_9null_typeES8_S8_S8_S8_S8_S8_S8_EEEEZNS1_11reduce_implILb1ES3_NS6_12zip_iteratorINS7_INS6_11hip_rocprim26transform_input_iterator_tIbNSD_35transform_pair_of_input_iterators_tIbNS6_6detail15normal_iteratorINS6_10device_ptrIKjEEEESL_NS6_8equal_toIjEEEENSG_9not_fun_tINSD_8identityEEEEENSD_19counting_iterator_tIlEES8_S8_S8_S8_S8_S8_S8_S8_EEEEPS9_S9_NSD_9__find_if7functorIS9_EEEE10hipError_tPvRmT1_T2_T3_mT4_P12ihipStream_tbEUlT_E1_NS1_11comp_targetILNS1_3genE4ELNS1_11target_archE910ELNS1_3gpuE8ELNS1_3repE0EEENS1_30default_config_static_selectorELNS0_4arch9wavefront6targetE0EEEvS14_.num_named_barrier, 0
	.set _ZN7rocprim17ROCPRIM_400000_NS6detail17trampoline_kernelINS0_14default_configENS1_22reduce_config_selectorIN6thrust23THRUST_200600_302600_NS5tupleIblNS6_9null_typeES8_S8_S8_S8_S8_S8_S8_EEEEZNS1_11reduce_implILb1ES3_NS6_12zip_iteratorINS7_INS6_11hip_rocprim26transform_input_iterator_tIbNSD_35transform_pair_of_input_iterators_tIbNS6_6detail15normal_iteratorINS6_10device_ptrIKjEEEESL_NS6_8equal_toIjEEEENSG_9not_fun_tINSD_8identityEEEEENSD_19counting_iterator_tIlEES8_S8_S8_S8_S8_S8_S8_S8_EEEEPS9_S9_NSD_9__find_if7functorIS9_EEEE10hipError_tPvRmT1_T2_T3_mT4_P12ihipStream_tbEUlT_E1_NS1_11comp_targetILNS1_3genE4ELNS1_11target_archE910ELNS1_3gpuE8ELNS1_3repE0EEENS1_30default_config_static_selectorELNS0_4arch9wavefront6targetE0EEEvS14_.private_seg_size, 0
	.set _ZN7rocprim17ROCPRIM_400000_NS6detail17trampoline_kernelINS0_14default_configENS1_22reduce_config_selectorIN6thrust23THRUST_200600_302600_NS5tupleIblNS6_9null_typeES8_S8_S8_S8_S8_S8_S8_EEEEZNS1_11reduce_implILb1ES3_NS6_12zip_iteratorINS7_INS6_11hip_rocprim26transform_input_iterator_tIbNSD_35transform_pair_of_input_iterators_tIbNS6_6detail15normal_iteratorINS6_10device_ptrIKjEEEESL_NS6_8equal_toIjEEEENSG_9not_fun_tINSD_8identityEEEEENSD_19counting_iterator_tIlEES8_S8_S8_S8_S8_S8_S8_S8_EEEEPS9_S9_NSD_9__find_if7functorIS9_EEEE10hipError_tPvRmT1_T2_T3_mT4_P12ihipStream_tbEUlT_E1_NS1_11comp_targetILNS1_3genE4ELNS1_11target_archE910ELNS1_3gpuE8ELNS1_3repE0EEENS1_30default_config_static_selectorELNS0_4arch9wavefront6targetE0EEEvS14_.uses_vcc, 0
	.set _ZN7rocprim17ROCPRIM_400000_NS6detail17trampoline_kernelINS0_14default_configENS1_22reduce_config_selectorIN6thrust23THRUST_200600_302600_NS5tupleIblNS6_9null_typeES8_S8_S8_S8_S8_S8_S8_EEEEZNS1_11reduce_implILb1ES3_NS6_12zip_iteratorINS7_INS6_11hip_rocprim26transform_input_iterator_tIbNSD_35transform_pair_of_input_iterators_tIbNS6_6detail15normal_iteratorINS6_10device_ptrIKjEEEESL_NS6_8equal_toIjEEEENSG_9not_fun_tINSD_8identityEEEEENSD_19counting_iterator_tIlEES8_S8_S8_S8_S8_S8_S8_S8_EEEEPS9_S9_NSD_9__find_if7functorIS9_EEEE10hipError_tPvRmT1_T2_T3_mT4_P12ihipStream_tbEUlT_E1_NS1_11comp_targetILNS1_3genE4ELNS1_11target_archE910ELNS1_3gpuE8ELNS1_3repE0EEENS1_30default_config_static_selectorELNS0_4arch9wavefront6targetE0EEEvS14_.uses_flat_scratch, 0
	.set _ZN7rocprim17ROCPRIM_400000_NS6detail17trampoline_kernelINS0_14default_configENS1_22reduce_config_selectorIN6thrust23THRUST_200600_302600_NS5tupleIblNS6_9null_typeES8_S8_S8_S8_S8_S8_S8_EEEEZNS1_11reduce_implILb1ES3_NS6_12zip_iteratorINS7_INS6_11hip_rocprim26transform_input_iterator_tIbNSD_35transform_pair_of_input_iterators_tIbNS6_6detail15normal_iteratorINS6_10device_ptrIKjEEEESL_NS6_8equal_toIjEEEENSG_9not_fun_tINSD_8identityEEEEENSD_19counting_iterator_tIlEES8_S8_S8_S8_S8_S8_S8_S8_EEEEPS9_S9_NSD_9__find_if7functorIS9_EEEE10hipError_tPvRmT1_T2_T3_mT4_P12ihipStream_tbEUlT_E1_NS1_11comp_targetILNS1_3genE4ELNS1_11target_archE910ELNS1_3gpuE8ELNS1_3repE0EEENS1_30default_config_static_selectorELNS0_4arch9wavefront6targetE0EEEvS14_.has_dyn_sized_stack, 0
	.set _ZN7rocprim17ROCPRIM_400000_NS6detail17trampoline_kernelINS0_14default_configENS1_22reduce_config_selectorIN6thrust23THRUST_200600_302600_NS5tupleIblNS6_9null_typeES8_S8_S8_S8_S8_S8_S8_EEEEZNS1_11reduce_implILb1ES3_NS6_12zip_iteratorINS7_INS6_11hip_rocprim26transform_input_iterator_tIbNSD_35transform_pair_of_input_iterators_tIbNS6_6detail15normal_iteratorINS6_10device_ptrIKjEEEESL_NS6_8equal_toIjEEEENSG_9not_fun_tINSD_8identityEEEEENSD_19counting_iterator_tIlEES8_S8_S8_S8_S8_S8_S8_S8_EEEEPS9_S9_NSD_9__find_if7functorIS9_EEEE10hipError_tPvRmT1_T2_T3_mT4_P12ihipStream_tbEUlT_E1_NS1_11comp_targetILNS1_3genE4ELNS1_11target_archE910ELNS1_3gpuE8ELNS1_3repE0EEENS1_30default_config_static_selectorELNS0_4arch9wavefront6targetE0EEEvS14_.has_recursion, 0
	.set _ZN7rocprim17ROCPRIM_400000_NS6detail17trampoline_kernelINS0_14default_configENS1_22reduce_config_selectorIN6thrust23THRUST_200600_302600_NS5tupleIblNS6_9null_typeES8_S8_S8_S8_S8_S8_S8_EEEEZNS1_11reduce_implILb1ES3_NS6_12zip_iteratorINS7_INS6_11hip_rocprim26transform_input_iterator_tIbNSD_35transform_pair_of_input_iterators_tIbNS6_6detail15normal_iteratorINS6_10device_ptrIKjEEEESL_NS6_8equal_toIjEEEENSG_9not_fun_tINSD_8identityEEEEENSD_19counting_iterator_tIlEES8_S8_S8_S8_S8_S8_S8_S8_EEEEPS9_S9_NSD_9__find_if7functorIS9_EEEE10hipError_tPvRmT1_T2_T3_mT4_P12ihipStream_tbEUlT_E1_NS1_11comp_targetILNS1_3genE4ELNS1_11target_archE910ELNS1_3gpuE8ELNS1_3repE0EEENS1_30default_config_static_selectorELNS0_4arch9wavefront6targetE0EEEvS14_.has_indirect_call, 0
	.section	.AMDGPU.csdata,"",@progbits
; Kernel info:
; codeLenInByte = 0
; TotalNumSgprs: 0
; NumVgprs: 0
; ScratchSize: 0
; MemoryBound: 0
; FloatMode: 240
; IeeeMode: 1
; LDSByteSize: 0 bytes/workgroup (compile time only)
; SGPRBlocks: 0
; VGPRBlocks: 0
; NumSGPRsForWavesPerEU: 1
; NumVGPRsForWavesPerEU: 1
; NamedBarCnt: 0
; Occupancy: 16
; WaveLimiterHint : 0
; COMPUTE_PGM_RSRC2:SCRATCH_EN: 0
; COMPUTE_PGM_RSRC2:USER_SGPR: 2
; COMPUTE_PGM_RSRC2:TRAP_HANDLER: 0
; COMPUTE_PGM_RSRC2:TGID_X_EN: 1
; COMPUTE_PGM_RSRC2:TGID_Y_EN: 0
; COMPUTE_PGM_RSRC2:TGID_Z_EN: 0
; COMPUTE_PGM_RSRC2:TIDIG_COMP_CNT: 0
	.section	.text._ZN7rocprim17ROCPRIM_400000_NS6detail17trampoline_kernelINS0_14default_configENS1_22reduce_config_selectorIN6thrust23THRUST_200600_302600_NS5tupleIblNS6_9null_typeES8_S8_S8_S8_S8_S8_S8_EEEEZNS1_11reduce_implILb1ES3_NS6_12zip_iteratorINS7_INS6_11hip_rocprim26transform_input_iterator_tIbNSD_35transform_pair_of_input_iterators_tIbNS6_6detail15normal_iteratorINS6_10device_ptrIKjEEEESL_NS6_8equal_toIjEEEENSG_9not_fun_tINSD_8identityEEEEENSD_19counting_iterator_tIlEES8_S8_S8_S8_S8_S8_S8_S8_EEEEPS9_S9_NSD_9__find_if7functorIS9_EEEE10hipError_tPvRmT1_T2_T3_mT4_P12ihipStream_tbEUlT_E1_NS1_11comp_targetILNS1_3genE3ELNS1_11target_archE908ELNS1_3gpuE7ELNS1_3repE0EEENS1_30default_config_static_selectorELNS0_4arch9wavefront6targetE0EEEvS14_,"axG",@progbits,_ZN7rocprim17ROCPRIM_400000_NS6detail17trampoline_kernelINS0_14default_configENS1_22reduce_config_selectorIN6thrust23THRUST_200600_302600_NS5tupleIblNS6_9null_typeES8_S8_S8_S8_S8_S8_S8_EEEEZNS1_11reduce_implILb1ES3_NS6_12zip_iteratorINS7_INS6_11hip_rocprim26transform_input_iterator_tIbNSD_35transform_pair_of_input_iterators_tIbNS6_6detail15normal_iteratorINS6_10device_ptrIKjEEEESL_NS6_8equal_toIjEEEENSG_9not_fun_tINSD_8identityEEEEENSD_19counting_iterator_tIlEES8_S8_S8_S8_S8_S8_S8_S8_EEEEPS9_S9_NSD_9__find_if7functorIS9_EEEE10hipError_tPvRmT1_T2_T3_mT4_P12ihipStream_tbEUlT_E1_NS1_11comp_targetILNS1_3genE3ELNS1_11target_archE908ELNS1_3gpuE7ELNS1_3repE0EEENS1_30default_config_static_selectorELNS0_4arch9wavefront6targetE0EEEvS14_,comdat
	.protected	_ZN7rocprim17ROCPRIM_400000_NS6detail17trampoline_kernelINS0_14default_configENS1_22reduce_config_selectorIN6thrust23THRUST_200600_302600_NS5tupleIblNS6_9null_typeES8_S8_S8_S8_S8_S8_S8_EEEEZNS1_11reduce_implILb1ES3_NS6_12zip_iteratorINS7_INS6_11hip_rocprim26transform_input_iterator_tIbNSD_35transform_pair_of_input_iterators_tIbNS6_6detail15normal_iteratorINS6_10device_ptrIKjEEEESL_NS6_8equal_toIjEEEENSG_9not_fun_tINSD_8identityEEEEENSD_19counting_iterator_tIlEES8_S8_S8_S8_S8_S8_S8_S8_EEEEPS9_S9_NSD_9__find_if7functorIS9_EEEE10hipError_tPvRmT1_T2_T3_mT4_P12ihipStream_tbEUlT_E1_NS1_11comp_targetILNS1_3genE3ELNS1_11target_archE908ELNS1_3gpuE7ELNS1_3repE0EEENS1_30default_config_static_selectorELNS0_4arch9wavefront6targetE0EEEvS14_ ; -- Begin function _ZN7rocprim17ROCPRIM_400000_NS6detail17trampoline_kernelINS0_14default_configENS1_22reduce_config_selectorIN6thrust23THRUST_200600_302600_NS5tupleIblNS6_9null_typeES8_S8_S8_S8_S8_S8_S8_EEEEZNS1_11reduce_implILb1ES3_NS6_12zip_iteratorINS7_INS6_11hip_rocprim26transform_input_iterator_tIbNSD_35transform_pair_of_input_iterators_tIbNS6_6detail15normal_iteratorINS6_10device_ptrIKjEEEESL_NS6_8equal_toIjEEEENSG_9not_fun_tINSD_8identityEEEEENSD_19counting_iterator_tIlEES8_S8_S8_S8_S8_S8_S8_S8_EEEEPS9_S9_NSD_9__find_if7functorIS9_EEEE10hipError_tPvRmT1_T2_T3_mT4_P12ihipStream_tbEUlT_E1_NS1_11comp_targetILNS1_3genE3ELNS1_11target_archE908ELNS1_3gpuE7ELNS1_3repE0EEENS1_30default_config_static_selectorELNS0_4arch9wavefront6targetE0EEEvS14_
	.globl	_ZN7rocprim17ROCPRIM_400000_NS6detail17trampoline_kernelINS0_14default_configENS1_22reduce_config_selectorIN6thrust23THRUST_200600_302600_NS5tupleIblNS6_9null_typeES8_S8_S8_S8_S8_S8_S8_EEEEZNS1_11reduce_implILb1ES3_NS6_12zip_iteratorINS7_INS6_11hip_rocprim26transform_input_iterator_tIbNSD_35transform_pair_of_input_iterators_tIbNS6_6detail15normal_iteratorINS6_10device_ptrIKjEEEESL_NS6_8equal_toIjEEEENSG_9not_fun_tINSD_8identityEEEEENSD_19counting_iterator_tIlEES8_S8_S8_S8_S8_S8_S8_S8_EEEEPS9_S9_NSD_9__find_if7functorIS9_EEEE10hipError_tPvRmT1_T2_T3_mT4_P12ihipStream_tbEUlT_E1_NS1_11comp_targetILNS1_3genE3ELNS1_11target_archE908ELNS1_3gpuE7ELNS1_3repE0EEENS1_30default_config_static_selectorELNS0_4arch9wavefront6targetE0EEEvS14_
	.p2align	8
	.type	_ZN7rocprim17ROCPRIM_400000_NS6detail17trampoline_kernelINS0_14default_configENS1_22reduce_config_selectorIN6thrust23THRUST_200600_302600_NS5tupleIblNS6_9null_typeES8_S8_S8_S8_S8_S8_S8_EEEEZNS1_11reduce_implILb1ES3_NS6_12zip_iteratorINS7_INS6_11hip_rocprim26transform_input_iterator_tIbNSD_35transform_pair_of_input_iterators_tIbNS6_6detail15normal_iteratorINS6_10device_ptrIKjEEEESL_NS6_8equal_toIjEEEENSG_9not_fun_tINSD_8identityEEEEENSD_19counting_iterator_tIlEES8_S8_S8_S8_S8_S8_S8_S8_EEEEPS9_S9_NSD_9__find_if7functorIS9_EEEE10hipError_tPvRmT1_T2_T3_mT4_P12ihipStream_tbEUlT_E1_NS1_11comp_targetILNS1_3genE3ELNS1_11target_archE908ELNS1_3gpuE7ELNS1_3repE0EEENS1_30default_config_static_selectorELNS0_4arch9wavefront6targetE0EEEvS14_,@function
_ZN7rocprim17ROCPRIM_400000_NS6detail17trampoline_kernelINS0_14default_configENS1_22reduce_config_selectorIN6thrust23THRUST_200600_302600_NS5tupleIblNS6_9null_typeES8_S8_S8_S8_S8_S8_S8_EEEEZNS1_11reduce_implILb1ES3_NS6_12zip_iteratorINS7_INS6_11hip_rocprim26transform_input_iterator_tIbNSD_35transform_pair_of_input_iterators_tIbNS6_6detail15normal_iteratorINS6_10device_ptrIKjEEEESL_NS6_8equal_toIjEEEENSG_9not_fun_tINSD_8identityEEEEENSD_19counting_iterator_tIlEES8_S8_S8_S8_S8_S8_S8_S8_EEEEPS9_S9_NSD_9__find_if7functorIS9_EEEE10hipError_tPvRmT1_T2_T3_mT4_P12ihipStream_tbEUlT_E1_NS1_11comp_targetILNS1_3genE3ELNS1_11target_archE908ELNS1_3gpuE7ELNS1_3repE0EEENS1_30default_config_static_selectorELNS0_4arch9wavefront6targetE0EEEvS14_: ; @_ZN7rocprim17ROCPRIM_400000_NS6detail17trampoline_kernelINS0_14default_configENS1_22reduce_config_selectorIN6thrust23THRUST_200600_302600_NS5tupleIblNS6_9null_typeES8_S8_S8_S8_S8_S8_S8_EEEEZNS1_11reduce_implILb1ES3_NS6_12zip_iteratorINS7_INS6_11hip_rocprim26transform_input_iterator_tIbNSD_35transform_pair_of_input_iterators_tIbNS6_6detail15normal_iteratorINS6_10device_ptrIKjEEEESL_NS6_8equal_toIjEEEENSG_9not_fun_tINSD_8identityEEEEENSD_19counting_iterator_tIlEES8_S8_S8_S8_S8_S8_S8_S8_EEEEPS9_S9_NSD_9__find_if7functorIS9_EEEE10hipError_tPvRmT1_T2_T3_mT4_P12ihipStream_tbEUlT_E1_NS1_11comp_targetILNS1_3genE3ELNS1_11target_archE908ELNS1_3gpuE7ELNS1_3repE0EEENS1_30default_config_static_selectorELNS0_4arch9wavefront6targetE0EEEvS14_
; %bb.0:
	.section	.rodata,"a",@progbits
	.p2align	6, 0x0
	.amdhsa_kernel _ZN7rocprim17ROCPRIM_400000_NS6detail17trampoline_kernelINS0_14default_configENS1_22reduce_config_selectorIN6thrust23THRUST_200600_302600_NS5tupleIblNS6_9null_typeES8_S8_S8_S8_S8_S8_S8_EEEEZNS1_11reduce_implILb1ES3_NS6_12zip_iteratorINS7_INS6_11hip_rocprim26transform_input_iterator_tIbNSD_35transform_pair_of_input_iterators_tIbNS6_6detail15normal_iteratorINS6_10device_ptrIKjEEEESL_NS6_8equal_toIjEEEENSG_9not_fun_tINSD_8identityEEEEENSD_19counting_iterator_tIlEES8_S8_S8_S8_S8_S8_S8_S8_EEEEPS9_S9_NSD_9__find_if7functorIS9_EEEE10hipError_tPvRmT1_T2_T3_mT4_P12ihipStream_tbEUlT_E1_NS1_11comp_targetILNS1_3genE3ELNS1_11target_archE908ELNS1_3gpuE7ELNS1_3repE0EEENS1_30default_config_static_selectorELNS0_4arch9wavefront6targetE0EEEvS14_
		.amdhsa_group_segment_fixed_size 0
		.amdhsa_private_segment_fixed_size 0
		.amdhsa_kernarg_size 88
		.amdhsa_user_sgpr_count 2
		.amdhsa_user_sgpr_dispatch_ptr 0
		.amdhsa_user_sgpr_queue_ptr 0
		.amdhsa_user_sgpr_kernarg_segment_ptr 1
		.amdhsa_user_sgpr_dispatch_id 0
		.amdhsa_user_sgpr_kernarg_preload_length 0
		.amdhsa_user_sgpr_kernarg_preload_offset 0
		.amdhsa_user_sgpr_private_segment_size 0
		.amdhsa_wavefront_size32 1
		.amdhsa_uses_dynamic_stack 0
		.amdhsa_enable_private_segment 0
		.amdhsa_system_sgpr_workgroup_id_x 1
		.amdhsa_system_sgpr_workgroup_id_y 0
		.amdhsa_system_sgpr_workgroup_id_z 0
		.amdhsa_system_sgpr_workgroup_info 0
		.amdhsa_system_vgpr_workitem_id 0
		.amdhsa_next_free_vgpr 1
		.amdhsa_next_free_sgpr 1
		.amdhsa_named_barrier_count 0
		.amdhsa_reserve_vcc 0
		.amdhsa_float_round_mode_32 0
		.amdhsa_float_round_mode_16_64 0
		.amdhsa_float_denorm_mode_32 3
		.amdhsa_float_denorm_mode_16_64 3
		.amdhsa_fp16_overflow 0
		.amdhsa_memory_ordered 1
		.amdhsa_forward_progress 1
		.amdhsa_inst_pref_size 0
		.amdhsa_round_robin_scheduling 0
		.amdhsa_exception_fp_ieee_invalid_op 0
		.amdhsa_exception_fp_denorm_src 0
		.amdhsa_exception_fp_ieee_div_zero 0
		.amdhsa_exception_fp_ieee_overflow 0
		.amdhsa_exception_fp_ieee_underflow 0
		.amdhsa_exception_fp_ieee_inexact 0
		.amdhsa_exception_int_div_zero 0
	.end_amdhsa_kernel
	.section	.text._ZN7rocprim17ROCPRIM_400000_NS6detail17trampoline_kernelINS0_14default_configENS1_22reduce_config_selectorIN6thrust23THRUST_200600_302600_NS5tupleIblNS6_9null_typeES8_S8_S8_S8_S8_S8_S8_EEEEZNS1_11reduce_implILb1ES3_NS6_12zip_iteratorINS7_INS6_11hip_rocprim26transform_input_iterator_tIbNSD_35transform_pair_of_input_iterators_tIbNS6_6detail15normal_iteratorINS6_10device_ptrIKjEEEESL_NS6_8equal_toIjEEEENSG_9not_fun_tINSD_8identityEEEEENSD_19counting_iterator_tIlEES8_S8_S8_S8_S8_S8_S8_S8_EEEEPS9_S9_NSD_9__find_if7functorIS9_EEEE10hipError_tPvRmT1_T2_T3_mT4_P12ihipStream_tbEUlT_E1_NS1_11comp_targetILNS1_3genE3ELNS1_11target_archE908ELNS1_3gpuE7ELNS1_3repE0EEENS1_30default_config_static_selectorELNS0_4arch9wavefront6targetE0EEEvS14_,"axG",@progbits,_ZN7rocprim17ROCPRIM_400000_NS6detail17trampoline_kernelINS0_14default_configENS1_22reduce_config_selectorIN6thrust23THRUST_200600_302600_NS5tupleIblNS6_9null_typeES8_S8_S8_S8_S8_S8_S8_EEEEZNS1_11reduce_implILb1ES3_NS6_12zip_iteratorINS7_INS6_11hip_rocprim26transform_input_iterator_tIbNSD_35transform_pair_of_input_iterators_tIbNS6_6detail15normal_iteratorINS6_10device_ptrIKjEEEESL_NS6_8equal_toIjEEEENSG_9not_fun_tINSD_8identityEEEEENSD_19counting_iterator_tIlEES8_S8_S8_S8_S8_S8_S8_S8_EEEEPS9_S9_NSD_9__find_if7functorIS9_EEEE10hipError_tPvRmT1_T2_T3_mT4_P12ihipStream_tbEUlT_E1_NS1_11comp_targetILNS1_3genE3ELNS1_11target_archE908ELNS1_3gpuE7ELNS1_3repE0EEENS1_30default_config_static_selectorELNS0_4arch9wavefront6targetE0EEEvS14_,comdat
.Lfunc_end163:
	.size	_ZN7rocprim17ROCPRIM_400000_NS6detail17trampoline_kernelINS0_14default_configENS1_22reduce_config_selectorIN6thrust23THRUST_200600_302600_NS5tupleIblNS6_9null_typeES8_S8_S8_S8_S8_S8_S8_EEEEZNS1_11reduce_implILb1ES3_NS6_12zip_iteratorINS7_INS6_11hip_rocprim26transform_input_iterator_tIbNSD_35transform_pair_of_input_iterators_tIbNS6_6detail15normal_iteratorINS6_10device_ptrIKjEEEESL_NS6_8equal_toIjEEEENSG_9not_fun_tINSD_8identityEEEEENSD_19counting_iterator_tIlEES8_S8_S8_S8_S8_S8_S8_S8_EEEEPS9_S9_NSD_9__find_if7functorIS9_EEEE10hipError_tPvRmT1_T2_T3_mT4_P12ihipStream_tbEUlT_E1_NS1_11comp_targetILNS1_3genE3ELNS1_11target_archE908ELNS1_3gpuE7ELNS1_3repE0EEENS1_30default_config_static_selectorELNS0_4arch9wavefront6targetE0EEEvS14_, .Lfunc_end163-_ZN7rocprim17ROCPRIM_400000_NS6detail17trampoline_kernelINS0_14default_configENS1_22reduce_config_selectorIN6thrust23THRUST_200600_302600_NS5tupleIblNS6_9null_typeES8_S8_S8_S8_S8_S8_S8_EEEEZNS1_11reduce_implILb1ES3_NS6_12zip_iteratorINS7_INS6_11hip_rocprim26transform_input_iterator_tIbNSD_35transform_pair_of_input_iterators_tIbNS6_6detail15normal_iteratorINS6_10device_ptrIKjEEEESL_NS6_8equal_toIjEEEENSG_9not_fun_tINSD_8identityEEEEENSD_19counting_iterator_tIlEES8_S8_S8_S8_S8_S8_S8_S8_EEEEPS9_S9_NSD_9__find_if7functorIS9_EEEE10hipError_tPvRmT1_T2_T3_mT4_P12ihipStream_tbEUlT_E1_NS1_11comp_targetILNS1_3genE3ELNS1_11target_archE908ELNS1_3gpuE7ELNS1_3repE0EEENS1_30default_config_static_selectorELNS0_4arch9wavefront6targetE0EEEvS14_
                                        ; -- End function
	.set _ZN7rocprim17ROCPRIM_400000_NS6detail17trampoline_kernelINS0_14default_configENS1_22reduce_config_selectorIN6thrust23THRUST_200600_302600_NS5tupleIblNS6_9null_typeES8_S8_S8_S8_S8_S8_S8_EEEEZNS1_11reduce_implILb1ES3_NS6_12zip_iteratorINS7_INS6_11hip_rocprim26transform_input_iterator_tIbNSD_35transform_pair_of_input_iterators_tIbNS6_6detail15normal_iteratorINS6_10device_ptrIKjEEEESL_NS6_8equal_toIjEEEENSG_9not_fun_tINSD_8identityEEEEENSD_19counting_iterator_tIlEES8_S8_S8_S8_S8_S8_S8_S8_EEEEPS9_S9_NSD_9__find_if7functorIS9_EEEE10hipError_tPvRmT1_T2_T3_mT4_P12ihipStream_tbEUlT_E1_NS1_11comp_targetILNS1_3genE3ELNS1_11target_archE908ELNS1_3gpuE7ELNS1_3repE0EEENS1_30default_config_static_selectorELNS0_4arch9wavefront6targetE0EEEvS14_.num_vgpr, 0
	.set _ZN7rocprim17ROCPRIM_400000_NS6detail17trampoline_kernelINS0_14default_configENS1_22reduce_config_selectorIN6thrust23THRUST_200600_302600_NS5tupleIblNS6_9null_typeES8_S8_S8_S8_S8_S8_S8_EEEEZNS1_11reduce_implILb1ES3_NS6_12zip_iteratorINS7_INS6_11hip_rocprim26transform_input_iterator_tIbNSD_35transform_pair_of_input_iterators_tIbNS6_6detail15normal_iteratorINS6_10device_ptrIKjEEEESL_NS6_8equal_toIjEEEENSG_9not_fun_tINSD_8identityEEEEENSD_19counting_iterator_tIlEES8_S8_S8_S8_S8_S8_S8_S8_EEEEPS9_S9_NSD_9__find_if7functorIS9_EEEE10hipError_tPvRmT1_T2_T3_mT4_P12ihipStream_tbEUlT_E1_NS1_11comp_targetILNS1_3genE3ELNS1_11target_archE908ELNS1_3gpuE7ELNS1_3repE0EEENS1_30default_config_static_selectorELNS0_4arch9wavefront6targetE0EEEvS14_.num_agpr, 0
	.set _ZN7rocprim17ROCPRIM_400000_NS6detail17trampoline_kernelINS0_14default_configENS1_22reduce_config_selectorIN6thrust23THRUST_200600_302600_NS5tupleIblNS6_9null_typeES8_S8_S8_S8_S8_S8_S8_EEEEZNS1_11reduce_implILb1ES3_NS6_12zip_iteratorINS7_INS6_11hip_rocprim26transform_input_iterator_tIbNSD_35transform_pair_of_input_iterators_tIbNS6_6detail15normal_iteratorINS6_10device_ptrIKjEEEESL_NS6_8equal_toIjEEEENSG_9not_fun_tINSD_8identityEEEEENSD_19counting_iterator_tIlEES8_S8_S8_S8_S8_S8_S8_S8_EEEEPS9_S9_NSD_9__find_if7functorIS9_EEEE10hipError_tPvRmT1_T2_T3_mT4_P12ihipStream_tbEUlT_E1_NS1_11comp_targetILNS1_3genE3ELNS1_11target_archE908ELNS1_3gpuE7ELNS1_3repE0EEENS1_30default_config_static_selectorELNS0_4arch9wavefront6targetE0EEEvS14_.numbered_sgpr, 0
	.set _ZN7rocprim17ROCPRIM_400000_NS6detail17trampoline_kernelINS0_14default_configENS1_22reduce_config_selectorIN6thrust23THRUST_200600_302600_NS5tupleIblNS6_9null_typeES8_S8_S8_S8_S8_S8_S8_EEEEZNS1_11reduce_implILb1ES3_NS6_12zip_iteratorINS7_INS6_11hip_rocprim26transform_input_iterator_tIbNSD_35transform_pair_of_input_iterators_tIbNS6_6detail15normal_iteratorINS6_10device_ptrIKjEEEESL_NS6_8equal_toIjEEEENSG_9not_fun_tINSD_8identityEEEEENSD_19counting_iterator_tIlEES8_S8_S8_S8_S8_S8_S8_S8_EEEEPS9_S9_NSD_9__find_if7functorIS9_EEEE10hipError_tPvRmT1_T2_T3_mT4_P12ihipStream_tbEUlT_E1_NS1_11comp_targetILNS1_3genE3ELNS1_11target_archE908ELNS1_3gpuE7ELNS1_3repE0EEENS1_30default_config_static_selectorELNS0_4arch9wavefront6targetE0EEEvS14_.num_named_barrier, 0
	.set _ZN7rocprim17ROCPRIM_400000_NS6detail17trampoline_kernelINS0_14default_configENS1_22reduce_config_selectorIN6thrust23THRUST_200600_302600_NS5tupleIblNS6_9null_typeES8_S8_S8_S8_S8_S8_S8_EEEEZNS1_11reduce_implILb1ES3_NS6_12zip_iteratorINS7_INS6_11hip_rocprim26transform_input_iterator_tIbNSD_35transform_pair_of_input_iterators_tIbNS6_6detail15normal_iteratorINS6_10device_ptrIKjEEEESL_NS6_8equal_toIjEEEENSG_9not_fun_tINSD_8identityEEEEENSD_19counting_iterator_tIlEES8_S8_S8_S8_S8_S8_S8_S8_EEEEPS9_S9_NSD_9__find_if7functorIS9_EEEE10hipError_tPvRmT1_T2_T3_mT4_P12ihipStream_tbEUlT_E1_NS1_11comp_targetILNS1_3genE3ELNS1_11target_archE908ELNS1_3gpuE7ELNS1_3repE0EEENS1_30default_config_static_selectorELNS0_4arch9wavefront6targetE0EEEvS14_.private_seg_size, 0
	.set _ZN7rocprim17ROCPRIM_400000_NS6detail17trampoline_kernelINS0_14default_configENS1_22reduce_config_selectorIN6thrust23THRUST_200600_302600_NS5tupleIblNS6_9null_typeES8_S8_S8_S8_S8_S8_S8_EEEEZNS1_11reduce_implILb1ES3_NS6_12zip_iteratorINS7_INS6_11hip_rocprim26transform_input_iterator_tIbNSD_35transform_pair_of_input_iterators_tIbNS6_6detail15normal_iteratorINS6_10device_ptrIKjEEEESL_NS6_8equal_toIjEEEENSG_9not_fun_tINSD_8identityEEEEENSD_19counting_iterator_tIlEES8_S8_S8_S8_S8_S8_S8_S8_EEEEPS9_S9_NSD_9__find_if7functorIS9_EEEE10hipError_tPvRmT1_T2_T3_mT4_P12ihipStream_tbEUlT_E1_NS1_11comp_targetILNS1_3genE3ELNS1_11target_archE908ELNS1_3gpuE7ELNS1_3repE0EEENS1_30default_config_static_selectorELNS0_4arch9wavefront6targetE0EEEvS14_.uses_vcc, 0
	.set _ZN7rocprim17ROCPRIM_400000_NS6detail17trampoline_kernelINS0_14default_configENS1_22reduce_config_selectorIN6thrust23THRUST_200600_302600_NS5tupleIblNS6_9null_typeES8_S8_S8_S8_S8_S8_S8_EEEEZNS1_11reduce_implILb1ES3_NS6_12zip_iteratorINS7_INS6_11hip_rocprim26transform_input_iterator_tIbNSD_35transform_pair_of_input_iterators_tIbNS6_6detail15normal_iteratorINS6_10device_ptrIKjEEEESL_NS6_8equal_toIjEEEENSG_9not_fun_tINSD_8identityEEEEENSD_19counting_iterator_tIlEES8_S8_S8_S8_S8_S8_S8_S8_EEEEPS9_S9_NSD_9__find_if7functorIS9_EEEE10hipError_tPvRmT1_T2_T3_mT4_P12ihipStream_tbEUlT_E1_NS1_11comp_targetILNS1_3genE3ELNS1_11target_archE908ELNS1_3gpuE7ELNS1_3repE0EEENS1_30default_config_static_selectorELNS0_4arch9wavefront6targetE0EEEvS14_.uses_flat_scratch, 0
	.set _ZN7rocprim17ROCPRIM_400000_NS6detail17trampoline_kernelINS0_14default_configENS1_22reduce_config_selectorIN6thrust23THRUST_200600_302600_NS5tupleIblNS6_9null_typeES8_S8_S8_S8_S8_S8_S8_EEEEZNS1_11reduce_implILb1ES3_NS6_12zip_iteratorINS7_INS6_11hip_rocprim26transform_input_iterator_tIbNSD_35transform_pair_of_input_iterators_tIbNS6_6detail15normal_iteratorINS6_10device_ptrIKjEEEESL_NS6_8equal_toIjEEEENSG_9not_fun_tINSD_8identityEEEEENSD_19counting_iterator_tIlEES8_S8_S8_S8_S8_S8_S8_S8_EEEEPS9_S9_NSD_9__find_if7functorIS9_EEEE10hipError_tPvRmT1_T2_T3_mT4_P12ihipStream_tbEUlT_E1_NS1_11comp_targetILNS1_3genE3ELNS1_11target_archE908ELNS1_3gpuE7ELNS1_3repE0EEENS1_30default_config_static_selectorELNS0_4arch9wavefront6targetE0EEEvS14_.has_dyn_sized_stack, 0
	.set _ZN7rocprim17ROCPRIM_400000_NS6detail17trampoline_kernelINS0_14default_configENS1_22reduce_config_selectorIN6thrust23THRUST_200600_302600_NS5tupleIblNS6_9null_typeES8_S8_S8_S8_S8_S8_S8_EEEEZNS1_11reduce_implILb1ES3_NS6_12zip_iteratorINS7_INS6_11hip_rocprim26transform_input_iterator_tIbNSD_35transform_pair_of_input_iterators_tIbNS6_6detail15normal_iteratorINS6_10device_ptrIKjEEEESL_NS6_8equal_toIjEEEENSG_9not_fun_tINSD_8identityEEEEENSD_19counting_iterator_tIlEES8_S8_S8_S8_S8_S8_S8_S8_EEEEPS9_S9_NSD_9__find_if7functorIS9_EEEE10hipError_tPvRmT1_T2_T3_mT4_P12ihipStream_tbEUlT_E1_NS1_11comp_targetILNS1_3genE3ELNS1_11target_archE908ELNS1_3gpuE7ELNS1_3repE0EEENS1_30default_config_static_selectorELNS0_4arch9wavefront6targetE0EEEvS14_.has_recursion, 0
	.set _ZN7rocprim17ROCPRIM_400000_NS6detail17trampoline_kernelINS0_14default_configENS1_22reduce_config_selectorIN6thrust23THRUST_200600_302600_NS5tupleIblNS6_9null_typeES8_S8_S8_S8_S8_S8_S8_EEEEZNS1_11reduce_implILb1ES3_NS6_12zip_iteratorINS7_INS6_11hip_rocprim26transform_input_iterator_tIbNSD_35transform_pair_of_input_iterators_tIbNS6_6detail15normal_iteratorINS6_10device_ptrIKjEEEESL_NS6_8equal_toIjEEEENSG_9not_fun_tINSD_8identityEEEEENSD_19counting_iterator_tIlEES8_S8_S8_S8_S8_S8_S8_S8_EEEEPS9_S9_NSD_9__find_if7functorIS9_EEEE10hipError_tPvRmT1_T2_T3_mT4_P12ihipStream_tbEUlT_E1_NS1_11comp_targetILNS1_3genE3ELNS1_11target_archE908ELNS1_3gpuE7ELNS1_3repE0EEENS1_30default_config_static_selectorELNS0_4arch9wavefront6targetE0EEEvS14_.has_indirect_call, 0
	.section	.AMDGPU.csdata,"",@progbits
; Kernel info:
; codeLenInByte = 0
; TotalNumSgprs: 0
; NumVgprs: 0
; ScratchSize: 0
; MemoryBound: 0
; FloatMode: 240
; IeeeMode: 1
; LDSByteSize: 0 bytes/workgroup (compile time only)
; SGPRBlocks: 0
; VGPRBlocks: 0
; NumSGPRsForWavesPerEU: 1
; NumVGPRsForWavesPerEU: 1
; NamedBarCnt: 0
; Occupancy: 16
; WaveLimiterHint : 0
; COMPUTE_PGM_RSRC2:SCRATCH_EN: 0
; COMPUTE_PGM_RSRC2:USER_SGPR: 2
; COMPUTE_PGM_RSRC2:TRAP_HANDLER: 0
; COMPUTE_PGM_RSRC2:TGID_X_EN: 1
; COMPUTE_PGM_RSRC2:TGID_Y_EN: 0
; COMPUTE_PGM_RSRC2:TGID_Z_EN: 0
; COMPUTE_PGM_RSRC2:TIDIG_COMP_CNT: 0
	.section	.text._ZN7rocprim17ROCPRIM_400000_NS6detail17trampoline_kernelINS0_14default_configENS1_22reduce_config_selectorIN6thrust23THRUST_200600_302600_NS5tupleIblNS6_9null_typeES8_S8_S8_S8_S8_S8_S8_EEEEZNS1_11reduce_implILb1ES3_NS6_12zip_iteratorINS7_INS6_11hip_rocprim26transform_input_iterator_tIbNSD_35transform_pair_of_input_iterators_tIbNS6_6detail15normal_iteratorINS6_10device_ptrIKjEEEESL_NS6_8equal_toIjEEEENSG_9not_fun_tINSD_8identityEEEEENSD_19counting_iterator_tIlEES8_S8_S8_S8_S8_S8_S8_S8_EEEEPS9_S9_NSD_9__find_if7functorIS9_EEEE10hipError_tPvRmT1_T2_T3_mT4_P12ihipStream_tbEUlT_E1_NS1_11comp_targetILNS1_3genE2ELNS1_11target_archE906ELNS1_3gpuE6ELNS1_3repE0EEENS1_30default_config_static_selectorELNS0_4arch9wavefront6targetE0EEEvS14_,"axG",@progbits,_ZN7rocprim17ROCPRIM_400000_NS6detail17trampoline_kernelINS0_14default_configENS1_22reduce_config_selectorIN6thrust23THRUST_200600_302600_NS5tupleIblNS6_9null_typeES8_S8_S8_S8_S8_S8_S8_EEEEZNS1_11reduce_implILb1ES3_NS6_12zip_iteratorINS7_INS6_11hip_rocprim26transform_input_iterator_tIbNSD_35transform_pair_of_input_iterators_tIbNS6_6detail15normal_iteratorINS6_10device_ptrIKjEEEESL_NS6_8equal_toIjEEEENSG_9not_fun_tINSD_8identityEEEEENSD_19counting_iterator_tIlEES8_S8_S8_S8_S8_S8_S8_S8_EEEEPS9_S9_NSD_9__find_if7functorIS9_EEEE10hipError_tPvRmT1_T2_T3_mT4_P12ihipStream_tbEUlT_E1_NS1_11comp_targetILNS1_3genE2ELNS1_11target_archE906ELNS1_3gpuE6ELNS1_3repE0EEENS1_30default_config_static_selectorELNS0_4arch9wavefront6targetE0EEEvS14_,comdat
	.protected	_ZN7rocprim17ROCPRIM_400000_NS6detail17trampoline_kernelINS0_14default_configENS1_22reduce_config_selectorIN6thrust23THRUST_200600_302600_NS5tupleIblNS6_9null_typeES8_S8_S8_S8_S8_S8_S8_EEEEZNS1_11reduce_implILb1ES3_NS6_12zip_iteratorINS7_INS6_11hip_rocprim26transform_input_iterator_tIbNSD_35transform_pair_of_input_iterators_tIbNS6_6detail15normal_iteratorINS6_10device_ptrIKjEEEESL_NS6_8equal_toIjEEEENSG_9not_fun_tINSD_8identityEEEEENSD_19counting_iterator_tIlEES8_S8_S8_S8_S8_S8_S8_S8_EEEEPS9_S9_NSD_9__find_if7functorIS9_EEEE10hipError_tPvRmT1_T2_T3_mT4_P12ihipStream_tbEUlT_E1_NS1_11comp_targetILNS1_3genE2ELNS1_11target_archE906ELNS1_3gpuE6ELNS1_3repE0EEENS1_30default_config_static_selectorELNS0_4arch9wavefront6targetE0EEEvS14_ ; -- Begin function _ZN7rocprim17ROCPRIM_400000_NS6detail17trampoline_kernelINS0_14default_configENS1_22reduce_config_selectorIN6thrust23THRUST_200600_302600_NS5tupleIblNS6_9null_typeES8_S8_S8_S8_S8_S8_S8_EEEEZNS1_11reduce_implILb1ES3_NS6_12zip_iteratorINS7_INS6_11hip_rocprim26transform_input_iterator_tIbNSD_35transform_pair_of_input_iterators_tIbNS6_6detail15normal_iteratorINS6_10device_ptrIKjEEEESL_NS6_8equal_toIjEEEENSG_9not_fun_tINSD_8identityEEEEENSD_19counting_iterator_tIlEES8_S8_S8_S8_S8_S8_S8_S8_EEEEPS9_S9_NSD_9__find_if7functorIS9_EEEE10hipError_tPvRmT1_T2_T3_mT4_P12ihipStream_tbEUlT_E1_NS1_11comp_targetILNS1_3genE2ELNS1_11target_archE906ELNS1_3gpuE6ELNS1_3repE0EEENS1_30default_config_static_selectorELNS0_4arch9wavefront6targetE0EEEvS14_
	.globl	_ZN7rocprim17ROCPRIM_400000_NS6detail17trampoline_kernelINS0_14default_configENS1_22reduce_config_selectorIN6thrust23THRUST_200600_302600_NS5tupleIblNS6_9null_typeES8_S8_S8_S8_S8_S8_S8_EEEEZNS1_11reduce_implILb1ES3_NS6_12zip_iteratorINS7_INS6_11hip_rocprim26transform_input_iterator_tIbNSD_35transform_pair_of_input_iterators_tIbNS6_6detail15normal_iteratorINS6_10device_ptrIKjEEEESL_NS6_8equal_toIjEEEENSG_9not_fun_tINSD_8identityEEEEENSD_19counting_iterator_tIlEES8_S8_S8_S8_S8_S8_S8_S8_EEEEPS9_S9_NSD_9__find_if7functorIS9_EEEE10hipError_tPvRmT1_T2_T3_mT4_P12ihipStream_tbEUlT_E1_NS1_11comp_targetILNS1_3genE2ELNS1_11target_archE906ELNS1_3gpuE6ELNS1_3repE0EEENS1_30default_config_static_selectorELNS0_4arch9wavefront6targetE0EEEvS14_
	.p2align	8
	.type	_ZN7rocprim17ROCPRIM_400000_NS6detail17trampoline_kernelINS0_14default_configENS1_22reduce_config_selectorIN6thrust23THRUST_200600_302600_NS5tupleIblNS6_9null_typeES8_S8_S8_S8_S8_S8_S8_EEEEZNS1_11reduce_implILb1ES3_NS6_12zip_iteratorINS7_INS6_11hip_rocprim26transform_input_iterator_tIbNSD_35transform_pair_of_input_iterators_tIbNS6_6detail15normal_iteratorINS6_10device_ptrIKjEEEESL_NS6_8equal_toIjEEEENSG_9not_fun_tINSD_8identityEEEEENSD_19counting_iterator_tIlEES8_S8_S8_S8_S8_S8_S8_S8_EEEEPS9_S9_NSD_9__find_if7functorIS9_EEEE10hipError_tPvRmT1_T2_T3_mT4_P12ihipStream_tbEUlT_E1_NS1_11comp_targetILNS1_3genE2ELNS1_11target_archE906ELNS1_3gpuE6ELNS1_3repE0EEENS1_30default_config_static_selectorELNS0_4arch9wavefront6targetE0EEEvS14_,@function
_ZN7rocprim17ROCPRIM_400000_NS6detail17trampoline_kernelINS0_14default_configENS1_22reduce_config_selectorIN6thrust23THRUST_200600_302600_NS5tupleIblNS6_9null_typeES8_S8_S8_S8_S8_S8_S8_EEEEZNS1_11reduce_implILb1ES3_NS6_12zip_iteratorINS7_INS6_11hip_rocprim26transform_input_iterator_tIbNSD_35transform_pair_of_input_iterators_tIbNS6_6detail15normal_iteratorINS6_10device_ptrIKjEEEESL_NS6_8equal_toIjEEEENSG_9not_fun_tINSD_8identityEEEEENSD_19counting_iterator_tIlEES8_S8_S8_S8_S8_S8_S8_S8_EEEEPS9_S9_NSD_9__find_if7functorIS9_EEEE10hipError_tPvRmT1_T2_T3_mT4_P12ihipStream_tbEUlT_E1_NS1_11comp_targetILNS1_3genE2ELNS1_11target_archE906ELNS1_3gpuE6ELNS1_3repE0EEENS1_30default_config_static_selectorELNS0_4arch9wavefront6targetE0EEEvS14_: ; @_ZN7rocprim17ROCPRIM_400000_NS6detail17trampoline_kernelINS0_14default_configENS1_22reduce_config_selectorIN6thrust23THRUST_200600_302600_NS5tupleIblNS6_9null_typeES8_S8_S8_S8_S8_S8_S8_EEEEZNS1_11reduce_implILb1ES3_NS6_12zip_iteratorINS7_INS6_11hip_rocprim26transform_input_iterator_tIbNSD_35transform_pair_of_input_iterators_tIbNS6_6detail15normal_iteratorINS6_10device_ptrIKjEEEESL_NS6_8equal_toIjEEEENSG_9not_fun_tINSD_8identityEEEEENSD_19counting_iterator_tIlEES8_S8_S8_S8_S8_S8_S8_S8_EEEEPS9_S9_NSD_9__find_if7functorIS9_EEEE10hipError_tPvRmT1_T2_T3_mT4_P12ihipStream_tbEUlT_E1_NS1_11comp_targetILNS1_3genE2ELNS1_11target_archE906ELNS1_3gpuE6ELNS1_3repE0EEENS1_30default_config_static_selectorELNS0_4arch9wavefront6targetE0EEEvS14_
; %bb.0:
	.section	.rodata,"a",@progbits
	.p2align	6, 0x0
	.amdhsa_kernel _ZN7rocprim17ROCPRIM_400000_NS6detail17trampoline_kernelINS0_14default_configENS1_22reduce_config_selectorIN6thrust23THRUST_200600_302600_NS5tupleIblNS6_9null_typeES8_S8_S8_S8_S8_S8_S8_EEEEZNS1_11reduce_implILb1ES3_NS6_12zip_iteratorINS7_INS6_11hip_rocprim26transform_input_iterator_tIbNSD_35transform_pair_of_input_iterators_tIbNS6_6detail15normal_iteratorINS6_10device_ptrIKjEEEESL_NS6_8equal_toIjEEEENSG_9not_fun_tINSD_8identityEEEEENSD_19counting_iterator_tIlEES8_S8_S8_S8_S8_S8_S8_S8_EEEEPS9_S9_NSD_9__find_if7functorIS9_EEEE10hipError_tPvRmT1_T2_T3_mT4_P12ihipStream_tbEUlT_E1_NS1_11comp_targetILNS1_3genE2ELNS1_11target_archE906ELNS1_3gpuE6ELNS1_3repE0EEENS1_30default_config_static_selectorELNS0_4arch9wavefront6targetE0EEEvS14_
		.amdhsa_group_segment_fixed_size 0
		.amdhsa_private_segment_fixed_size 0
		.amdhsa_kernarg_size 88
		.amdhsa_user_sgpr_count 2
		.amdhsa_user_sgpr_dispatch_ptr 0
		.amdhsa_user_sgpr_queue_ptr 0
		.amdhsa_user_sgpr_kernarg_segment_ptr 1
		.amdhsa_user_sgpr_dispatch_id 0
		.amdhsa_user_sgpr_kernarg_preload_length 0
		.amdhsa_user_sgpr_kernarg_preload_offset 0
		.amdhsa_user_sgpr_private_segment_size 0
		.amdhsa_wavefront_size32 1
		.amdhsa_uses_dynamic_stack 0
		.amdhsa_enable_private_segment 0
		.amdhsa_system_sgpr_workgroup_id_x 1
		.amdhsa_system_sgpr_workgroup_id_y 0
		.amdhsa_system_sgpr_workgroup_id_z 0
		.amdhsa_system_sgpr_workgroup_info 0
		.amdhsa_system_vgpr_workitem_id 0
		.amdhsa_next_free_vgpr 1
		.amdhsa_next_free_sgpr 1
		.amdhsa_named_barrier_count 0
		.amdhsa_reserve_vcc 0
		.amdhsa_float_round_mode_32 0
		.amdhsa_float_round_mode_16_64 0
		.amdhsa_float_denorm_mode_32 3
		.amdhsa_float_denorm_mode_16_64 3
		.amdhsa_fp16_overflow 0
		.amdhsa_memory_ordered 1
		.amdhsa_forward_progress 1
		.amdhsa_inst_pref_size 0
		.amdhsa_round_robin_scheduling 0
		.amdhsa_exception_fp_ieee_invalid_op 0
		.amdhsa_exception_fp_denorm_src 0
		.amdhsa_exception_fp_ieee_div_zero 0
		.amdhsa_exception_fp_ieee_overflow 0
		.amdhsa_exception_fp_ieee_underflow 0
		.amdhsa_exception_fp_ieee_inexact 0
		.amdhsa_exception_int_div_zero 0
	.end_amdhsa_kernel
	.section	.text._ZN7rocprim17ROCPRIM_400000_NS6detail17trampoline_kernelINS0_14default_configENS1_22reduce_config_selectorIN6thrust23THRUST_200600_302600_NS5tupleIblNS6_9null_typeES8_S8_S8_S8_S8_S8_S8_EEEEZNS1_11reduce_implILb1ES3_NS6_12zip_iteratorINS7_INS6_11hip_rocprim26transform_input_iterator_tIbNSD_35transform_pair_of_input_iterators_tIbNS6_6detail15normal_iteratorINS6_10device_ptrIKjEEEESL_NS6_8equal_toIjEEEENSG_9not_fun_tINSD_8identityEEEEENSD_19counting_iterator_tIlEES8_S8_S8_S8_S8_S8_S8_S8_EEEEPS9_S9_NSD_9__find_if7functorIS9_EEEE10hipError_tPvRmT1_T2_T3_mT4_P12ihipStream_tbEUlT_E1_NS1_11comp_targetILNS1_3genE2ELNS1_11target_archE906ELNS1_3gpuE6ELNS1_3repE0EEENS1_30default_config_static_selectorELNS0_4arch9wavefront6targetE0EEEvS14_,"axG",@progbits,_ZN7rocprim17ROCPRIM_400000_NS6detail17trampoline_kernelINS0_14default_configENS1_22reduce_config_selectorIN6thrust23THRUST_200600_302600_NS5tupleIblNS6_9null_typeES8_S8_S8_S8_S8_S8_S8_EEEEZNS1_11reduce_implILb1ES3_NS6_12zip_iteratorINS7_INS6_11hip_rocprim26transform_input_iterator_tIbNSD_35transform_pair_of_input_iterators_tIbNS6_6detail15normal_iteratorINS6_10device_ptrIKjEEEESL_NS6_8equal_toIjEEEENSG_9not_fun_tINSD_8identityEEEEENSD_19counting_iterator_tIlEES8_S8_S8_S8_S8_S8_S8_S8_EEEEPS9_S9_NSD_9__find_if7functorIS9_EEEE10hipError_tPvRmT1_T2_T3_mT4_P12ihipStream_tbEUlT_E1_NS1_11comp_targetILNS1_3genE2ELNS1_11target_archE906ELNS1_3gpuE6ELNS1_3repE0EEENS1_30default_config_static_selectorELNS0_4arch9wavefront6targetE0EEEvS14_,comdat
.Lfunc_end164:
	.size	_ZN7rocprim17ROCPRIM_400000_NS6detail17trampoline_kernelINS0_14default_configENS1_22reduce_config_selectorIN6thrust23THRUST_200600_302600_NS5tupleIblNS6_9null_typeES8_S8_S8_S8_S8_S8_S8_EEEEZNS1_11reduce_implILb1ES3_NS6_12zip_iteratorINS7_INS6_11hip_rocprim26transform_input_iterator_tIbNSD_35transform_pair_of_input_iterators_tIbNS6_6detail15normal_iteratorINS6_10device_ptrIKjEEEESL_NS6_8equal_toIjEEEENSG_9not_fun_tINSD_8identityEEEEENSD_19counting_iterator_tIlEES8_S8_S8_S8_S8_S8_S8_S8_EEEEPS9_S9_NSD_9__find_if7functorIS9_EEEE10hipError_tPvRmT1_T2_T3_mT4_P12ihipStream_tbEUlT_E1_NS1_11comp_targetILNS1_3genE2ELNS1_11target_archE906ELNS1_3gpuE6ELNS1_3repE0EEENS1_30default_config_static_selectorELNS0_4arch9wavefront6targetE0EEEvS14_, .Lfunc_end164-_ZN7rocprim17ROCPRIM_400000_NS6detail17trampoline_kernelINS0_14default_configENS1_22reduce_config_selectorIN6thrust23THRUST_200600_302600_NS5tupleIblNS6_9null_typeES8_S8_S8_S8_S8_S8_S8_EEEEZNS1_11reduce_implILb1ES3_NS6_12zip_iteratorINS7_INS6_11hip_rocprim26transform_input_iterator_tIbNSD_35transform_pair_of_input_iterators_tIbNS6_6detail15normal_iteratorINS6_10device_ptrIKjEEEESL_NS6_8equal_toIjEEEENSG_9not_fun_tINSD_8identityEEEEENSD_19counting_iterator_tIlEES8_S8_S8_S8_S8_S8_S8_S8_EEEEPS9_S9_NSD_9__find_if7functorIS9_EEEE10hipError_tPvRmT1_T2_T3_mT4_P12ihipStream_tbEUlT_E1_NS1_11comp_targetILNS1_3genE2ELNS1_11target_archE906ELNS1_3gpuE6ELNS1_3repE0EEENS1_30default_config_static_selectorELNS0_4arch9wavefront6targetE0EEEvS14_
                                        ; -- End function
	.set _ZN7rocprim17ROCPRIM_400000_NS6detail17trampoline_kernelINS0_14default_configENS1_22reduce_config_selectorIN6thrust23THRUST_200600_302600_NS5tupleIblNS6_9null_typeES8_S8_S8_S8_S8_S8_S8_EEEEZNS1_11reduce_implILb1ES3_NS6_12zip_iteratorINS7_INS6_11hip_rocprim26transform_input_iterator_tIbNSD_35transform_pair_of_input_iterators_tIbNS6_6detail15normal_iteratorINS6_10device_ptrIKjEEEESL_NS6_8equal_toIjEEEENSG_9not_fun_tINSD_8identityEEEEENSD_19counting_iterator_tIlEES8_S8_S8_S8_S8_S8_S8_S8_EEEEPS9_S9_NSD_9__find_if7functorIS9_EEEE10hipError_tPvRmT1_T2_T3_mT4_P12ihipStream_tbEUlT_E1_NS1_11comp_targetILNS1_3genE2ELNS1_11target_archE906ELNS1_3gpuE6ELNS1_3repE0EEENS1_30default_config_static_selectorELNS0_4arch9wavefront6targetE0EEEvS14_.num_vgpr, 0
	.set _ZN7rocprim17ROCPRIM_400000_NS6detail17trampoline_kernelINS0_14default_configENS1_22reduce_config_selectorIN6thrust23THRUST_200600_302600_NS5tupleIblNS6_9null_typeES8_S8_S8_S8_S8_S8_S8_EEEEZNS1_11reduce_implILb1ES3_NS6_12zip_iteratorINS7_INS6_11hip_rocprim26transform_input_iterator_tIbNSD_35transform_pair_of_input_iterators_tIbNS6_6detail15normal_iteratorINS6_10device_ptrIKjEEEESL_NS6_8equal_toIjEEEENSG_9not_fun_tINSD_8identityEEEEENSD_19counting_iterator_tIlEES8_S8_S8_S8_S8_S8_S8_S8_EEEEPS9_S9_NSD_9__find_if7functorIS9_EEEE10hipError_tPvRmT1_T2_T3_mT4_P12ihipStream_tbEUlT_E1_NS1_11comp_targetILNS1_3genE2ELNS1_11target_archE906ELNS1_3gpuE6ELNS1_3repE0EEENS1_30default_config_static_selectorELNS0_4arch9wavefront6targetE0EEEvS14_.num_agpr, 0
	.set _ZN7rocprim17ROCPRIM_400000_NS6detail17trampoline_kernelINS0_14default_configENS1_22reduce_config_selectorIN6thrust23THRUST_200600_302600_NS5tupleIblNS6_9null_typeES8_S8_S8_S8_S8_S8_S8_EEEEZNS1_11reduce_implILb1ES3_NS6_12zip_iteratorINS7_INS6_11hip_rocprim26transform_input_iterator_tIbNSD_35transform_pair_of_input_iterators_tIbNS6_6detail15normal_iteratorINS6_10device_ptrIKjEEEESL_NS6_8equal_toIjEEEENSG_9not_fun_tINSD_8identityEEEEENSD_19counting_iterator_tIlEES8_S8_S8_S8_S8_S8_S8_S8_EEEEPS9_S9_NSD_9__find_if7functorIS9_EEEE10hipError_tPvRmT1_T2_T3_mT4_P12ihipStream_tbEUlT_E1_NS1_11comp_targetILNS1_3genE2ELNS1_11target_archE906ELNS1_3gpuE6ELNS1_3repE0EEENS1_30default_config_static_selectorELNS0_4arch9wavefront6targetE0EEEvS14_.numbered_sgpr, 0
	.set _ZN7rocprim17ROCPRIM_400000_NS6detail17trampoline_kernelINS0_14default_configENS1_22reduce_config_selectorIN6thrust23THRUST_200600_302600_NS5tupleIblNS6_9null_typeES8_S8_S8_S8_S8_S8_S8_EEEEZNS1_11reduce_implILb1ES3_NS6_12zip_iteratorINS7_INS6_11hip_rocprim26transform_input_iterator_tIbNSD_35transform_pair_of_input_iterators_tIbNS6_6detail15normal_iteratorINS6_10device_ptrIKjEEEESL_NS6_8equal_toIjEEEENSG_9not_fun_tINSD_8identityEEEEENSD_19counting_iterator_tIlEES8_S8_S8_S8_S8_S8_S8_S8_EEEEPS9_S9_NSD_9__find_if7functorIS9_EEEE10hipError_tPvRmT1_T2_T3_mT4_P12ihipStream_tbEUlT_E1_NS1_11comp_targetILNS1_3genE2ELNS1_11target_archE906ELNS1_3gpuE6ELNS1_3repE0EEENS1_30default_config_static_selectorELNS0_4arch9wavefront6targetE0EEEvS14_.num_named_barrier, 0
	.set _ZN7rocprim17ROCPRIM_400000_NS6detail17trampoline_kernelINS0_14default_configENS1_22reduce_config_selectorIN6thrust23THRUST_200600_302600_NS5tupleIblNS6_9null_typeES8_S8_S8_S8_S8_S8_S8_EEEEZNS1_11reduce_implILb1ES3_NS6_12zip_iteratorINS7_INS6_11hip_rocprim26transform_input_iterator_tIbNSD_35transform_pair_of_input_iterators_tIbNS6_6detail15normal_iteratorINS6_10device_ptrIKjEEEESL_NS6_8equal_toIjEEEENSG_9not_fun_tINSD_8identityEEEEENSD_19counting_iterator_tIlEES8_S8_S8_S8_S8_S8_S8_S8_EEEEPS9_S9_NSD_9__find_if7functorIS9_EEEE10hipError_tPvRmT1_T2_T3_mT4_P12ihipStream_tbEUlT_E1_NS1_11comp_targetILNS1_3genE2ELNS1_11target_archE906ELNS1_3gpuE6ELNS1_3repE0EEENS1_30default_config_static_selectorELNS0_4arch9wavefront6targetE0EEEvS14_.private_seg_size, 0
	.set _ZN7rocprim17ROCPRIM_400000_NS6detail17trampoline_kernelINS0_14default_configENS1_22reduce_config_selectorIN6thrust23THRUST_200600_302600_NS5tupleIblNS6_9null_typeES8_S8_S8_S8_S8_S8_S8_EEEEZNS1_11reduce_implILb1ES3_NS6_12zip_iteratorINS7_INS6_11hip_rocprim26transform_input_iterator_tIbNSD_35transform_pair_of_input_iterators_tIbNS6_6detail15normal_iteratorINS6_10device_ptrIKjEEEESL_NS6_8equal_toIjEEEENSG_9not_fun_tINSD_8identityEEEEENSD_19counting_iterator_tIlEES8_S8_S8_S8_S8_S8_S8_S8_EEEEPS9_S9_NSD_9__find_if7functorIS9_EEEE10hipError_tPvRmT1_T2_T3_mT4_P12ihipStream_tbEUlT_E1_NS1_11comp_targetILNS1_3genE2ELNS1_11target_archE906ELNS1_3gpuE6ELNS1_3repE0EEENS1_30default_config_static_selectorELNS0_4arch9wavefront6targetE0EEEvS14_.uses_vcc, 0
	.set _ZN7rocprim17ROCPRIM_400000_NS6detail17trampoline_kernelINS0_14default_configENS1_22reduce_config_selectorIN6thrust23THRUST_200600_302600_NS5tupleIblNS6_9null_typeES8_S8_S8_S8_S8_S8_S8_EEEEZNS1_11reduce_implILb1ES3_NS6_12zip_iteratorINS7_INS6_11hip_rocprim26transform_input_iterator_tIbNSD_35transform_pair_of_input_iterators_tIbNS6_6detail15normal_iteratorINS6_10device_ptrIKjEEEESL_NS6_8equal_toIjEEEENSG_9not_fun_tINSD_8identityEEEEENSD_19counting_iterator_tIlEES8_S8_S8_S8_S8_S8_S8_S8_EEEEPS9_S9_NSD_9__find_if7functorIS9_EEEE10hipError_tPvRmT1_T2_T3_mT4_P12ihipStream_tbEUlT_E1_NS1_11comp_targetILNS1_3genE2ELNS1_11target_archE906ELNS1_3gpuE6ELNS1_3repE0EEENS1_30default_config_static_selectorELNS0_4arch9wavefront6targetE0EEEvS14_.uses_flat_scratch, 0
	.set _ZN7rocprim17ROCPRIM_400000_NS6detail17trampoline_kernelINS0_14default_configENS1_22reduce_config_selectorIN6thrust23THRUST_200600_302600_NS5tupleIblNS6_9null_typeES8_S8_S8_S8_S8_S8_S8_EEEEZNS1_11reduce_implILb1ES3_NS6_12zip_iteratorINS7_INS6_11hip_rocprim26transform_input_iterator_tIbNSD_35transform_pair_of_input_iterators_tIbNS6_6detail15normal_iteratorINS6_10device_ptrIKjEEEESL_NS6_8equal_toIjEEEENSG_9not_fun_tINSD_8identityEEEEENSD_19counting_iterator_tIlEES8_S8_S8_S8_S8_S8_S8_S8_EEEEPS9_S9_NSD_9__find_if7functorIS9_EEEE10hipError_tPvRmT1_T2_T3_mT4_P12ihipStream_tbEUlT_E1_NS1_11comp_targetILNS1_3genE2ELNS1_11target_archE906ELNS1_3gpuE6ELNS1_3repE0EEENS1_30default_config_static_selectorELNS0_4arch9wavefront6targetE0EEEvS14_.has_dyn_sized_stack, 0
	.set _ZN7rocprim17ROCPRIM_400000_NS6detail17trampoline_kernelINS0_14default_configENS1_22reduce_config_selectorIN6thrust23THRUST_200600_302600_NS5tupleIblNS6_9null_typeES8_S8_S8_S8_S8_S8_S8_EEEEZNS1_11reduce_implILb1ES3_NS6_12zip_iteratorINS7_INS6_11hip_rocprim26transform_input_iterator_tIbNSD_35transform_pair_of_input_iterators_tIbNS6_6detail15normal_iteratorINS6_10device_ptrIKjEEEESL_NS6_8equal_toIjEEEENSG_9not_fun_tINSD_8identityEEEEENSD_19counting_iterator_tIlEES8_S8_S8_S8_S8_S8_S8_S8_EEEEPS9_S9_NSD_9__find_if7functorIS9_EEEE10hipError_tPvRmT1_T2_T3_mT4_P12ihipStream_tbEUlT_E1_NS1_11comp_targetILNS1_3genE2ELNS1_11target_archE906ELNS1_3gpuE6ELNS1_3repE0EEENS1_30default_config_static_selectorELNS0_4arch9wavefront6targetE0EEEvS14_.has_recursion, 0
	.set _ZN7rocprim17ROCPRIM_400000_NS6detail17trampoline_kernelINS0_14default_configENS1_22reduce_config_selectorIN6thrust23THRUST_200600_302600_NS5tupleIblNS6_9null_typeES8_S8_S8_S8_S8_S8_S8_EEEEZNS1_11reduce_implILb1ES3_NS6_12zip_iteratorINS7_INS6_11hip_rocprim26transform_input_iterator_tIbNSD_35transform_pair_of_input_iterators_tIbNS6_6detail15normal_iteratorINS6_10device_ptrIKjEEEESL_NS6_8equal_toIjEEEENSG_9not_fun_tINSD_8identityEEEEENSD_19counting_iterator_tIlEES8_S8_S8_S8_S8_S8_S8_S8_EEEEPS9_S9_NSD_9__find_if7functorIS9_EEEE10hipError_tPvRmT1_T2_T3_mT4_P12ihipStream_tbEUlT_E1_NS1_11comp_targetILNS1_3genE2ELNS1_11target_archE906ELNS1_3gpuE6ELNS1_3repE0EEENS1_30default_config_static_selectorELNS0_4arch9wavefront6targetE0EEEvS14_.has_indirect_call, 0
	.section	.AMDGPU.csdata,"",@progbits
; Kernel info:
; codeLenInByte = 0
; TotalNumSgprs: 0
; NumVgprs: 0
; ScratchSize: 0
; MemoryBound: 0
; FloatMode: 240
; IeeeMode: 1
; LDSByteSize: 0 bytes/workgroup (compile time only)
; SGPRBlocks: 0
; VGPRBlocks: 0
; NumSGPRsForWavesPerEU: 1
; NumVGPRsForWavesPerEU: 1
; NamedBarCnt: 0
; Occupancy: 16
; WaveLimiterHint : 0
; COMPUTE_PGM_RSRC2:SCRATCH_EN: 0
; COMPUTE_PGM_RSRC2:USER_SGPR: 2
; COMPUTE_PGM_RSRC2:TRAP_HANDLER: 0
; COMPUTE_PGM_RSRC2:TGID_X_EN: 1
; COMPUTE_PGM_RSRC2:TGID_Y_EN: 0
; COMPUTE_PGM_RSRC2:TGID_Z_EN: 0
; COMPUTE_PGM_RSRC2:TIDIG_COMP_CNT: 0
	.section	.text._ZN7rocprim17ROCPRIM_400000_NS6detail17trampoline_kernelINS0_14default_configENS1_22reduce_config_selectorIN6thrust23THRUST_200600_302600_NS5tupleIblNS6_9null_typeES8_S8_S8_S8_S8_S8_S8_EEEEZNS1_11reduce_implILb1ES3_NS6_12zip_iteratorINS7_INS6_11hip_rocprim26transform_input_iterator_tIbNSD_35transform_pair_of_input_iterators_tIbNS6_6detail15normal_iteratorINS6_10device_ptrIKjEEEESL_NS6_8equal_toIjEEEENSG_9not_fun_tINSD_8identityEEEEENSD_19counting_iterator_tIlEES8_S8_S8_S8_S8_S8_S8_S8_EEEEPS9_S9_NSD_9__find_if7functorIS9_EEEE10hipError_tPvRmT1_T2_T3_mT4_P12ihipStream_tbEUlT_E1_NS1_11comp_targetILNS1_3genE10ELNS1_11target_archE1201ELNS1_3gpuE5ELNS1_3repE0EEENS1_30default_config_static_selectorELNS0_4arch9wavefront6targetE0EEEvS14_,"axG",@progbits,_ZN7rocprim17ROCPRIM_400000_NS6detail17trampoline_kernelINS0_14default_configENS1_22reduce_config_selectorIN6thrust23THRUST_200600_302600_NS5tupleIblNS6_9null_typeES8_S8_S8_S8_S8_S8_S8_EEEEZNS1_11reduce_implILb1ES3_NS6_12zip_iteratorINS7_INS6_11hip_rocprim26transform_input_iterator_tIbNSD_35transform_pair_of_input_iterators_tIbNS6_6detail15normal_iteratorINS6_10device_ptrIKjEEEESL_NS6_8equal_toIjEEEENSG_9not_fun_tINSD_8identityEEEEENSD_19counting_iterator_tIlEES8_S8_S8_S8_S8_S8_S8_S8_EEEEPS9_S9_NSD_9__find_if7functorIS9_EEEE10hipError_tPvRmT1_T2_T3_mT4_P12ihipStream_tbEUlT_E1_NS1_11comp_targetILNS1_3genE10ELNS1_11target_archE1201ELNS1_3gpuE5ELNS1_3repE0EEENS1_30default_config_static_selectorELNS0_4arch9wavefront6targetE0EEEvS14_,comdat
	.protected	_ZN7rocprim17ROCPRIM_400000_NS6detail17trampoline_kernelINS0_14default_configENS1_22reduce_config_selectorIN6thrust23THRUST_200600_302600_NS5tupleIblNS6_9null_typeES8_S8_S8_S8_S8_S8_S8_EEEEZNS1_11reduce_implILb1ES3_NS6_12zip_iteratorINS7_INS6_11hip_rocprim26transform_input_iterator_tIbNSD_35transform_pair_of_input_iterators_tIbNS6_6detail15normal_iteratorINS6_10device_ptrIKjEEEESL_NS6_8equal_toIjEEEENSG_9not_fun_tINSD_8identityEEEEENSD_19counting_iterator_tIlEES8_S8_S8_S8_S8_S8_S8_S8_EEEEPS9_S9_NSD_9__find_if7functorIS9_EEEE10hipError_tPvRmT1_T2_T3_mT4_P12ihipStream_tbEUlT_E1_NS1_11comp_targetILNS1_3genE10ELNS1_11target_archE1201ELNS1_3gpuE5ELNS1_3repE0EEENS1_30default_config_static_selectorELNS0_4arch9wavefront6targetE0EEEvS14_ ; -- Begin function _ZN7rocprim17ROCPRIM_400000_NS6detail17trampoline_kernelINS0_14default_configENS1_22reduce_config_selectorIN6thrust23THRUST_200600_302600_NS5tupleIblNS6_9null_typeES8_S8_S8_S8_S8_S8_S8_EEEEZNS1_11reduce_implILb1ES3_NS6_12zip_iteratorINS7_INS6_11hip_rocprim26transform_input_iterator_tIbNSD_35transform_pair_of_input_iterators_tIbNS6_6detail15normal_iteratorINS6_10device_ptrIKjEEEESL_NS6_8equal_toIjEEEENSG_9not_fun_tINSD_8identityEEEEENSD_19counting_iterator_tIlEES8_S8_S8_S8_S8_S8_S8_S8_EEEEPS9_S9_NSD_9__find_if7functorIS9_EEEE10hipError_tPvRmT1_T2_T3_mT4_P12ihipStream_tbEUlT_E1_NS1_11comp_targetILNS1_3genE10ELNS1_11target_archE1201ELNS1_3gpuE5ELNS1_3repE0EEENS1_30default_config_static_selectorELNS0_4arch9wavefront6targetE0EEEvS14_
	.globl	_ZN7rocprim17ROCPRIM_400000_NS6detail17trampoline_kernelINS0_14default_configENS1_22reduce_config_selectorIN6thrust23THRUST_200600_302600_NS5tupleIblNS6_9null_typeES8_S8_S8_S8_S8_S8_S8_EEEEZNS1_11reduce_implILb1ES3_NS6_12zip_iteratorINS7_INS6_11hip_rocprim26transform_input_iterator_tIbNSD_35transform_pair_of_input_iterators_tIbNS6_6detail15normal_iteratorINS6_10device_ptrIKjEEEESL_NS6_8equal_toIjEEEENSG_9not_fun_tINSD_8identityEEEEENSD_19counting_iterator_tIlEES8_S8_S8_S8_S8_S8_S8_S8_EEEEPS9_S9_NSD_9__find_if7functorIS9_EEEE10hipError_tPvRmT1_T2_T3_mT4_P12ihipStream_tbEUlT_E1_NS1_11comp_targetILNS1_3genE10ELNS1_11target_archE1201ELNS1_3gpuE5ELNS1_3repE0EEENS1_30default_config_static_selectorELNS0_4arch9wavefront6targetE0EEEvS14_
	.p2align	8
	.type	_ZN7rocprim17ROCPRIM_400000_NS6detail17trampoline_kernelINS0_14default_configENS1_22reduce_config_selectorIN6thrust23THRUST_200600_302600_NS5tupleIblNS6_9null_typeES8_S8_S8_S8_S8_S8_S8_EEEEZNS1_11reduce_implILb1ES3_NS6_12zip_iteratorINS7_INS6_11hip_rocprim26transform_input_iterator_tIbNSD_35transform_pair_of_input_iterators_tIbNS6_6detail15normal_iteratorINS6_10device_ptrIKjEEEESL_NS6_8equal_toIjEEEENSG_9not_fun_tINSD_8identityEEEEENSD_19counting_iterator_tIlEES8_S8_S8_S8_S8_S8_S8_S8_EEEEPS9_S9_NSD_9__find_if7functorIS9_EEEE10hipError_tPvRmT1_T2_T3_mT4_P12ihipStream_tbEUlT_E1_NS1_11comp_targetILNS1_3genE10ELNS1_11target_archE1201ELNS1_3gpuE5ELNS1_3repE0EEENS1_30default_config_static_selectorELNS0_4arch9wavefront6targetE0EEEvS14_,@function
_ZN7rocprim17ROCPRIM_400000_NS6detail17trampoline_kernelINS0_14default_configENS1_22reduce_config_selectorIN6thrust23THRUST_200600_302600_NS5tupleIblNS6_9null_typeES8_S8_S8_S8_S8_S8_S8_EEEEZNS1_11reduce_implILb1ES3_NS6_12zip_iteratorINS7_INS6_11hip_rocprim26transform_input_iterator_tIbNSD_35transform_pair_of_input_iterators_tIbNS6_6detail15normal_iteratorINS6_10device_ptrIKjEEEESL_NS6_8equal_toIjEEEENSG_9not_fun_tINSD_8identityEEEEENSD_19counting_iterator_tIlEES8_S8_S8_S8_S8_S8_S8_S8_EEEEPS9_S9_NSD_9__find_if7functorIS9_EEEE10hipError_tPvRmT1_T2_T3_mT4_P12ihipStream_tbEUlT_E1_NS1_11comp_targetILNS1_3genE10ELNS1_11target_archE1201ELNS1_3gpuE5ELNS1_3repE0EEENS1_30default_config_static_selectorELNS0_4arch9wavefront6targetE0EEEvS14_: ; @_ZN7rocprim17ROCPRIM_400000_NS6detail17trampoline_kernelINS0_14default_configENS1_22reduce_config_selectorIN6thrust23THRUST_200600_302600_NS5tupleIblNS6_9null_typeES8_S8_S8_S8_S8_S8_S8_EEEEZNS1_11reduce_implILb1ES3_NS6_12zip_iteratorINS7_INS6_11hip_rocprim26transform_input_iterator_tIbNSD_35transform_pair_of_input_iterators_tIbNS6_6detail15normal_iteratorINS6_10device_ptrIKjEEEESL_NS6_8equal_toIjEEEENSG_9not_fun_tINSD_8identityEEEEENSD_19counting_iterator_tIlEES8_S8_S8_S8_S8_S8_S8_S8_EEEEPS9_S9_NSD_9__find_if7functorIS9_EEEE10hipError_tPvRmT1_T2_T3_mT4_P12ihipStream_tbEUlT_E1_NS1_11comp_targetILNS1_3genE10ELNS1_11target_archE1201ELNS1_3gpuE5ELNS1_3repE0EEENS1_30default_config_static_selectorELNS0_4arch9wavefront6targetE0EEEvS14_
; %bb.0:
	.section	.rodata,"a",@progbits
	.p2align	6, 0x0
	.amdhsa_kernel _ZN7rocprim17ROCPRIM_400000_NS6detail17trampoline_kernelINS0_14default_configENS1_22reduce_config_selectorIN6thrust23THRUST_200600_302600_NS5tupleIblNS6_9null_typeES8_S8_S8_S8_S8_S8_S8_EEEEZNS1_11reduce_implILb1ES3_NS6_12zip_iteratorINS7_INS6_11hip_rocprim26transform_input_iterator_tIbNSD_35transform_pair_of_input_iterators_tIbNS6_6detail15normal_iteratorINS6_10device_ptrIKjEEEESL_NS6_8equal_toIjEEEENSG_9not_fun_tINSD_8identityEEEEENSD_19counting_iterator_tIlEES8_S8_S8_S8_S8_S8_S8_S8_EEEEPS9_S9_NSD_9__find_if7functorIS9_EEEE10hipError_tPvRmT1_T2_T3_mT4_P12ihipStream_tbEUlT_E1_NS1_11comp_targetILNS1_3genE10ELNS1_11target_archE1201ELNS1_3gpuE5ELNS1_3repE0EEENS1_30default_config_static_selectorELNS0_4arch9wavefront6targetE0EEEvS14_
		.amdhsa_group_segment_fixed_size 0
		.amdhsa_private_segment_fixed_size 0
		.amdhsa_kernarg_size 88
		.amdhsa_user_sgpr_count 2
		.amdhsa_user_sgpr_dispatch_ptr 0
		.amdhsa_user_sgpr_queue_ptr 0
		.amdhsa_user_sgpr_kernarg_segment_ptr 1
		.amdhsa_user_sgpr_dispatch_id 0
		.amdhsa_user_sgpr_kernarg_preload_length 0
		.amdhsa_user_sgpr_kernarg_preload_offset 0
		.amdhsa_user_sgpr_private_segment_size 0
		.amdhsa_wavefront_size32 1
		.amdhsa_uses_dynamic_stack 0
		.amdhsa_enable_private_segment 0
		.amdhsa_system_sgpr_workgroup_id_x 1
		.amdhsa_system_sgpr_workgroup_id_y 0
		.amdhsa_system_sgpr_workgroup_id_z 0
		.amdhsa_system_sgpr_workgroup_info 0
		.amdhsa_system_vgpr_workitem_id 0
		.amdhsa_next_free_vgpr 1
		.amdhsa_next_free_sgpr 1
		.amdhsa_named_barrier_count 0
		.amdhsa_reserve_vcc 0
		.amdhsa_float_round_mode_32 0
		.amdhsa_float_round_mode_16_64 0
		.amdhsa_float_denorm_mode_32 3
		.amdhsa_float_denorm_mode_16_64 3
		.amdhsa_fp16_overflow 0
		.amdhsa_memory_ordered 1
		.amdhsa_forward_progress 1
		.amdhsa_inst_pref_size 0
		.amdhsa_round_robin_scheduling 0
		.amdhsa_exception_fp_ieee_invalid_op 0
		.amdhsa_exception_fp_denorm_src 0
		.amdhsa_exception_fp_ieee_div_zero 0
		.amdhsa_exception_fp_ieee_overflow 0
		.amdhsa_exception_fp_ieee_underflow 0
		.amdhsa_exception_fp_ieee_inexact 0
		.amdhsa_exception_int_div_zero 0
	.end_amdhsa_kernel
	.section	.text._ZN7rocprim17ROCPRIM_400000_NS6detail17trampoline_kernelINS0_14default_configENS1_22reduce_config_selectorIN6thrust23THRUST_200600_302600_NS5tupleIblNS6_9null_typeES8_S8_S8_S8_S8_S8_S8_EEEEZNS1_11reduce_implILb1ES3_NS6_12zip_iteratorINS7_INS6_11hip_rocprim26transform_input_iterator_tIbNSD_35transform_pair_of_input_iterators_tIbNS6_6detail15normal_iteratorINS6_10device_ptrIKjEEEESL_NS6_8equal_toIjEEEENSG_9not_fun_tINSD_8identityEEEEENSD_19counting_iterator_tIlEES8_S8_S8_S8_S8_S8_S8_S8_EEEEPS9_S9_NSD_9__find_if7functorIS9_EEEE10hipError_tPvRmT1_T2_T3_mT4_P12ihipStream_tbEUlT_E1_NS1_11comp_targetILNS1_3genE10ELNS1_11target_archE1201ELNS1_3gpuE5ELNS1_3repE0EEENS1_30default_config_static_selectorELNS0_4arch9wavefront6targetE0EEEvS14_,"axG",@progbits,_ZN7rocprim17ROCPRIM_400000_NS6detail17trampoline_kernelINS0_14default_configENS1_22reduce_config_selectorIN6thrust23THRUST_200600_302600_NS5tupleIblNS6_9null_typeES8_S8_S8_S8_S8_S8_S8_EEEEZNS1_11reduce_implILb1ES3_NS6_12zip_iteratorINS7_INS6_11hip_rocprim26transform_input_iterator_tIbNSD_35transform_pair_of_input_iterators_tIbNS6_6detail15normal_iteratorINS6_10device_ptrIKjEEEESL_NS6_8equal_toIjEEEENSG_9not_fun_tINSD_8identityEEEEENSD_19counting_iterator_tIlEES8_S8_S8_S8_S8_S8_S8_S8_EEEEPS9_S9_NSD_9__find_if7functorIS9_EEEE10hipError_tPvRmT1_T2_T3_mT4_P12ihipStream_tbEUlT_E1_NS1_11comp_targetILNS1_3genE10ELNS1_11target_archE1201ELNS1_3gpuE5ELNS1_3repE0EEENS1_30default_config_static_selectorELNS0_4arch9wavefront6targetE0EEEvS14_,comdat
.Lfunc_end165:
	.size	_ZN7rocprim17ROCPRIM_400000_NS6detail17trampoline_kernelINS0_14default_configENS1_22reduce_config_selectorIN6thrust23THRUST_200600_302600_NS5tupleIblNS6_9null_typeES8_S8_S8_S8_S8_S8_S8_EEEEZNS1_11reduce_implILb1ES3_NS6_12zip_iteratorINS7_INS6_11hip_rocprim26transform_input_iterator_tIbNSD_35transform_pair_of_input_iterators_tIbNS6_6detail15normal_iteratorINS6_10device_ptrIKjEEEESL_NS6_8equal_toIjEEEENSG_9not_fun_tINSD_8identityEEEEENSD_19counting_iterator_tIlEES8_S8_S8_S8_S8_S8_S8_S8_EEEEPS9_S9_NSD_9__find_if7functorIS9_EEEE10hipError_tPvRmT1_T2_T3_mT4_P12ihipStream_tbEUlT_E1_NS1_11comp_targetILNS1_3genE10ELNS1_11target_archE1201ELNS1_3gpuE5ELNS1_3repE0EEENS1_30default_config_static_selectorELNS0_4arch9wavefront6targetE0EEEvS14_, .Lfunc_end165-_ZN7rocprim17ROCPRIM_400000_NS6detail17trampoline_kernelINS0_14default_configENS1_22reduce_config_selectorIN6thrust23THRUST_200600_302600_NS5tupleIblNS6_9null_typeES8_S8_S8_S8_S8_S8_S8_EEEEZNS1_11reduce_implILb1ES3_NS6_12zip_iteratorINS7_INS6_11hip_rocprim26transform_input_iterator_tIbNSD_35transform_pair_of_input_iterators_tIbNS6_6detail15normal_iteratorINS6_10device_ptrIKjEEEESL_NS6_8equal_toIjEEEENSG_9not_fun_tINSD_8identityEEEEENSD_19counting_iterator_tIlEES8_S8_S8_S8_S8_S8_S8_S8_EEEEPS9_S9_NSD_9__find_if7functorIS9_EEEE10hipError_tPvRmT1_T2_T3_mT4_P12ihipStream_tbEUlT_E1_NS1_11comp_targetILNS1_3genE10ELNS1_11target_archE1201ELNS1_3gpuE5ELNS1_3repE0EEENS1_30default_config_static_selectorELNS0_4arch9wavefront6targetE0EEEvS14_
                                        ; -- End function
	.set _ZN7rocprim17ROCPRIM_400000_NS6detail17trampoline_kernelINS0_14default_configENS1_22reduce_config_selectorIN6thrust23THRUST_200600_302600_NS5tupleIblNS6_9null_typeES8_S8_S8_S8_S8_S8_S8_EEEEZNS1_11reduce_implILb1ES3_NS6_12zip_iteratorINS7_INS6_11hip_rocprim26transform_input_iterator_tIbNSD_35transform_pair_of_input_iterators_tIbNS6_6detail15normal_iteratorINS6_10device_ptrIKjEEEESL_NS6_8equal_toIjEEEENSG_9not_fun_tINSD_8identityEEEEENSD_19counting_iterator_tIlEES8_S8_S8_S8_S8_S8_S8_S8_EEEEPS9_S9_NSD_9__find_if7functorIS9_EEEE10hipError_tPvRmT1_T2_T3_mT4_P12ihipStream_tbEUlT_E1_NS1_11comp_targetILNS1_3genE10ELNS1_11target_archE1201ELNS1_3gpuE5ELNS1_3repE0EEENS1_30default_config_static_selectorELNS0_4arch9wavefront6targetE0EEEvS14_.num_vgpr, 0
	.set _ZN7rocprim17ROCPRIM_400000_NS6detail17trampoline_kernelINS0_14default_configENS1_22reduce_config_selectorIN6thrust23THRUST_200600_302600_NS5tupleIblNS6_9null_typeES8_S8_S8_S8_S8_S8_S8_EEEEZNS1_11reduce_implILb1ES3_NS6_12zip_iteratorINS7_INS6_11hip_rocprim26transform_input_iterator_tIbNSD_35transform_pair_of_input_iterators_tIbNS6_6detail15normal_iteratorINS6_10device_ptrIKjEEEESL_NS6_8equal_toIjEEEENSG_9not_fun_tINSD_8identityEEEEENSD_19counting_iterator_tIlEES8_S8_S8_S8_S8_S8_S8_S8_EEEEPS9_S9_NSD_9__find_if7functorIS9_EEEE10hipError_tPvRmT1_T2_T3_mT4_P12ihipStream_tbEUlT_E1_NS1_11comp_targetILNS1_3genE10ELNS1_11target_archE1201ELNS1_3gpuE5ELNS1_3repE0EEENS1_30default_config_static_selectorELNS0_4arch9wavefront6targetE0EEEvS14_.num_agpr, 0
	.set _ZN7rocprim17ROCPRIM_400000_NS6detail17trampoline_kernelINS0_14default_configENS1_22reduce_config_selectorIN6thrust23THRUST_200600_302600_NS5tupleIblNS6_9null_typeES8_S8_S8_S8_S8_S8_S8_EEEEZNS1_11reduce_implILb1ES3_NS6_12zip_iteratorINS7_INS6_11hip_rocprim26transform_input_iterator_tIbNSD_35transform_pair_of_input_iterators_tIbNS6_6detail15normal_iteratorINS6_10device_ptrIKjEEEESL_NS6_8equal_toIjEEEENSG_9not_fun_tINSD_8identityEEEEENSD_19counting_iterator_tIlEES8_S8_S8_S8_S8_S8_S8_S8_EEEEPS9_S9_NSD_9__find_if7functorIS9_EEEE10hipError_tPvRmT1_T2_T3_mT4_P12ihipStream_tbEUlT_E1_NS1_11comp_targetILNS1_3genE10ELNS1_11target_archE1201ELNS1_3gpuE5ELNS1_3repE0EEENS1_30default_config_static_selectorELNS0_4arch9wavefront6targetE0EEEvS14_.numbered_sgpr, 0
	.set _ZN7rocprim17ROCPRIM_400000_NS6detail17trampoline_kernelINS0_14default_configENS1_22reduce_config_selectorIN6thrust23THRUST_200600_302600_NS5tupleIblNS6_9null_typeES8_S8_S8_S8_S8_S8_S8_EEEEZNS1_11reduce_implILb1ES3_NS6_12zip_iteratorINS7_INS6_11hip_rocprim26transform_input_iterator_tIbNSD_35transform_pair_of_input_iterators_tIbNS6_6detail15normal_iteratorINS6_10device_ptrIKjEEEESL_NS6_8equal_toIjEEEENSG_9not_fun_tINSD_8identityEEEEENSD_19counting_iterator_tIlEES8_S8_S8_S8_S8_S8_S8_S8_EEEEPS9_S9_NSD_9__find_if7functorIS9_EEEE10hipError_tPvRmT1_T2_T3_mT4_P12ihipStream_tbEUlT_E1_NS1_11comp_targetILNS1_3genE10ELNS1_11target_archE1201ELNS1_3gpuE5ELNS1_3repE0EEENS1_30default_config_static_selectorELNS0_4arch9wavefront6targetE0EEEvS14_.num_named_barrier, 0
	.set _ZN7rocprim17ROCPRIM_400000_NS6detail17trampoline_kernelINS0_14default_configENS1_22reduce_config_selectorIN6thrust23THRUST_200600_302600_NS5tupleIblNS6_9null_typeES8_S8_S8_S8_S8_S8_S8_EEEEZNS1_11reduce_implILb1ES3_NS6_12zip_iteratorINS7_INS6_11hip_rocprim26transform_input_iterator_tIbNSD_35transform_pair_of_input_iterators_tIbNS6_6detail15normal_iteratorINS6_10device_ptrIKjEEEESL_NS6_8equal_toIjEEEENSG_9not_fun_tINSD_8identityEEEEENSD_19counting_iterator_tIlEES8_S8_S8_S8_S8_S8_S8_S8_EEEEPS9_S9_NSD_9__find_if7functorIS9_EEEE10hipError_tPvRmT1_T2_T3_mT4_P12ihipStream_tbEUlT_E1_NS1_11comp_targetILNS1_3genE10ELNS1_11target_archE1201ELNS1_3gpuE5ELNS1_3repE0EEENS1_30default_config_static_selectorELNS0_4arch9wavefront6targetE0EEEvS14_.private_seg_size, 0
	.set _ZN7rocprim17ROCPRIM_400000_NS6detail17trampoline_kernelINS0_14default_configENS1_22reduce_config_selectorIN6thrust23THRUST_200600_302600_NS5tupleIblNS6_9null_typeES8_S8_S8_S8_S8_S8_S8_EEEEZNS1_11reduce_implILb1ES3_NS6_12zip_iteratorINS7_INS6_11hip_rocprim26transform_input_iterator_tIbNSD_35transform_pair_of_input_iterators_tIbNS6_6detail15normal_iteratorINS6_10device_ptrIKjEEEESL_NS6_8equal_toIjEEEENSG_9not_fun_tINSD_8identityEEEEENSD_19counting_iterator_tIlEES8_S8_S8_S8_S8_S8_S8_S8_EEEEPS9_S9_NSD_9__find_if7functorIS9_EEEE10hipError_tPvRmT1_T2_T3_mT4_P12ihipStream_tbEUlT_E1_NS1_11comp_targetILNS1_3genE10ELNS1_11target_archE1201ELNS1_3gpuE5ELNS1_3repE0EEENS1_30default_config_static_selectorELNS0_4arch9wavefront6targetE0EEEvS14_.uses_vcc, 0
	.set _ZN7rocprim17ROCPRIM_400000_NS6detail17trampoline_kernelINS0_14default_configENS1_22reduce_config_selectorIN6thrust23THRUST_200600_302600_NS5tupleIblNS6_9null_typeES8_S8_S8_S8_S8_S8_S8_EEEEZNS1_11reduce_implILb1ES3_NS6_12zip_iteratorINS7_INS6_11hip_rocprim26transform_input_iterator_tIbNSD_35transform_pair_of_input_iterators_tIbNS6_6detail15normal_iteratorINS6_10device_ptrIKjEEEESL_NS6_8equal_toIjEEEENSG_9not_fun_tINSD_8identityEEEEENSD_19counting_iterator_tIlEES8_S8_S8_S8_S8_S8_S8_S8_EEEEPS9_S9_NSD_9__find_if7functorIS9_EEEE10hipError_tPvRmT1_T2_T3_mT4_P12ihipStream_tbEUlT_E1_NS1_11comp_targetILNS1_3genE10ELNS1_11target_archE1201ELNS1_3gpuE5ELNS1_3repE0EEENS1_30default_config_static_selectorELNS0_4arch9wavefront6targetE0EEEvS14_.uses_flat_scratch, 0
	.set _ZN7rocprim17ROCPRIM_400000_NS6detail17trampoline_kernelINS0_14default_configENS1_22reduce_config_selectorIN6thrust23THRUST_200600_302600_NS5tupleIblNS6_9null_typeES8_S8_S8_S8_S8_S8_S8_EEEEZNS1_11reduce_implILb1ES3_NS6_12zip_iteratorINS7_INS6_11hip_rocprim26transform_input_iterator_tIbNSD_35transform_pair_of_input_iterators_tIbNS6_6detail15normal_iteratorINS6_10device_ptrIKjEEEESL_NS6_8equal_toIjEEEENSG_9not_fun_tINSD_8identityEEEEENSD_19counting_iterator_tIlEES8_S8_S8_S8_S8_S8_S8_S8_EEEEPS9_S9_NSD_9__find_if7functorIS9_EEEE10hipError_tPvRmT1_T2_T3_mT4_P12ihipStream_tbEUlT_E1_NS1_11comp_targetILNS1_3genE10ELNS1_11target_archE1201ELNS1_3gpuE5ELNS1_3repE0EEENS1_30default_config_static_selectorELNS0_4arch9wavefront6targetE0EEEvS14_.has_dyn_sized_stack, 0
	.set _ZN7rocprim17ROCPRIM_400000_NS6detail17trampoline_kernelINS0_14default_configENS1_22reduce_config_selectorIN6thrust23THRUST_200600_302600_NS5tupleIblNS6_9null_typeES8_S8_S8_S8_S8_S8_S8_EEEEZNS1_11reduce_implILb1ES3_NS6_12zip_iteratorINS7_INS6_11hip_rocprim26transform_input_iterator_tIbNSD_35transform_pair_of_input_iterators_tIbNS6_6detail15normal_iteratorINS6_10device_ptrIKjEEEESL_NS6_8equal_toIjEEEENSG_9not_fun_tINSD_8identityEEEEENSD_19counting_iterator_tIlEES8_S8_S8_S8_S8_S8_S8_S8_EEEEPS9_S9_NSD_9__find_if7functorIS9_EEEE10hipError_tPvRmT1_T2_T3_mT4_P12ihipStream_tbEUlT_E1_NS1_11comp_targetILNS1_3genE10ELNS1_11target_archE1201ELNS1_3gpuE5ELNS1_3repE0EEENS1_30default_config_static_selectorELNS0_4arch9wavefront6targetE0EEEvS14_.has_recursion, 0
	.set _ZN7rocprim17ROCPRIM_400000_NS6detail17trampoline_kernelINS0_14default_configENS1_22reduce_config_selectorIN6thrust23THRUST_200600_302600_NS5tupleIblNS6_9null_typeES8_S8_S8_S8_S8_S8_S8_EEEEZNS1_11reduce_implILb1ES3_NS6_12zip_iteratorINS7_INS6_11hip_rocprim26transform_input_iterator_tIbNSD_35transform_pair_of_input_iterators_tIbNS6_6detail15normal_iteratorINS6_10device_ptrIKjEEEESL_NS6_8equal_toIjEEEENSG_9not_fun_tINSD_8identityEEEEENSD_19counting_iterator_tIlEES8_S8_S8_S8_S8_S8_S8_S8_EEEEPS9_S9_NSD_9__find_if7functorIS9_EEEE10hipError_tPvRmT1_T2_T3_mT4_P12ihipStream_tbEUlT_E1_NS1_11comp_targetILNS1_3genE10ELNS1_11target_archE1201ELNS1_3gpuE5ELNS1_3repE0EEENS1_30default_config_static_selectorELNS0_4arch9wavefront6targetE0EEEvS14_.has_indirect_call, 0
	.section	.AMDGPU.csdata,"",@progbits
; Kernel info:
; codeLenInByte = 0
; TotalNumSgprs: 0
; NumVgprs: 0
; ScratchSize: 0
; MemoryBound: 0
; FloatMode: 240
; IeeeMode: 1
; LDSByteSize: 0 bytes/workgroup (compile time only)
; SGPRBlocks: 0
; VGPRBlocks: 0
; NumSGPRsForWavesPerEU: 1
; NumVGPRsForWavesPerEU: 1
; NamedBarCnt: 0
; Occupancy: 16
; WaveLimiterHint : 0
; COMPUTE_PGM_RSRC2:SCRATCH_EN: 0
; COMPUTE_PGM_RSRC2:USER_SGPR: 2
; COMPUTE_PGM_RSRC2:TRAP_HANDLER: 0
; COMPUTE_PGM_RSRC2:TGID_X_EN: 1
; COMPUTE_PGM_RSRC2:TGID_Y_EN: 0
; COMPUTE_PGM_RSRC2:TGID_Z_EN: 0
; COMPUTE_PGM_RSRC2:TIDIG_COMP_CNT: 0
	.section	.text._ZN7rocprim17ROCPRIM_400000_NS6detail17trampoline_kernelINS0_14default_configENS1_22reduce_config_selectorIN6thrust23THRUST_200600_302600_NS5tupleIblNS6_9null_typeES8_S8_S8_S8_S8_S8_S8_EEEEZNS1_11reduce_implILb1ES3_NS6_12zip_iteratorINS7_INS6_11hip_rocprim26transform_input_iterator_tIbNSD_35transform_pair_of_input_iterators_tIbNS6_6detail15normal_iteratorINS6_10device_ptrIKjEEEESL_NS6_8equal_toIjEEEENSG_9not_fun_tINSD_8identityEEEEENSD_19counting_iterator_tIlEES8_S8_S8_S8_S8_S8_S8_S8_EEEEPS9_S9_NSD_9__find_if7functorIS9_EEEE10hipError_tPvRmT1_T2_T3_mT4_P12ihipStream_tbEUlT_E1_NS1_11comp_targetILNS1_3genE10ELNS1_11target_archE1200ELNS1_3gpuE4ELNS1_3repE0EEENS1_30default_config_static_selectorELNS0_4arch9wavefront6targetE0EEEvS14_,"axG",@progbits,_ZN7rocprim17ROCPRIM_400000_NS6detail17trampoline_kernelINS0_14default_configENS1_22reduce_config_selectorIN6thrust23THRUST_200600_302600_NS5tupleIblNS6_9null_typeES8_S8_S8_S8_S8_S8_S8_EEEEZNS1_11reduce_implILb1ES3_NS6_12zip_iteratorINS7_INS6_11hip_rocprim26transform_input_iterator_tIbNSD_35transform_pair_of_input_iterators_tIbNS6_6detail15normal_iteratorINS6_10device_ptrIKjEEEESL_NS6_8equal_toIjEEEENSG_9not_fun_tINSD_8identityEEEEENSD_19counting_iterator_tIlEES8_S8_S8_S8_S8_S8_S8_S8_EEEEPS9_S9_NSD_9__find_if7functorIS9_EEEE10hipError_tPvRmT1_T2_T3_mT4_P12ihipStream_tbEUlT_E1_NS1_11comp_targetILNS1_3genE10ELNS1_11target_archE1200ELNS1_3gpuE4ELNS1_3repE0EEENS1_30default_config_static_selectorELNS0_4arch9wavefront6targetE0EEEvS14_,comdat
	.protected	_ZN7rocprim17ROCPRIM_400000_NS6detail17trampoline_kernelINS0_14default_configENS1_22reduce_config_selectorIN6thrust23THRUST_200600_302600_NS5tupleIblNS6_9null_typeES8_S8_S8_S8_S8_S8_S8_EEEEZNS1_11reduce_implILb1ES3_NS6_12zip_iteratorINS7_INS6_11hip_rocprim26transform_input_iterator_tIbNSD_35transform_pair_of_input_iterators_tIbNS6_6detail15normal_iteratorINS6_10device_ptrIKjEEEESL_NS6_8equal_toIjEEEENSG_9not_fun_tINSD_8identityEEEEENSD_19counting_iterator_tIlEES8_S8_S8_S8_S8_S8_S8_S8_EEEEPS9_S9_NSD_9__find_if7functorIS9_EEEE10hipError_tPvRmT1_T2_T3_mT4_P12ihipStream_tbEUlT_E1_NS1_11comp_targetILNS1_3genE10ELNS1_11target_archE1200ELNS1_3gpuE4ELNS1_3repE0EEENS1_30default_config_static_selectorELNS0_4arch9wavefront6targetE0EEEvS14_ ; -- Begin function _ZN7rocprim17ROCPRIM_400000_NS6detail17trampoline_kernelINS0_14default_configENS1_22reduce_config_selectorIN6thrust23THRUST_200600_302600_NS5tupleIblNS6_9null_typeES8_S8_S8_S8_S8_S8_S8_EEEEZNS1_11reduce_implILb1ES3_NS6_12zip_iteratorINS7_INS6_11hip_rocprim26transform_input_iterator_tIbNSD_35transform_pair_of_input_iterators_tIbNS6_6detail15normal_iteratorINS6_10device_ptrIKjEEEESL_NS6_8equal_toIjEEEENSG_9not_fun_tINSD_8identityEEEEENSD_19counting_iterator_tIlEES8_S8_S8_S8_S8_S8_S8_S8_EEEEPS9_S9_NSD_9__find_if7functorIS9_EEEE10hipError_tPvRmT1_T2_T3_mT4_P12ihipStream_tbEUlT_E1_NS1_11comp_targetILNS1_3genE10ELNS1_11target_archE1200ELNS1_3gpuE4ELNS1_3repE0EEENS1_30default_config_static_selectorELNS0_4arch9wavefront6targetE0EEEvS14_
	.globl	_ZN7rocprim17ROCPRIM_400000_NS6detail17trampoline_kernelINS0_14default_configENS1_22reduce_config_selectorIN6thrust23THRUST_200600_302600_NS5tupleIblNS6_9null_typeES8_S8_S8_S8_S8_S8_S8_EEEEZNS1_11reduce_implILb1ES3_NS6_12zip_iteratorINS7_INS6_11hip_rocprim26transform_input_iterator_tIbNSD_35transform_pair_of_input_iterators_tIbNS6_6detail15normal_iteratorINS6_10device_ptrIKjEEEESL_NS6_8equal_toIjEEEENSG_9not_fun_tINSD_8identityEEEEENSD_19counting_iterator_tIlEES8_S8_S8_S8_S8_S8_S8_S8_EEEEPS9_S9_NSD_9__find_if7functorIS9_EEEE10hipError_tPvRmT1_T2_T3_mT4_P12ihipStream_tbEUlT_E1_NS1_11comp_targetILNS1_3genE10ELNS1_11target_archE1200ELNS1_3gpuE4ELNS1_3repE0EEENS1_30default_config_static_selectorELNS0_4arch9wavefront6targetE0EEEvS14_
	.p2align	8
	.type	_ZN7rocprim17ROCPRIM_400000_NS6detail17trampoline_kernelINS0_14default_configENS1_22reduce_config_selectorIN6thrust23THRUST_200600_302600_NS5tupleIblNS6_9null_typeES8_S8_S8_S8_S8_S8_S8_EEEEZNS1_11reduce_implILb1ES3_NS6_12zip_iteratorINS7_INS6_11hip_rocprim26transform_input_iterator_tIbNSD_35transform_pair_of_input_iterators_tIbNS6_6detail15normal_iteratorINS6_10device_ptrIKjEEEESL_NS6_8equal_toIjEEEENSG_9not_fun_tINSD_8identityEEEEENSD_19counting_iterator_tIlEES8_S8_S8_S8_S8_S8_S8_S8_EEEEPS9_S9_NSD_9__find_if7functorIS9_EEEE10hipError_tPvRmT1_T2_T3_mT4_P12ihipStream_tbEUlT_E1_NS1_11comp_targetILNS1_3genE10ELNS1_11target_archE1200ELNS1_3gpuE4ELNS1_3repE0EEENS1_30default_config_static_selectorELNS0_4arch9wavefront6targetE0EEEvS14_,@function
_ZN7rocprim17ROCPRIM_400000_NS6detail17trampoline_kernelINS0_14default_configENS1_22reduce_config_selectorIN6thrust23THRUST_200600_302600_NS5tupleIblNS6_9null_typeES8_S8_S8_S8_S8_S8_S8_EEEEZNS1_11reduce_implILb1ES3_NS6_12zip_iteratorINS7_INS6_11hip_rocprim26transform_input_iterator_tIbNSD_35transform_pair_of_input_iterators_tIbNS6_6detail15normal_iteratorINS6_10device_ptrIKjEEEESL_NS6_8equal_toIjEEEENSG_9not_fun_tINSD_8identityEEEEENSD_19counting_iterator_tIlEES8_S8_S8_S8_S8_S8_S8_S8_EEEEPS9_S9_NSD_9__find_if7functorIS9_EEEE10hipError_tPvRmT1_T2_T3_mT4_P12ihipStream_tbEUlT_E1_NS1_11comp_targetILNS1_3genE10ELNS1_11target_archE1200ELNS1_3gpuE4ELNS1_3repE0EEENS1_30default_config_static_selectorELNS0_4arch9wavefront6targetE0EEEvS14_: ; @_ZN7rocprim17ROCPRIM_400000_NS6detail17trampoline_kernelINS0_14default_configENS1_22reduce_config_selectorIN6thrust23THRUST_200600_302600_NS5tupleIblNS6_9null_typeES8_S8_S8_S8_S8_S8_S8_EEEEZNS1_11reduce_implILb1ES3_NS6_12zip_iteratorINS7_INS6_11hip_rocprim26transform_input_iterator_tIbNSD_35transform_pair_of_input_iterators_tIbNS6_6detail15normal_iteratorINS6_10device_ptrIKjEEEESL_NS6_8equal_toIjEEEENSG_9not_fun_tINSD_8identityEEEEENSD_19counting_iterator_tIlEES8_S8_S8_S8_S8_S8_S8_S8_EEEEPS9_S9_NSD_9__find_if7functorIS9_EEEE10hipError_tPvRmT1_T2_T3_mT4_P12ihipStream_tbEUlT_E1_NS1_11comp_targetILNS1_3genE10ELNS1_11target_archE1200ELNS1_3gpuE4ELNS1_3repE0EEENS1_30default_config_static_selectorELNS0_4arch9wavefront6targetE0EEEvS14_
; %bb.0:
	.section	.rodata,"a",@progbits
	.p2align	6, 0x0
	.amdhsa_kernel _ZN7rocprim17ROCPRIM_400000_NS6detail17trampoline_kernelINS0_14default_configENS1_22reduce_config_selectorIN6thrust23THRUST_200600_302600_NS5tupleIblNS6_9null_typeES8_S8_S8_S8_S8_S8_S8_EEEEZNS1_11reduce_implILb1ES3_NS6_12zip_iteratorINS7_INS6_11hip_rocprim26transform_input_iterator_tIbNSD_35transform_pair_of_input_iterators_tIbNS6_6detail15normal_iteratorINS6_10device_ptrIKjEEEESL_NS6_8equal_toIjEEEENSG_9not_fun_tINSD_8identityEEEEENSD_19counting_iterator_tIlEES8_S8_S8_S8_S8_S8_S8_S8_EEEEPS9_S9_NSD_9__find_if7functorIS9_EEEE10hipError_tPvRmT1_T2_T3_mT4_P12ihipStream_tbEUlT_E1_NS1_11comp_targetILNS1_3genE10ELNS1_11target_archE1200ELNS1_3gpuE4ELNS1_3repE0EEENS1_30default_config_static_selectorELNS0_4arch9wavefront6targetE0EEEvS14_
		.amdhsa_group_segment_fixed_size 0
		.amdhsa_private_segment_fixed_size 0
		.amdhsa_kernarg_size 88
		.amdhsa_user_sgpr_count 2
		.amdhsa_user_sgpr_dispatch_ptr 0
		.amdhsa_user_sgpr_queue_ptr 0
		.amdhsa_user_sgpr_kernarg_segment_ptr 1
		.amdhsa_user_sgpr_dispatch_id 0
		.amdhsa_user_sgpr_kernarg_preload_length 0
		.amdhsa_user_sgpr_kernarg_preload_offset 0
		.amdhsa_user_sgpr_private_segment_size 0
		.amdhsa_wavefront_size32 1
		.amdhsa_uses_dynamic_stack 0
		.amdhsa_enable_private_segment 0
		.amdhsa_system_sgpr_workgroup_id_x 1
		.amdhsa_system_sgpr_workgroup_id_y 0
		.amdhsa_system_sgpr_workgroup_id_z 0
		.amdhsa_system_sgpr_workgroup_info 0
		.amdhsa_system_vgpr_workitem_id 0
		.amdhsa_next_free_vgpr 1
		.amdhsa_next_free_sgpr 1
		.amdhsa_named_barrier_count 0
		.amdhsa_reserve_vcc 0
		.amdhsa_float_round_mode_32 0
		.amdhsa_float_round_mode_16_64 0
		.amdhsa_float_denorm_mode_32 3
		.amdhsa_float_denorm_mode_16_64 3
		.amdhsa_fp16_overflow 0
		.amdhsa_memory_ordered 1
		.amdhsa_forward_progress 1
		.amdhsa_inst_pref_size 0
		.amdhsa_round_robin_scheduling 0
		.amdhsa_exception_fp_ieee_invalid_op 0
		.amdhsa_exception_fp_denorm_src 0
		.amdhsa_exception_fp_ieee_div_zero 0
		.amdhsa_exception_fp_ieee_overflow 0
		.amdhsa_exception_fp_ieee_underflow 0
		.amdhsa_exception_fp_ieee_inexact 0
		.amdhsa_exception_int_div_zero 0
	.end_amdhsa_kernel
	.section	.text._ZN7rocprim17ROCPRIM_400000_NS6detail17trampoline_kernelINS0_14default_configENS1_22reduce_config_selectorIN6thrust23THRUST_200600_302600_NS5tupleIblNS6_9null_typeES8_S8_S8_S8_S8_S8_S8_EEEEZNS1_11reduce_implILb1ES3_NS6_12zip_iteratorINS7_INS6_11hip_rocprim26transform_input_iterator_tIbNSD_35transform_pair_of_input_iterators_tIbNS6_6detail15normal_iteratorINS6_10device_ptrIKjEEEESL_NS6_8equal_toIjEEEENSG_9not_fun_tINSD_8identityEEEEENSD_19counting_iterator_tIlEES8_S8_S8_S8_S8_S8_S8_S8_EEEEPS9_S9_NSD_9__find_if7functorIS9_EEEE10hipError_tPvRmT1_T2_T3_mT4_P12ihipStream_tbEUlT_E1_NS1_11comp_targetILNS1_3genE10ELNS1_11target_archE1200ELNS1_3gpuE4ELNS1_3repE0EEENS1_30default_config_static_selectorELNS0_4arch9wavefront6targetE0EEEvS14_,"axG",@progbits,_ZN7rocprim17ROCPRIM_400000_NS6detail17trampoline_kernelINS0_14default_configENS1_22reduce_config_selectorIN6thrust23THRUST_200600_302600_NS5tupleIblNS6_9null_typeES8_S8_S8_S8_S8_S8_S8_EEEEZNS1_11reduce_implILb1ES3_NS6_12zip_iteratorINS7_INS6_11hip_rocprim26transform_input_iterator_tIbNSD_35transform_pair_of_input_iterators_tIbNS6_6detail15normal_iteratorINS6_10device_ptrIKjEEEESL_NS6_8equal_toIjEEEENSG_9not_fun_tINSD_8identityEEEEENSD_19counting_iterator_tIlEES8_S8_S8_S8_S8_S8_S8_S8_EEEEPS9_S9_NSD_9__find_if7functorIS9_EEEE10hipError_tPvRmT1_T2_T3_mT4_P12ihipStream_tbEUlT_E1_NS1_11comp_targetILNS1_3genE10ELNS1_11target_archE1200ELNS1_3gpuE4ELNS1_3repE0EEENS1_30default_config_static_selectorELNS0_4arch9wavefront6targetE0EEEvS14_,comdat
.Lfunc_end166:
	.size	_ZN7rocprim17ROCPRIM_400000_NS6detail17trampoline_kernelINS0_14default_configENS1_22reduce_config_selectorIN6thrust23THRUST_200600_302600_NS5tupleIblNS6_9null_typeES8_S8_S8_S8_S8_S8_S8_EEEEZNS1_11reduce_implILb1ES3_NS6_12zip_iteratorINS7_INS6_11hip_rocprim26transform_input_iterator_tIbNSD_35transform_pair_of_input_iterators_tIbNS6_6detail15normal_iteratorINS6_10device_ptrIKjEEEESL_NS6_8equal_toIjEEEENSG_9not_fun_tINSD_8identityEEEEENSD_19counting_iterator_tIlEES8_S8_S8_S8_S8_S8_S8_S8_EEEEPS9_S9_NSD_9__find_if7functorIS9_EEEE10hipError_tPvRmT1_T2_T3_mT4_P12ihipStream_tbEUlT_E1_NS1_11comp_targetILNS1_3genE10ELNS1_11target_archE1200ELNS1_3gpuE4ELNS1_3repE0EEENS1_30default_config_static_selectorELNS0_4arch9wavefront6targetE0EEEvS14_, .Lfunc_end166-_ZN7rocprim17ROCPRIM_400000_NS6detail17trampoline_kernelINS0_14default_configENS1_22reduce_config_selectorIN6thrust23THRUST_200600_302600_NS5tupleIblNS6_9null_typeES8_S8_S8_S8_S8_S8_S8_EEEEZNS1_11reduce_implILb1ES3_NS6_12zip_iteratorINS7_INS6_11hip_rocprim26transform_input_iterator_tIbNSD_35transform_pair_of_input_iterators_tIbNS6_6detail15normal_iteratorINS6_10device_ptrIKjEEEESL_NS6_8equal_toIjEEEENSG_9not_fun_tINSD_8identityEEEEENSD_19counting_iterator_tIlEES8_S8_S8_S8_S8_S8_S8_S8_EEEEPS9_S9_NSD_9__find_if7functorIS9_EEEE10hipError_tPvRmT1_T2_T3_mT4_P12ihipStream_tbEUlT_E1_NS1_11comp_targetILNS1_3genE10ELNS1_11target_archE1200ELNS1_3gpuE4ELNS1_3repE0EEENS1_30default_config_static_selectorELNS0_4arch9wavefront6targetE0EEEvS14_
                                        ; -- End function
	.set _ZN7rocprim17ROCPRIM_400000_NS6detail17trampoline_kernelINS0_14default_configENS1_22reduce_config_selectorIN6thrust23THRUST_200600_302600_NS5tupleIblNS6_9null_typeES8_S8_S8_S8_S8_S8_S8_EEEEZNS1_11reduce_implILb1ES3_NS6_12zip_iteratorINS7_INS6_11hip_rocprim26transform_input_iterator_tIbNSD_35transform_pair_of_input_iterators_tIbNS6_6detail15normal_iteratorINS6_10device_ptrIKjEEEESL_NS6_8equal_toIjEEEENSG_9not_fun_tINSD_8identityEEEEENSD_19counting_iterator_tIlEES8_S8_S8_S8_S8_S8_S8_S8_EEEEPS9_S9_NSD_9__find_if7functorIS9_EEEE10hipError_tPvRmT1_T2_T3_mT4_P12ihipStream_tbEUlT_E1_NS1_11comp_targetILNS1_3genE10ELNS1_11target_archE1200ELNS1_3gpuE4ELNS1_3repE0EEENS1_30default_config_static_selectorELNS0_4arch9wavefront6targetE0EEEvS14_.num_vgpr, 0
	.set _ZN7rocprim17ROCPRIM_400000_NS6detail17trampoline_kernelINS0_14default_configENS1_22reduce_config_selectorIN6thrust23THRUST_200600_302600_NS5tupleIblNS6_9null_typeES8_S8_S8_S8_S8_S8_S8_EEEEZNS1_11reduce_implILb1ES3_NS6_12zip_iteratorINS7_INS6_11hip_rocprim26transform_input_iterator_tIbNSD_35transform_pair_of_input_iterators_tIbNS6_6detail15normal_iteratorINS6_10device_ptrIKjEEEESL_NS6_8equal_toIjEEEENSG_9not_fun_tINSD_8identityEEEEENSD_19counting_iterator_tIlEES8_S8_S8_S8_S8_S8_S8_S8_EEEEPS9_S9_NSD_9__find_if7functorIS9_EEEE10hipError_tPvRmT1_T2_T3_mT4_P12ihipStream_tbEUlT_E1_NS1_11comp_targetILNS1_3genE10ELNS1_11target_archE1200ELNS1_3gpuE4ELNS1_3repE0EEENS1_30default_config_static_selectorELNS0_4arch9wavefront6targetE0EEEvS14_.num_agpr, 0
	.set _ZN7rocprim17ROCPRIM_400000_NS6detail17trampoline_kernelINS0_14default_configENS1_22reduce_config_selectorIN6thrust23THRUST_200600_302600_NS5tupleIblNS6_9null_typeES8_S8_S8_S8_S8_S8_S8_EEEEZNS1_11reduce_implILb1ES3_NS6_12zip_iteratorINS7_INS6_11hip_rocprim26transform_input_iterator_tIbNSD_35transform_pair_of_input_iterators_tIbNS6_6detail15normal_iteratorINS6_10device_ptrIKjEEEESL_NS6_8equal_toIjEEEENSG_9not_fun_tINSD_8identityEEEEENSD_19counting_iterator_tIlEES8_S8_S8_S8_S8_S8_S8_S8_EEEEPS9_S9_NSD_9__find_if7functorIS9_EEEE10hipError_tPvRmT1_T2_T3_mT4_P12ihipStream_tbEUlT_E1_NS1_11comp_targetILNS1_3genE10ELNS1_11target_archE1200ELNS1_3gpuE4ELNS1_3repE0EEENS1_30default_config_static_selectorELNS0_4arch9wavefront6targetE0EEEvS14_.numbered_sgpr, 0
	.set _ZN7rocprim17ROCPRIM_400000_NS6detail17trampoline_kernelINS0_14default_configENS1_22reduce_config_selectorIN6thrust23THRUST_200600_302600_NS5tupleIblNS6_9null_typeES8_S8_S8_S8_S8_S8_S8_EEEEZNS1_11reduce_implILb1ES3_NS6_12zip_iteratorINS7_INS6_11hip_rocprim26transform_input_iterator_tIbNSD_35transform_pair_of_input_iterators_tIbNS6_6detail15normal_iteratorINS6_10device_ptrIKjEEEESL_NS6_8equal_toIjEEEENSG_9not_fun_tINSD_8identityEEEEENSD_19counting_iterator_tIlEES8_S8_S8_S8_S8_S8_S8_S8_EEEEPS9_S9_NSD_9__find_if7functorIS9_EEEE10hipError_tPvRmT1_T2_T3_mT4_P12ihipStream_tbEUlT_E1_NS1_11comp_targetILNS1_3genE10ELNS1_11target_archE1200ELNS1_3gpuE4ELNS1_3repE0EEENS1_30default_config_static_selectorELNS0_4arch9wavefront6targetE0EEEvS14_.num_named_barrier, 0
	.set _ZN7rocprim17ROCPRIM_400000_NS6detail17trampoline_kernelINS0_14default_configENS1_22reduce_config_selectorIN6thrust23THRUST_200600_302600_NS5tupleIblNS6_9null_typeES8_S8_S8_S8_S8_S8_S8_EEEEZNS1_11reduce_implILb1ES3_NS6_12zip_iteratorINS7_INS6_11hip_rocprim26transform_input_iterator_tIbNSD_35transform_pair_of_input_iterators_tIbNS6_6detail15normal_iteratorINS6_10device_ptrIKjEEEESL_NS6_8equal_toIjEEEENSG_9not_fun_tINSD_8identityEEEEENSD_19counting_iterator_tIlEES8_S8_S8_S8_S8_S8_S8_S8_EEEEPS9_S9_NSD_9__find_if7functorIS9_EEEE10hipError_tPvRmT1_T2_T3_mT4_P12ihipStream_tbEUlT_E1_NS1_11comp_targetILNS1_3genE10ELNS1_11target_archE1200ELNS1_3gpuE4ELNS1_3repE0EEENS1_30default_config_static_selectorELNS0_4arch9wavefront6targetE0EEEvS14_.private_seg_size, 0
	.set _ZN7rocprim17ROCPRIM_400000_NS6detail17trampoline_kernelINS0_14default_configENS1_22reduce_config_selectorIN6thrust23THRUST_200600_302600_NS5tupleIblNS6_9null_typeES8_S8_S8_S8_S8_S8_S8_EEEEZNS1_11reduce_implILb1ES3_NS6_12zip_iteratorINS7_INS6_11hip_rocprim26transform_input_iterator_tIbNSD_35transform_pair_of_input_iterators_tIbNS6_6detail15normal_iteratorINS6_10device_ptrIKjEEEESL_NS6_8equal_toIjEEEENSG_9not_fun_tINSD_8identityEEEEENSD_19counting_iterator_tIlEES8_S8_S8_S8_S8_S8_S8_S8_EEEEPS9_S9_NSD_9__find_if7functorIS9_EEEE10hipError_tPvRmT1_T2_T3_mT4_P12ihipStream_tbEUlT_E1_NS1_11comp_targetILNS1_3genE10ELNS1_11target_archE1200ELNS1_3gpuE4ELNS1_3repE0EEENS1_30default_config_static_selectorELNS0_4arch9wavefront6targetE0EEEvS14_.uses_vcc, 0
	.set _ZN7rocprim17ROCPRIM_400000_NS6detail17trampoline_kernelINS0_14default_configENS1_22reduce_config_selectorIN6thrust23THRUST_200600_302600_NS5tupleIblNS6_9null_typeES8_S8_S8_S8_S8_S8_S8_EEEEZNS1_11reduce_implILb1ES3_NS6_12zip_iteratorINS7_INS6_11hip_rocprim26transform_input_iterator_tIbNSD_35transform_pair_of_input_iterators_tIbNS6_6detail15normal_iteratorINS6_10device_ptrIKjEEEESL_NS6_8equal_toIjEEEENSG_9not_fun_tINSD_8identityEEEEENSD_19counting_iterator_tIlEES8_S8_S8_S8_S8_S8_S8_S8_EEEEPS9_S9_NSD_9__find_if7functorIS9_EEEE10hipError_tPvRmT1_T2_T3_mT4_P12ihipStream_tbEUlT_E1_NS1_11comp_targetILNS1_3genE10ELNS1_11target_archE1200ELNS1_3gpuE4ELNS1_3repE0EEENS1_30default_config_static_selectorELNS0_4arch9wavefront6targetE0EEEvS14_.uses_flat_scratch, 0
	.set _ZN7rocprim17ROCPRIM_400000_NS6detail17trampoline_kernelINS0_14default_configENS1_22reduce_config_selectorIN6thrust23THRUST_200600_302600_NS5tupleIblNS6_9null_typeES8_S8_S8_S8_S8_S8_S8_EEEEZNS1_11reduce_implILb1ES3_NS6_12zip_iteratorINS7_INS6_11hip_rocprim26transform_input_iterator_tIbNSD_35transform_pair_of_input_iterators_tIbNS6_6detail15normal_iteratorINS6_10device_ptrIKjEEEESL_NS6_8equal_toIjEEEENSG_9not_fun_tINSD_8identityEEEEENSD_19counting_iterator_tIlEES8_S8_S8_S8_S8_S8_S8_S8_EEEEPS9_S9_NSD_9__find_if7functorIS9_EEEE10hipError_tPvRmT1_T2_T3_mT4_P12ihipStream_tbEUlT_E1_NS1_11comp_targetILNS1_3genE10ELNS1_11target_archE1200ELNS1_3gpuE4ELNS1_3repE0EEENS1_30default_config_static_selectorELNS0_4arch9wavefront6targetE0EEEvS14_.has_dyn_sized_stack, 0
	.set _ZN7rocprim17ROCPRIM_400000_NS6detail17trampoline_kernelINS0_14default_configENS1_22reduce_config_selectorIN6thrust23THRUST_200600_302600_NS5tupleIblNS6_9null_typeES8_S8_S8_S8_S8_S8_S8_EEEEZNS1_11reduce_implILb1ES3_NS6_12zip_iteratorINS7_INS6_11hip_rocprim26transform_input_iterator_tIbNSD_35transform_pair_of_input_iterators_tIbNS6_6detail15normal_iteratorINS6_10device_ptrIKjEEEESL_NS6_8equal_toIjEEEENSG_9not_fun_tINSD_8identityEEEEENSD_19counting_iterator_tIlEES8_S8_S8_S8_S8_S8_S8_S8_EEEEPS9_S9_NSD_9__find_if7functorIS9_EEEE10hipError_tPvRmT1_T2_T3_mT4_P12ihipStream_tbEUlT_E1_NS1_11comp_targetILNS1_3genE10ELNS1_11target_archE1200ELNS1_3gpuE4ELNS1_3repE0EEENS1_30default_config_static_selectorELNS0_4arch9wavefront6targetE0EEEvS14_.has_recursion, 0
	.set _ZN7rocprim17ROCPRIM_400000_NS6detail17trampoline_kernelINS0_14default_configENS1_22reduce_config_selectorIN6thrust23THRUST_200600_302600_NS5tupleIblNS6_9null_typeES8_S8_S8_S8_S8_S8_S8_EEEEZNS1_11reduce_implILb1ES3_NS6_12zip_iteratorINS7_INS6_11hip_rocprim26transform_input_iterator_tIbNSD_35transform_pair_of_input_iterators_tIbNS6_6detail15normal_iteratorINS6_10device_ptrIKjEEEESL_NS6_8equal_toIjEEEENSG_9not_fun_tINSD_8identityEEEEENSD_19counting_iterator_tIlEES8_S8_S8_S8_S8_S8_S8_S8_EEEEPS9_S9_NSD_9__find_if7functorIS9_EEEE10hipError_tPvRmT1_T2_T3_mT4_P12ihipStream_tbEUlT_E1_NS1_11comp_targetILNS1_3genE10ELNS1_11target_archE1200ELNS1_3gpuE4ELNS1_3repE0EEENS1_30default_config_static_selectorELNS0_4arch9wavefront6targetE0EEEvS14_.has_indirect_call, 0
	.section	.AMDGPU.csdata,"",@progbits
; Kernel info:
; codeLenInByte = 0
; TotalNumSgprs: 0
; NumVgprs: 0
; ScratchSize: 0
; MemoryBound: 0
; FloatMode: 240
; IeeeMode: 1
; LDSByteSize: 0 bytes/workgroup (compile time only)
; SGPRBlocks: 0
; VGPRBlocks: 0
; NumSGPRsForWavesPerEU: 1
; NumVGPRsForWavesPerEU: 1
; NamedBarCnt: 0
; Occupancy: 16
; WaveLimiterHint : 0
; COMPUTE_PGM_RSRC2:SCRATCH_EN: 0
; COMPUTE_PGM_RSRC2:USER_SGPR: 2
; COMPUTE_PGM_RSRC2:TRAP_HANDLER: 0
; COMPUTE_PGM_RSRC2:TGID_X_EN: 1
; COMPUTE_PGM_RSRC2:TGID_Y_EN: 0
; COMPUTE_PGM_RSRC2:TGID_Z_EN: 0
; COMPUTE_PGM_RSRC2:TIDIG_COMP_CNT: 0
	.section	.text._ZN7rocprim17ROCPRIM_400000_NS6detail17trampoline_kernelINS0_14default_configENS1_22reduce_config_selectorIN6thrust23THRUST_200600_302600_NS5tupleIblNS6_9null_typeES8_S8_S8_S8_S8_S8_S8_EEEEZNS1_11reduce_implILb1ES3_NS6_12zip_iteratorINS7_INS6_11hip_rocprim26transform_input_iterator_tIbNSD_35transform_pair_of_input_iterators_tIbNS6_6detail15normal_iteratorINS6_10device_ptrIKjEEEESL_NS6_8equal_toIjEEEENSG_9not_fun_tINSD_8identityEEEEENSD_19counting_iterator_tIlEES8_S8_S8_S8_S8_S8_S8_S8_EEEEPS9_S9_NSD_9__find_if7functorIS9_EEEE10hipError_tPvRmT1_T2_T3_mT4_P12ihipStream_tbEUlT_E1_NS1_11comp_targetILNS1_3genE9ELNS1_11target_archE1100ELNS1_3gpuE3ELNS1_3repE0EEENS1_30default_config_static_selectorELNS0_4arch9wavefront6targetE0EEEvS14_,"axG",@progbits,_ZN7rocprim17ROCPRIM_400000_NS6detail17trampoline_kernelINS0_14default_configENS1_22reduce_config_selectorIN6thrust23THRUST_200600_302600_NS5tupleIblNS6_9null_typeES8_S8_S8_S8_S8_S8_S8_EEEEZNS1_11reduce_implILb1ES3_NS6_12zip_iteratorINS7_INS6_11hip_rocprim26transform_input_iterator_tIbNSD_35transform_pair_of_input_iterators_tIbNS6_6detail15normal_iteratorINS6_10device_ptrIKjEEEESL_NS6_8equal_toIjEEEENSG_9not_fun_tINSD_8identityEEEEENSD_19counting_iterator_tIlEES8_S8_S8_S8_S8_S8_S8_S8_EEEEPS9_S9_NSD_9__find_if7functorIS9_EEEE10hipError_tPvRmT1_T2_T3_mT4_P12ihipStream_tbEUlT_E1_NS1_11comp_targetILNS1_3genE9ELNS1_11target_archE1100ELNS1_3gpuE3ELNS1_3repE0EEENS1_30default_config_static_selectorELNS0_4arch9wavefront6targetE0EEEvS14_,comdat
	.protected	_ZN7rocprim17ROCPRIM_400000_NS6detail17trampoline_kernelINS0_14default_configENS1_22reduce_config_selectorIN6thrust23THRUST_200600_302600_NS5tupleIblNS6_9null_typeES8_S8_S8_S8_S8_S8_S8_EEEEZNS1_11reduce_implILb1ES3_NS6_12zip_iteratorINS7_INS6_11hip_rocprim26transform_input_iterator_tIbNSD_35transform_pair_of_input_iterators_tIbNS6_6detail15normal_iteratorINS6_10device_ptrIKjEEEESL_NS6_8equal_toIjEEEENSG_9not_fun_tINSD_8identityEEEEENSD_19counting_iterator_tIlEES8_S8_S8_S8_S8_S8_S8_S8_EEEEPS9_S9_NSD_9__find_if7functorIS9_EEEE10hipError_tPvRmT1_T2_T3_mT4_P12ihipStream_tbEUlT_E1_NS1_11comp_targetILNS1_3genE9ELNS1_11target_archE1100ELNS1_3gpuE3ELNS1_3repE0EEENS1_30default_config_static_selectorELNS0_4arch9wavefront6targetE0EEEvS14_ ; -- Begin function _ZN7rocprim17ROCPRIM_400000_NS6detail17trampoline_kernelINS0_14default_configENS1_22reduce_config_selectorIN6thrust23THRUST_200600_302600_NS5tupleIblNS6_9null_typeES8_S8_S8_S8_S8_S8_S8_EEEEZNS1_11reduce_implILb1ES3_NS6_12zip_iteratorINS7_INS6_11hip_rocprim26transform_input_iterator_tIbNSD_35transform_pair_of_input_iterators_tIbNS6_6detail15normal_iteratorINS6_10device_ptrIKjEEEESL_NS6_8equal_toIjEEEENSG_9not_fun_tINSD_8identityEEEEENSD_19counting_iterator_tIlEES8_S8_S8_S8_S8_S8_S8_S8_EEEEPS9_S9_NSD_9__find_if7functorIS9_EEEE10hipError_tPvRmT1_T2_T3_mT4_P12ihipStream_tbEUlT_E1_NS1_11comp_targetILNS1_3genE9ELNS1_11target_archE1100ELNS1_3gpuE3ELNS1_3repE0EEENS1_30default_config_static_selectorELNS0_4arch9wavefront6targetE0EEEvS14_
	.globl	_ZN7rocprim17ROCPRIM_400000_NS6detail17trampoline_kernelINS0_14default_configENS1_22reduce_config_selectorIN6thrust23THRUST_200600_302600_NS5tupleIblNS6_9null_typeES8_S8_S8_S8_S8_S8_S8_EEEEZNS1_11reduce_implILb1ES3_NS6_12zip_iteratorINS7_INS6_11hip_rocprim26transform_input_iterator_tIbNSD_35transform_pair_of_input_iterators_tIbNS6_6detail15normal_iteratorINS6_10device_ptrIKjEEEESL_NS6_8equal_toIjEEEENSG_9not_fun_tINSD_8identityEEEEENSD_19counting_iterator_tIlEES8_S8_S8_S8_S8_S8_S8_S8_EEEEPS9_S9_NSD_9__find_if7functorIS9_EEEE10hipError_tPvRmT1_T2_T3_mT4_P12ihipStream_tbEUlT_E1_NS1_11comp_targetILNS1_3genE9ELNS1_11target_archE1100ELNS1_3gpuE3ELNS1_3repE0EEENS1_30default_config_static_selectorELNS0_4arch9wavefront6targetE0EEEvS14_
	.p2align	8
	.type	_ZN7rocprim17ROCPRIM_400000_NS6detail17trampoline_kernelINS0_14default_configENS1_22reduce_config_selectorIN6thrust23THRUST_200600_302600_NS5tupleIblNS6_9null_typeES8_S8_S8_S8_S8_S8_S8_EEEEZNS1_11reduce_implILb1ES3_NS6_12zip_iteratorINS7_INS6_11hip_rocprim26transform_input_iterator_tIbNSD_35transform_pair_of_input_iterators_tIbNS6_6detail15normal_iteratorINS6_10device_ptrIKjEEEESL_NS6_8equal_toIjEEEENSG_9not_fun_tINSD_8identityEEEEENSD_19counting_iterator_tIlEES8_S8_S8_S8_S8_S8_S8_S8_EEEEPS9_S9_NSD_9__find_if7functorIS9_EEEE10hipError_tPvRmT1_T2_T3_mT4_P12ihipStream_tbEUlT_E1_NS1_11comp_targetILNS1_3genE9ELNS1_11target_archE1100ELNS1_3gpuE3ELNS1_3repE0EEENS1_30default_config_static_selectorELNS0_4arch9wavefront6targetE0EEEvS14_,@function
_ZN7rocprim17ROCPRIM_400000_NS6detail17trampoline_kernelINS0_14default_configENS1_22reduce_config_selectorIN6thrust23THRUST_200600_302600_NS5tupleIblNS6_9null_typeES8_S8_S8_S8_S8_S8_S8_EEEEZNS1_11reduce_implILb1ES3_NS6_12zip_iteratorINS7_INS6_11hip_rocprim26transform_input_iterator_tIbNSD_35transform_pair_of_input_iterators_tIbNS6_6detail15normal_iteratorINS6_10device_ptrIKjEEEESL_NS6_8equal_toIjEEEENSG_9not_fun_tINSD_8identityEEEEENSD_19counting_iterator_tIlEES8_S8_S8_S8_S8_S8_S8_S8_EEEEPS9_S9_NSD_9__find_if7functorIS9_EEEE10hipError_tPvRmT1_T2_T3_mT4_P12ihipStream_tbEUlT_E1_NS1_11comp_targetILNS1_3genE9ELNS1_11target_archE1100ELNS1_3gpuE3ELNS1_3repE0EEENS1_30default_config_static_selectorELNS0_4arch9wavefront6targetE0EEEvS14_: ; @_ZN7rocprim17ROCPRIM_400000_NS6detail17trampoline_kernelINS0_14default_configENS1_22reduce_config_selectorIN6thrust23THRUST_200600_302600_NS5tupleIblNS6_9null_typeES8_S8_S8_S8_S8_S8_S8_EEEEZNS1_11reduce_implILb1ES3_NS6_12zip_iteratorINS7_INS6_11hip_rocprim26transform_input_iterator_tIbNSD_35transform_pair_of_input_iterators_tIbNS6_6detail15normal_iteratorINS6_10device_ptrIKjEEEESL_NS6_8equal_toIjEEEENSG_9not_fun_tINSD_8identityEEEEENSD_19counting_iterator_tIlEES8_S8_S8_S8_S8_S8_S8_S8_EEEEPS9_S9_NSD_9__find_if7functorIS9_EEEE10hipError_tPvRmT1_T2_T3_mT4_P12ihipStream_tbEUlT_E1_NS1_11comp_targetILNS1_3genE9ELNS1_11target_archE1100ELNS1_3gpuE3ELNS1_3repE0EEENS1_30default_config_static_selectorELNS0_4arch9wavefront6targetE0EEEvS14_
; %bb.0:
	.section	.rodata,"a",@progbits
	.p2align	6, 0x0
	.amdhsa_kernel _ZN7rocprim17ROCPRIM_400000_NS6detail17trampoline_kernelINS0_14default_configENS1_22reduce_config_selectorIN6thrust23THRUST_200600_302600_NS5tupleIblNS6_9null_typeES8_S8_S8_S8_S8_S8_S8_EEEEZNS1_11reduce_implILb1ES3_NS6_12zip_iteratorINS7_INS6_11hip_rocprim26transform_input_iterator_tIbNSD_35transform_pair_of_input_iterators_tIbNS6_6detail15normal_iteratorINS6_10device_ptrIKjEEEESL_NS6_8equal_toIjEEEENSG_9not_fun_tINSD_8identityEEEEENSD_19counting_iterator_tIlEES8_S8_S8_S8_S8_S8_S8_S8_EEEEPS9_S9_NSD_9__find_if7functorIS9_EEEE10hipError_tPvRmT1_T2_T3_mT4_P12ihipStream_tbEUlT_E1_NS1_11comp_targetILNS1_3genE9ELNS1_11target_archE1100ELNS1_3gpuE3ELNS1_3repE0EEENS1_30default_config_static_selectorELNS0_4arch9wavefront6targetE0EEEvS14_
		.amdhsa_group_segment_fixed_size 0
		.amdhsa_private_segment_fixed_size 0
		.amdhsa_kernarg_size 88
		.amdhsa_user_sgpr_count 2
		.amdhsa_user_sgpr_dispatch_ptr 0
		.amdhsa_user_sgpr_queue_ptr 0
		.amdhsa_user_sgpr_kernarg_segment_ptr 1
		.amdhsa_user_sgpr_dispatch_id 0
		.amdhsa_user_sgpr_kernarg_preload_length 0
		.amdhsa_user_sgpr_kernarg_preload_offset 0
		.amdhsa_user_sgpr_private_segment_size 0
		.amdhsa_wavefront_size32 1
		.amdhsa_uses_dynamic_stack 0
		.amdhsa_enable_private_segment 0
		.amdhsa_system_sgpr_workgroup_id_x 1
		.amdhsa_system_sgpr_workgroup_id_y 0
		.amdhsa_system_sgpr_workgroup_id_z 0
		.amdhsa_system_sgpr_workgroup_info 0
		.amdhsa_system_vgpr_workitem_id 0
		.amdhsa_next_free_vgpr 1
		.amdhsa_next_free_sgpr 1
		.amdhsa_named_barrier_count 0
		.amdhsa_reserve_vcc 0
		.amdhsa_float_round_mode_32 0
		.amdhsa_float_round_mode_16_64 0
		.amdhsa_float_denorm_mode_32 3
		.amdhsa_float_denorm_mode_16_64 3
		.amdhsa_fp16_overflow 0
		.amdhsa_memory_ordered 1
		.amdhsa_forward_progress 1
		.amdhsa_inst_pref_size 0
		.amdhsa_round_robin_scheduling 0
		.amdhsa_exception_fp_ieee_invalid_op 0
		.amdhsa_exception_fp_denorm_src 0
		.amdhsa_exception_fp_ieee_div_zero 0
		.amdhsa_exception_fp_ieee_overflow 0
		.amdhsa_exception_fp_ieee_underflow 0
		.amdhsa_exception_fp_ieee_inexact 0
		.amdhsa_exception_int_div_zero 0
	.end_amdhsa_kernel
	.section	.text._ZN7rocprim17ROCPRIM_400000_NS6detail17trampoline_kernelINS0_14default_configENS1_22reduce_config_selectorIN6thrust23THRUST_200600_302600_NS5tupleIblNS6_9null_typeES8_S8_S8_S8_S8_S8_S8_EEEEZNS1_11reduce_implILb1ES3_NS6_12zip_iteratorINS7_INS6_11hip_rocprim26transform_input_iterator_tIbNSD_35transform_pair_of_input_iterators_tIbNS6_6detail15normal_iteratorINS6_10device_ptrIKjEEEESL_NS6_8equal_toIjEEEENSG_9not_fun_tINSD_8identityEEEEENSD_19counting_iterator_tIlEES8_S8_S8_S8_S8_S8_S8_S8_EEEEPS9_S9_NSD_9__find_if7functorIS9_EEEE10hipError_tPvRmT1_T2_T3_mT4_P12ihipStream_tbEUlT_E1_NS1_11comp_targetILNS1_3genE9ELNS1_11target_archE1100ELNS1_3gpuE3ELNS1_3repE0EEENS1_30default_config_static_selectorELNS0_4arch9wavefront6targetE0EEEvS14_,"axG",@progbits,_ZN7rocprim17ROCPRIM_400000_NS6detail17trampoline_kernelINS0_14default_configENS1_22reduce_config_selectorIN6thrust23THRUST_200600_302600_NS5tupleIblNS6_9null_typeES8_S8_S8_S8_S8_S8_S8_EEEEZNS1_11reduce_implILb1ES3_NS6_12zip_iteratorINS7_INS6_11hip_rocprim26transform_input_iterator_tIbNSD_35transform_pair_of_input_iterators_tIbNS6_6detail15normal_iteratorINS6_10device_ptrIKjEEEESL_NS6_8equal_toIjEEEENSG_9not_fun_tINSD_8identityEEEEENSD_19counting_iterator_tIlEES8_S8_S8_S8_S8_S8_S8_S8_EEEEPS9_S9_NSD_9__find_if7functorIS9_EEEE10hipError_tPvRmT1_T2_T3_mT4_P12ihipStream_tbEUlT_E1_NS1_11comp_targetILNS1_3genE9ELNS1_11target_archE1100ELNS1_3gpuE3ELNS1_3repE0EEENS1_30default_config_static_selectorELNS0_4arch9wavefront6targetE0EEEvS14_,comdat
.Lfunc_end167:
	.size	_ZN7rocprim17ROCPRIM_400000_NS6detail17trampoline_kernelINS0_14default_configENS1_22reduce_config_selectorIN6thrust23THRUST_200600_302600_NS5tupleIblNS6_9null_typeES8_S8_S8_S8_S8_S8_S8_EEEEZNS1_11reduce_implILb1ES3_NS6_12zip_iteratorINS7_INS6_11hip_rocprim26transform_input_iterator_tIbNSD_35transform_pair_of_input_iterators_tIbNS6_6detail15normal_iteratorINS6_10device_ptrIKjEEEESL_NS6_8equal_toIjEEEENSG_9not_fun_tINSD_8identityEEEEENSD_19counting_iterator_tIlEES8_S8_S8_S8_S8_S8_S8_S8_EEEEPS9_S9_NSD_9__find_if7functorIS9_EEEE10hipError_tPvRmT1_T2_T3_mT4_P12ihipStream_tbEUlT_E1_NS1_11comp_targetILNS1_3genE9ELNS1_11target_archE1100ELNS1_3gpuE3ELNS1_3repE0EEENS1_30default_config_static_selectorELNS0_4arch9wavefront6targetE0EEEvS14_, .Lfunc_end167-_ZN7rocprim17ROCPRIM_400000_NS6detail17trampoline_kernelINS0_14default_configENS1_22reduce_config_selectorIN6thrust23THRUST_200600_302600_NS5tupleIblNS6_9null_typeES8_S8_S8_S8_S8_S8_S8_EEEEZNS1_11reduce_implILb1ES3_NS6_12zip_iteratorINS7_INS6_11hip_rocprim26transform_input_iterator_tIbNSD_35transform_pair_of_input_iterators_tIbNS6_6detail15normal_iteratorINS6_10device_ptrIKjEEEESL_NS6_8equal_toIjEEEENSG_9not_fun_tINSD_8identityEEEEENSD_19counting_iterator_tIlEES8_S8_S8_S8_S8_S8_S8_S8_EEEEPS9_S9_NSD_9__find_if7functorIS9_EEEE10hipError_tPvRmT1_T2_T3_mT4_P12ihipStream_tbEUlT_E1_NS1_11comp_targetILNS1_3genE9ELNS1_11target_archE1100ELNS1_3gpuE3ELNS1_3repE0EEENS1_30default_config_static_selectorELNS0_4arch9wavefront6targetE0EEEvS14_
                                        ; -- End function
	.set _ZN7rocprim17ROCPRIM_400000_NS6detail17trampoline_kernelINS0_14default_configENS1_22reduce_config_selectorIN6thrust23THRUST_200600_302600_NS5tupleIblNS6_9null_typeES8_S8_S8_S8_S8_S8_S8_EEEEZNS1_11reduce_implILb1ES3_NS6_12zip_iteratorINS7_INS6_11hip_rocprim26transform_input_iterator_tIbNSD_35transform_pair_of_input_iterators_tIbNS6_6detail15normal_iteratorINS6_10device_ptrIKjEEEESL_NS6_8equal_toIjEEEENSG_9not_fun_tINSD_8identityEEEEENSD_19counting_iterator_tIlEES8_S8_S8_S8_S8_S8_S8_S8_EEEEPS9_S9_NSD_9__find_if7functorIS9_EEEE10hipError_tPvRmT1_T2_T3_mT4_P12ihipStream_tbEUlT_E1_NS1_11comp_targetILNS1_3genE9ELNS1_11target_archE1100ELNS1_3gpuE3ELNS1_3repE0EEENS1_30default_config_static_selectorELNS0_4arch9wavefront6targetE0EEEvS14_.num_vgpr, 0
	.set _ZN7rocprim17ROCPRIM_400000_NS6detail17trampoline_kernelINS0_14default_configENS1_22reduce_config_selectorIN6thrust23THRUST_200600_302600_NS5tupleIblNS6_9null_typeES8_S8_S8_S8_S8_S8_S8_EEEEZNS1_11reduce_implILb1ES3_NS6_12zip_iteratorINS7_INS6_11hip_rocprim26transform_input_iterator_tIbNSD_35transform_pair_of_input_iterators_tIbNS6_6detail15normal_iteratorINS6_10device_ptrIKjEEEESL_NS6_8equal_toIjEEEENSG_9not_fun_tINSD_8identityEEEEENSD_19counting_iterator_tIlEES8_S8_S8_S8_S8_S8_S8_S8_EEEEPS9_S9_NSD_9__find_if7functorIS9_EEEE10hipError_tPvRmT1_T2_T3_mT4_P12ihipStream_tbEUlT_E1_NS1_11comp_targetILNS1_3genE9ELNS1_11target_archE1100ELNS1_3gpuE3ELNS1_3repE0EEENS1_30default_config_static_selectorELNS0_4arch9wavefront6targetE0EEEvS14_.num_agpr, 0
	.set _ZN7rocprim17ROCPRIM_400000_NS6detail17trampoline_kernelINS0_14default_configENS1_22reduce_config_selectorIN6thrust23THRUST_200600_302600_NS5tupleIblNS6_9null_typeES8_S8_S8_S8_S8_S8_S8_EEEEZNS1_11reduce_implILb1ES3_NS6_12zip_iteratorINS7_INS6_11hip_rocprim26transform_input_iterator_tIbNSD_35transform_pair_of_input_iterators_tIbNS6_6detail15normal_iteratorINS6_10device_ptrIKjEEEESL_NS6_8equal_toIjEEEENSG_9not_fun_tINSD_8identityEEEEENSD_19counting_iterator_tIlEES8_S8_S8_S8_S8_S8_S8_S8_EEEEPS9_S9_NSD_9__find_if7functorIS9_EEEE10hipError_tPvRmT1_T2_T3_mT4_P12ihipStream_tbEUlT_E1_NS1_11comp_targetILNS1_3genE9ELNS1_11target_archE1100ELNS1_3gpuE3ELNS1_3repE0EEENS1_30default_config_static_selectorELNS0_4arch9wavefront6targetE0EEEvS14_.numbered_sgpr, 0
	.set _ZN7rocprim17ROCPRIM_400000_NS6detail17trampoline_kernelINS0_14default_configENS1_22reduce_config_selectorIN6thrust23THRUST_200600_302600_NS5tupleIblNS6_9null_typeES8_S8_S8_S8_S8_S8_S8_EEEEZNS1_11reduce_implILb1ES3_NS6_12zip_iteratorINS7_INS6_11hip_rocprim26transform_input_iterator_tIbNSD_35transform_pair_of_input_iterators_tIbNS6_6detail15normal_iteratorINS6_10device_ptrIKjEEEESL_NS6_8equal_toIjEEEENSG_9not_fun_tINSD_8identityEEEEENSD_19counting_iterator_tIlEES8_S8_S8_S8_S8_S8_S8_S8_EEEEPS9_S9_NSD_9__find_if7functorIS9_EEEE10hipError_tPvRmT1_T2_T3_mT4_P12ihipStream_tbEUlT_E1_NS1_11comp_targetILNS1_3genE9ELNS1_11target_archE1100ELNS1_3gpuE3ELNS1_3repE0EEENS1_30default_config_static_selectorELNS0_4arch9wavefront6targetE0EEEvS14_.num_named_barrier, 0
	.set _ZN7rocprim17ROCPRIM_400000_NS6detail17trampoline_kernelINS0_14default_configENS1_22reduce_config_selectorIN6thrust23THRUST_200600_302600_NS5tupleIblNS6_9null_typeES8_S8_S8_S8_S8_S8_S8_EEEEZNS1_11reduce_implILb1ES3_NS6_12zip_iteratorINS7_INS6_11hip_rocprim26transform_input_iterator_tIbNSD_35transform_pair_of_input_iterators_tIbNS6_6detail15normal_iteratorINS6_10device_ptrIKjEEEESL_NS6_8equal_toIjEEEENSG_9not_fun_tINSD_8identityEEEEENSD_19counting_iterator_tIlEES8_S8_S8_S8_S8_S8_S8_S8_EEEEPS9_S9_NSD_9__find_if7functorIS9_EEEE10hipError_tPvRmT1_T2_T3_mT4_P12ihipStream_tbEUlT_E1_NS1_11comp_targetILNS1_3genE9ELNS1_11target_archE1100ELNS1_3gpuE3ELNS1_3repE0EEENS1_30default_config_static_selectorELNS0_4arch9wavefront6targetE0EEEvS14_.private_seg_size, 0
	.set _ZN7rocprim17ROCPRIM_400000_NS6detail17trampoline_kernelINS0_14default_configENS1_22reduce_config_selectorIN6thrust23THRUST_200600_302600_NS5tupleIblNS6_9null_typeES8_S8_S8_S8_S8_S8_S8_EEEEZNS1_11reduce_implILb1ES3_NS6_12zip_iteratorINS7_INS6_11hip_rocprim26transform_input_iterator_tIbNSD_35transform_pair_of_input_iterators_tIbNS6_6detail15normal_iteratorINS6_10device_ptrIKjEEEESL_NS6_8equal_toIjEEEENSG_9not_fun_tINSD_8identityEEEEENSD_19counting_iterator_tIlEES8_S8_S8_S8_S8_S8_S8_S8_EEEEPS9_S9_NSD_9__find_if7functorIS9_EEEE10hipError_tPvRmT1_T2_T3_mT4_P12ihipStream_tbEUlT_E1_NS1_11comp_targetILNS1_3genE9ELNS1_11target_archE1100ELNS1_3gpuE3ELNS1_3repE0EEENS1_30default_config_static_selectorELNS0_4arch9wavefront6targetE0EEEvS14_.uses_vcc, 0
	.set _ZN7rocprim17ROCPRIM_400000_NS6detail17trampoline_kernelINS0_14default_configENS1_22reduce_config_selectorIN6thrust23THRUST_200600_302600_NS5tupleIblNS6_9null_typeES8_S8_S8_S8_S8_S8_S8_EEEEZNS1_11reduce_implILb1ES3_NS6_12zip_iteratorINS7_INS6_11hip_rocprim26transform_input_iterator_tIbNSD_35transform_pair_of_input_iterators_tIbNS6_6detail15normal_iteratorINS6_10device_ptrIKjEEEESL_NS6_8equal_toIjEEEENSG_9not_fun_tINSD_8identityEEEEENSD_19counting_iterator_tIlEES8_S8_S8_S8_S8_S8_S8_S8_EEEEPS9_S9_NSD_9__find_if7functorIS9_EEEE10hipError_tPvRmT1_T2_T3_mT4_P12ihipStream_tbEUlT_E1_NS1_11comp_targetILNS1_3genE9ELNS1_11target_archE1100ELNS1_3gpuE3ELNS1_3repE0EEENS1_30default_config_static_selectorELNS0_4arch9wavefront6targetE0EEEvS14_.uses_flat_scratch, 0
	.set _ZN7rocprim17ROCPRIM_400000_NS6detail17trampoline_kernelINS0_14default_configENS1_22reduce_config_selectorIN6thrust23THRUST_200600_302600_NS5tupleIblNS6_9null_typeES8_S8_S8_S8_S8_S8_S8_EEEEZNS1_11reduce_implILb1ES3_NS6_12zip_iteratorINS7_INS6_11hip_rocprim26transform_input_iterator_tIbNSD_35transform_pair_of_input_iterators_tIbNS6_6detail15normal_iteratorINS6_10device_ptrIKjEEEESL_NS6_8equal_toIjEEEENSG_9not_fun_tINSD_8identityEEEEENSD_19counting_iterator_tIlEES8_S8_S8_S8_S8_S8_S8_S8_EEEEPS9_S9_NSD_9__find_if7functorIS9_EEEE10hipError_tPvRmT1_T2_T3_mT4_P12ihipStream_tbEUlT_E1_NS1_11comp_targetILNS1_3genE9ELNS1_11target_archE1100ELNS1_3gpuE3ELNS1_3repE0EEENS1_30default_config_static_selectorELNS0_4arch9wavefront6targetE0EEEvS14_.has_dyn_sized_stack, 0
	.set _ZN7rocprim17ROCPRIM_400000_NS6detail17trampoline_kernelINS0_14default_configENS1_22reduce_config_selectorIN6thrust23THRUST_200600_302600_NS5tupleIblNS6_9null_typeES8_S8_S8_S8_S8_S8_S8_EEEEZNS1_11reduce_implILb1ES3_NS6_12zip_iteratorINS7_INS6_11hip_rocprim26transform_input_iterator_tIbNSD_35transform_pair_of_input_iterators_tIbNS6_6detail15normal_iteratorINS6_10device_ptrIKjEEEESL_NS6_8equal_toIjEEEENSG_9not_fun_tINSD_8identityEEEEENSD_19counting_iterator_tIlEES8_S8_S8_S8_S8_S8_S8_S8_EEEEPS9_S9_NSD_9__find_if7functorIS9_EEEE10hipError_tPvRmT1_T2_T3_mT4_P12ihipStream_tbEUlT_E1_NS1_11comp_targetILNS1_3genE9ELNS1_11target_archE1100ELNS1_3gpuE3ELNS1_3repE0EEENS1_30default_config_static_selectorELNS0_4arch9wavefront6targetE0EEEvS14_.has_recursion, 0
	.set _ZN7rocprim17ROCPRIM_400000_NS6detail17trampoline_kernelINS0_14default_configENS1_22reduce_config_selectorIN6thrust23THRUST_200600_302600_NS5tupleIblNS6_9null_typeES8_S8_S8_S8_S8_S8_S8_EEEEZNS1_11reduce_implILb1ES3_NS6_12zip_iteratorINS7_INS6_11hip_rocprim26transform_input_iterator_tIbNSD_35transform_pair_of_input_iterators_tIbNS6_6detail15normal_iteratorINS6_10device_ptrIKjEEEESL_NS6_8equal_toIjEEEENSG_9not_fun_tINSD_8identityEEEEENSD_19counting_iterator_tIlEES8_S8_S8_S8_S8_S8_S8_S8_EEEEPS9_S9_NSD_9__find_if7functorIS9_EEEE10hipError_tPvRmT1_T2_T3_mT4_P12ihipStream_tbEUlT_E1_NS1_11comp_targetILNS1_3genE9ELNS1_11target_archE1100ELNS1_3gpuE3ELNS1_3repE0EEENS1_30default_config_static_selectorELNS0_4arch9wavefront6targetE0EEEvS14_.has_indirect_call, 0
	.section	.AMDGPU.csdata,"",@progbits
; Kernel info:
; codeLenInByte = 0
; TotalNumSgprs: 0
; NumVgprs: 0
; ScratchSize: 0
; MemoryBound: 0
; FloatMode: 240
; IeeeMode: 1
; LDSByteSize: 0 bytes/workgroup (compile time only)
; SGPRBlocks: 0
; VGPRBlocks: 0
; NumSGPRsForWavesPerEU: 1
; NumVGPRsForWavesPerEU: 1
; NamedBarCnt: 0
; Occupancy: 16
; WaveLimiterHint : 0
; COMPUTE_PGM_RSRC2:SCRATCH_EN: 0
; COMPUTE_PGM_RSRC2:USER_SGPR: 2
; COMPUTE_PGM_RSRC2:TRAP_HANDLER: 0
; COMPUTE_PGM_RSRC2:TGID_X_EN: 1
; COMPUTE_PGM_RSRC2:TGID_Y_EN: 0
; COMPUTE_PGM_RSRC2:TGID_Z_EN: 0
; COMPUTE_PGM_RSRC2:TIDIG_COMP_CNT: 0
	.section	.text._ZN7rocprim17ROCPRIM_400000_NS6detail17trampoline_kernelINS0_14default_configENS1_22reduce_config_selectorIN6thrust23THRUST_200600_302600_NS5tupleIblNS6_9null_typeES8_S8_S8_S8_S8_S8_S8_EEEEZNS1_11reduce_implILb1ES3_NS6_12zip_iteratorINS7_INS6_11hip_rocprim26transform_input_iterator_tIbNSD_35transform_pair_of_input_iterators_tIbNS6_6detail15normal_iteratorINS6_10device_ptrIKjEEEESL_NS6_8equal_toIjEEEENSG_9not_fun_tINSD_8identityEEEEENSD_19counting_iterator_tIlEES8_S8_S8_S8_S8_S8_S8_S8_EEEEPS9_S9_NSD_9__find_if7functorIS9_EEEE10hipError_tPvRmT1_T2_T3_mT4_P12ihipStream_tbEUlT_E1_NS1_11comp_targetILNS1_3genE8ELNS1_11target_archE1030ELNS1_3gpuE2ELNS1_3repE0EEENS1_30default_config_static_selectorELNS0_4arch9wavefront6targetE0EEEvS14_,"axG",@progbits,_ZN7rocprim17ROCPRIM_400000_NS6detail17trampoline_kernelINS0_14default_configENS1_22reduce_config_selectorIN6thrust23THRUST_200600_302600_NS5tupleIblNS6_9null_typeES8_S8_S8_S8_S8_S8_S8_EEEEZNS1_11reduce_implILb1ES3_NS6_12zip_iteratorINS7_INS6_11hip_rocprim26transform_input_iterator_tIbNSD_35transform_pair_of_input_iterators_tIbNS6_6detail15normal_iteratorINS6_10device_ptrIKjEEEESL_NS6_8equal_toIjEEEENSG_9not_fun_tINSD_8identityEEEEENSD_19counting_iterator_tIlEES8_S8_S8_S8_S8_S8_S8_S8_EEEEPS9_S9_NSD_9__find_if7functorIS9_EEEE10hipError_tPvRmT1_T2_T3_mT4_P12ihipStream_tbEUlT_E1_NS1_11comp_targetILNS1_3genE8ELNS1_11target_archE1030ELNS1_3gpuE2ELNS1_3repE0EEENS1_30default_config_static_selectorELNS0_4arch9wavefront6targetE0EEEvS14_,comdat
	.protected	_ZN7rocprim17ROCPRIM_400000_NS6detail17trampoline_kernelINS0_14default_configENS1_22reduce_config_selectorIN6thrust23THRUST_200600_302600_NS5tupleIblNS6_9null_typeES8_S8_S8_S8_S8_S8_S8_EEEEZNS1_11reduce_implILb1ES3_NS6_12zip_iteratorINS7_INS6_11hip_rocprim26transform_input_iterator_tIbNSD_35transform_pair_of_input_iterators_tIbNS6_6detail15normal_iteratorINS6_10device_ptrIKjEEEESL_NS6_8equal_toIjEEEENSG_9not_fun_tINSD_8identityEEEEENSD_19counting_iterator_tIlEES8_S8_S8_S8_S8_S8_S8_S8_EEEEPS9_S9_NSD_9__find_if7functorIS9_EEEE10hipError_tPvRmT1_T2_T3_mT4_P12ihipStream_tbEUlT_E1_NS1_11comp_targetILNS1_3genE8ELNS1_11target_archE1030ELNS1_3gpuE2ELNS1_3repE0EEENS1_30default_config_static_selectorELNS0_4arch9wavefront6targetE0EEEvS14_ ; -- Begin function _ZN7rocprim17ROCPRIM_400000_NS6detail17trampoline_kernelINS0_14default_configENS1_22reduce_config_selectorIN6thrust23THRUST_200600_302600_NS5tupleIblNS6_9null_typeES8_S8_S8_S8_S8_S8_S8_EEEEZNS1_11reduce_implILb1ES3_NS6_12zip_iteratorINS7_INS6_11hip_rocprim26transform_input_iterator_tIbNSD_35transform_pair_of_input_iterators_tIbNS6_6detail15normal_iteratorINS6_10device_ptrIKjEEEESL_NS6_8equal_toIjEEEENSG_9not_fun_tINSD_8identityEEEEENSD_19counting_iterator_tIlEES8_S8_S8_S8_S8_S8_S8_S8_EEEEPS9_S9_NSD_9__find_if7functorIS9_EEEE10hipError_tPvRmT1_T2_T3_mT4_P12ihipStream_tbEUlT_E1_NS1_11comp_targetILNS1_3genE8ELNS1_11target_archE1030ELNS1_3gpuE2ELNS1_3repE0EEENS1_30default_config_static_selectorELNS0_4arch9wavefront6targetE0EEEvS14_
	.globl	_ZN7rocprim17ROCPRIM_400000_NS6detail17trampoline_kernelINS0_14default_configENS1_22reduce_config_selectorIN6thrust23THRUST_200600_302600_NS5tupleIblNS6_9null_typeES8_S8_S8_S8_S8_S8_S8_EEEEZNS1_11reduce_implILb1ES3_NS6_12zip_iteratorINS7_INS6_11hip_rocprim26transform_input_iterator_tIbNSD_35transform_pair_of_input_iterators_tIbNS6_6detail15normal_iteratorINS6_10device_ptrIKjEEEESL_NS6_8equal_toIjEEEENSG_9not_fun_tINSD_8identityEEEEENSD_19counting_iterator_tIlEES8_S8_S8_S8_S8_S8_S8_S8_EEEEPS9_S9_NSD_9__find_if7functorIS9_EEEE10hipError_tPvRmT1_T2_T3_mT4_P12ihipStream_tbEUlT_E1_NS1_11comp_targetILNS1_3genE8ELNS1_11target_archE1030ELNS1_3gpuE2ELNS1_3repE0EEENS1_30default_config_static_selectorELNS0_4arch9wavefront6targetE0EEEvS14_
	.p2align	8
	.type	_ZN7rocprim17ROCPRIM_400000_NS6detail17trampoline_kernelINS0_14default_configENS1_22reduce_config_selectorIN6thrust23THRUST_200600_302600_NS5tupleIblNS6_9null_typeES8_S8_S8_S8_S8_S8_S8_EEEEZNS1_11reduce_implILb1ES3_NS6_12zip_iteratorINS7_INS6_11hip_rocprim26transform_input_iterator_tIbNSD_35transform_pair_of_input_iterators_tIbNS6_6detail15normal_iteratorINS6_10device_ptrIKjEEEESL_NS6_8equal_toIjEEEENSG_9not_fun_tINSD_8identityEEEEENSD_19counting_iterator_tIlEES8_S8_S8_S8_S8_S8_S8_S8_EEEEPS9_S9_NSD_9__find_if7functorIS9_EEEE10hipError_tPvRmT1_T2_T3_mT4_P12ihipStream_tbEUlT_E1_NS1_11comp_targetILNS1_3genE8ELNS1_11target_archE1030ELNS1_3gpuE2ELNS1_3repE0EEENS1_30default_config_static_selectorELNS0_4arch9wavefront6targetE0EEEvS14_,@function
_ZN7rocprim17ROCPRIM_400000_NS6detail17trampoline_kernelINS0_14default_configENS1_22reduce_config_selectorIN6thrust23THRUST_200600_302600_NS5tupleIblNS6_9null_typeES8_S8_S8_S8_S8_S8_S8_EEEEZNS1_11reduce_implILb1ES3_NS6_12zip_iteratorINS7_INS6_11hip_rocprim26transform_input_iterator_tIbNSD_35transform_pair_of_input_iterators_tIbNS6_6detail15normal_iteratorINS6_10device_ptrIKjEEEESL_NS6_8equal_toIjEEEENSG_9not_fun_tINSD_8identityEEEEENSD_19counting_iterator_tIlEES8_S8_S8_S8_S8_S8_S8_S8_EEEEPS9_S9_NSD_9__find_if7functorIS9_EEEE10hipError_tPvRmT1_T2_T3_mT4_P12ihipStream_tbEUlT_E1_NS1_11comp_targetILNS1_3genE8ELNS1_11target_archE1030ELNS1_3gpuE2ELNS1_3repE0EEENS1_30default_config_static_selectorELNS0_4arch9wavefront6targetE0EEEvS14_: ; @_ZN7rocprim17ROCPRIM_400000_NS6detail17trampoline_kernelINS0_14default_configENS1_22reduce_config_selectorIN6thrust23THRUST_200600_302600_NS5tupleIblNS6_9null_typeES8_S8_S8_S8_S8_S8_S8_EEEEZNS1_11reduce_implILb1ES3_NS6_12zip_iteratorINS7_INS6_11hip_rocprim26transform_input_iterator_tIbNSD_35transform_pair_of_input_iterators_tIbNS6_6detail15normal_iteratorINS6_10device_ptrIKjEEEESL_NS6_8equal_toIjEEEENSG_9not_fun_tINSD_8identityEEEEENSD_19counting_iterator_tIlEES8_S8_S8_S8_S8_S8_S8_S8_EEEEPS9_S9_NSD_9__find_if7functorIS9_EEEE10hipError_tPvRmT1_T2_T3_mT4_P12ihipStream_tbEUlT_E1_NS1_11comp_targetILNS1_3genE8ELNS1_11target_archE1030ELNS1_3gpuE2ELNS1_3repE0EEENS1_30default_config_static_selectorELNS0_4arch9wavefront6targetE0EEEvS14_
; %bb.0:
	.section	.rodata,"a",@progbits
	.p2align	6, 0x0
	.amdhsa_kernel _ZN7rocprim17ROCPRIM_400000_NS6detail17trampoline_kernelINS0_14default_configENS1_22reduce_config_selectorIN6thrust23THRUST_200600_302600_NS5tupleIblNS6_9null_typeES8_S8_S8_S8_S8_S8_S8_EEEEZNS1_11reduce_implILb1ES3_NS6_12zip_iteratorINS7_INS6_11hip_rocprim26transform_input_iterator_tIbNSD_35transform_pair_of_input_iterators_tIbNS6_6detail15normal_iteratorINS6_10device_ptrIKjEEEESL_NS6_8equal_toIjEEEENSG_9not_fun_tINSD_8identityEEEEENSD_19counting_iterator_tIlEES8_S8_S8_S8_S8_S8_S8_S8_EEEEPS9_S9_NSD_9__find_if7functorIS9_EEEE10hipError_tPvRmT1_T2_T3_mT4_P12ihipStream_tbEUlT_E1_NS1_11comp_targetILNS1_3genE8ELNS1_11target_archE1030ELNS1_3gpuE2ELNS1_3repE0EEENS1_30default_config_static_selectorELNS0_4arch9wavefront6targetE0EEEvS14_
		.amdhsa_group_segment_fixed_size 0
		.amdhsa_private_segment_fixed_size 0
		.amdhsa_kernarg_size 88
		.amdhsa_user_sgpr_count 2
		.amdhsa_user_sgpr_dispatch_ptr 0
		.amdhsa_user_sgpr_queue_ptr 0
		.amdhsa_user_sgpr_kernarg_segment_ptr 1
		.amdhsa_user_sgpr_dispatch_id 0
		.amdhsa_user_sgpr_kernarg_preload_length 0
		.amdhsa_user_sgpr_kernarg_preload_offset 0
		.amdhsa_user_sgpr_private_segment_size 0
		.amdhsa_wavefront_size32 1
		.amdhsa_uses_dynamic_stack 0
		.amdhsa_enable_private_segment 0
		.amdhsa_system_sgpr_workgroup_id_x 1
		.amdhsa_system_sgpr_workgroup_id_y 0
		.amdhsa_system_sgpr_workgroup_id_z 0
		.amdhsa_system_sgpr_workgroup_info 0
		.amdhsa_system_vgpr_workitem_id 0
		.amdhsa_next_free_vgpr 1
		.amdhsa_next_free_sgpr 1
		.amdhsa_named_barrier_count 0
		.amdhsa_reserve_vcc 0
		.amdhsa_float_round_mode_32 0
		.amdhsa_float_round_mode_16_64 0
		.amdhsa_float_denorm_mode_32 3
		.amdhsa_float_denorm_mode_16_64 3
		.amdhsa_fp16_overflow 0
		.amdhsa_memory_ordered 1
		.amdhsa_forward_progress 1
		.amdhsa_inst_pref_size 0
		.amdhsa_round_robin_scheduling 0
		.amdhsa_exception_fp_ieee_invalid_op 0
		.amdhsa_exception_fp_denorm_src 0
		.amdhsa_exception_fp_ieee_div_zero 0
		.amdhsa_exception_fp_ieee_overflow 0
		.amdhsa_exception_fp_ieee_underflow 0
		.amdhsa_exception_fp_ieee_inexact 0
		.amdhsa_exception_int_div_zero 0
	.end_amdhsa_kernel
	.section	.text._ZN7rocprim17ROCPRIM_400000_NS6detail17trampoline_kernelINS0_14default_configENS1_22reduce_config_selectorIN6thrust23THRUST_200600_302600_NS5tupleIblNS6_9null_typeES8_S8_S8_S8_S8_S8_S8_EEEEZNS1_11reduce_implILb1ES3_NS6_12zip_iteratorINS7_INS6_11hip_rocprim26transform_input_iterator_tIbNSD_35transform_pair_of_input_iterators_tIbNS6_6detail15normal_iteratorINS6_10device_ptrIKjEEEESL_NS6_8equal_toIjEEEENSG_9not_fun_tINSD_8identityEEEEENSD_19counting_iterator_tIlEES8_S8_S8_S8_S8_S8_S8_S8_EEEEPS9_S9_NSD_9__find_if7functorIS9_EEEE10hipError_tPvRmT1_T2_T3_mT4_P12ihipStream_tbEUlT_E1_NS1_11comp_targetILNS1_3genE8ELNS1_11target_archE1030ELNS1_3gpuE2ELNS1_3repE0EEENS1_30default_config_static_selectorELNS0_4arch9wavefront6targetE0EEEvS14_,"axG",@progbits,_ZN7rocprim17ROCPRIM_400000_NS6detail17trampoline_kernelINS0_14default_configENS1_22reduce_config_selectorIN6thrust23THRUST_200600_302600_NS5tupleIblNS6_9null_typeES8_S8_S8_S8_S8_S8_S8_EEEEZNS1_11reduce_implILb1ES3_NS6_12zip_iteratorINS7_INS6_11hip_rocprim26transform_input_iterator_tIbNSD_35transform_pair_of_input_iterators_tIbNS6_6detail15normal_iteratorINS6_10device_ptrIKjEEEESL_NS6_8equal_toIjEEEENSG_9not_fun_tINSD_8identityEEEEENSD_19counting_iterator_tIlEES8_S8_S8_S8_S8_S8_S8_S8_EEEEPS9_S9_NSD_9__find_if7functorIS9_EEEE10hipError_tPvRmT1_T2_T3_mT4_P12ihipStream_tbEUlT_E1_NS1_11comp_targetILNS1_3genE8ELNS1_11target_archE1030ELNS1_3gpuE2ELNS1_3repE0EEENS1_30default_config_static_selectorELNS0_4arch9wavefront6targetE0EEEvS14_,comdat
.Lfunc_end168:
	.size	_ZN7rocprim17ROCPRIM_400000_NS6detail17trampoline_kernelINS0_14default_configENS1_22reduce_config_selectorIN6thrust23THRUST_200600_302600_NS5tupleIblNS6_9null_typeES8_S8_S8_S8_S8_S8_S8_EEEEZNS1_11reduce_implILb1ES3_NS6_12zip_iteratorINS7_INS6_11hip_rocprim26transform_input_iterator_tIbNSD_35transform_pair_of_input_iterators_tIbNS6_6detail15normal_iteratorINS6_10device_ptrIKjEEEESL_NS6_8equal_toIjEEEENSG_9not_fun_tINSD_8identityEEEEENSD_19counting_iterator_tIlEES8_S8_S8_S8_S8_S8_S8_S8_EEEEPS9_S9_NSD_9__find_if7functorIS9_EEEE10hipError_tPvRmT1_T2_T3_mT4_P12ihipStream_tbEUlT_E1_NS1_11comp_targetILNS1_3genE8ELNS1_11target_archE1030ELNS1_3gpuE2ELNS1_3repE0EEENS1_30default_config_static_selectorELNS0_4arch9wavefront6targetE0EEEvS14_, .Lfunc_end168-_ZN7rocprim17ROCPRIM_400000_NS6detail17trampoline_kernelINS0_14default_configENS1_22reduce_config_selectorIN6thrust23THRUST_200600_302600_NS5tupleIblNS6_9null_typeES8_S8_S8_S8_S8_S8_S8_EEEEZNS1_11reduce_implILb1ES3_NS6_12zip_iteratorINS7_INS6_11hip_rocprim26transform_input_iterator_tIbNSD_35transform_pair_of_input_iterators_tIbNS6_6detail15normal_iteratorINS6_10device_ptrIKjEEEESL_NS6_8equal_toIjEEEENSG_9not_fun_tINSD_8identityEEEEENSD_19counting_iterator_tIlEES8_S8_S8_S8_S8_S8_S8_S8_EEEEPS9_S9_NSD_9__find_if7functorIS9_EEEE10hipError_tPvRmT1_T2_T3_mT4_P12ihipStream_tbEUlT_E1_NS1_11comp_targetILNS1_3genE8ELNS1_11target_archE1030ELNS1_3gpuE2ELNS1_3repE0EEENS1_30default_config_static_selectorELNS0_4arch9wavefront6targetE0EEEvS14_
                                        ; -- End function
	.set _ZN7rocprim17ROCPRIM_400000_NS6detail17trampoline_kernelINS0_14default_configENS1_22reduce_config_selectorIN6thrust23THRUST_200600_302600_NS5tupleIblNS6_9null_typeES8_S8_S8_S8_S8_S8_S8_EEEEZNS1_11reduce_implILb1ES3_NS6_12zip_iteratorINS7_INS6_11hip_rocprim26transform_input_iterator_tIbNSD_35transform_pair_of_input_iterators_tIbNS6_6detail15normal_iteratorINS6_10device_ptrIKjEEEESL_NS6_8equal_toIjEEEENSG_9not_fun_tINSD_8identityEEEEENSD_19counting_iterator_tIlEES8_S8_S8_S8_S8_S8_S8_S8_EEEEPS9_S9_NSD_9__find_if7functorIS9_EEEE10hipError_tPvRmT1_T2_T3_mT4_P12ihipStream_tbEUlT_E1_NS1_11comp_targetILNS1_3genE8ELNS1_11target_archE1030ELNS1_3gpuE2ELNS1_3repE0EEENS1_30default_config_static_selectorELNS0_4arch9wavefront6targetE0EEEvS14_.num_vgpr, 0
	.set _ZN7rocprim17ROCPRIM_400000_NS6detail17trampoline_kernelINS0_14default_configENS1_22reduce_config_selectorIN6thrust23THRUST_200600_302600_NS5tupleIblNS6_9null_typeES8_S8_S8_S8_S8_S8_S8_EEEEZNS1_11reduce_implILb1ES3_NS6_12zip_iteratorINS7_INS6_11hip_rocprim26transform_input_iterator_tIbNSD_35transform_pair_of_input_iterators_tIbNS6_6detail15normal_iteratorINS6_10device_ptrIKjEEEESL_NS6_8equal_toIjEEEENSG_9not_fun_tINSD_8identityEEEEENSD_19counting_iterator_tIlEES8_S8_S8_S8_S8_S8_S8_S8_EEEEPS9_S9_NSD_9__find_if7functorIS9_EEEE10hipError_tPvRmT1_T2_T3_mT4_P12ihipStream_tbEUlT_E1_NS1_11comp_targetILNS1_3genE8ELNS1_11target_archE1030ELNS1_3gpuE2ELNS1_3repE0EEENS1_30default_config_static_selectorELNS0_4arch9wavefront6targetE0EEEvS14_.num_agpr, 0
	.set _ZN7rocprim17ROCPRIM_400000_NS6detail17trampoline_kernelINS0_14default_configENS1_22reduce_config_selectorIN6thrust23THRUST_200600_302600_NS5tupleIblNS6_9null_typeES8_S8_S8_S8_S8_S8_S8_EEEEZNS1_11reduce_implILb1ES3_NS6_12zip_iteratorINS7_INS6_11hip_rocprim26transform_input_iterator_tIbNSD_35transform_pair_of_input_iterators_tIbNS6_6detail15normal_iteratorINS6_10device_ptrIKjEEEESL_NS6_8equal_toIjEEEENSG_9not_fun_tINSD_8identityEEEEENSD_19counting_iterator_tIlEES8_S8_S8_S8_S8_S8_S8_S8_EEEEPS9_S9_NSD_9__find_if7functorIS9_EEEE10hipError_tPvRmT1_T2_T3_mT4_P12ihipStream_tbEUlT_E1_NS1_11comp_targetILNS1_3genE8ELNS1_11target_archE1030ELNS1_3gpuE2ELNS1_3repE0EEENS1_30default_config_static_selectorELNS0_4arch9wavefront6targetE0EEEvS14_.numbered_sgpr, 0
	.set _ZN7rocprim17ROCPRIM_400000_NS6detail17trampoline_kernelINS0_14default_configENS1_22reduce_config_selectorIN6thrust23THRUST_200600_302600_NS5tupleIblNS6_9null_typeES8_S8_S8_S8_S8_S8_S8_EEEEZNS1_11reduce_implILb1ES3_NS6_12zip_iteratorINS7_INS6_11hip_rocprim26transform_input_iterator_tIbNSD_35transform_pair_of_input_iterators_tIbNS6_6detail15normal_iteratorINS6_10device_ptrIKjEEEESL_NS6_8equal_toIjEEEENSG_9not_fun_tINSD_8identityEEEEENSD_19counting_iterator_tIlEES8_S8_S8_S8_S8_S8_S8_S8_EEEEPS9_S9_NSD_9__find_if7functorIS9_EEEE10hipError_tPvRmT1_T2_T3_mT4_P12ihipStream_tbEUlT_E1_NS1_11comp_targetILNS1_3genE8ELNS1_11target_archE1030ELNS1_3gpuE2ELNS1_3repE0EEENS1_30default_config_static_selectorELNS0_4arch9wavefront6targetE0EEEvS14_.num_named_barrier, 0
	.set _ZN7rocprim17ROCPRIM_400000_NS6detail17trampoline_kernelINS0_14default_configENS1_22reduce_config_selectorIN6thrust23THRUST_200600_302600_NS5tupleIblNS6_9null_typeES8_S8_S8_S8_S8_S8_S8_EEEEZNS1_11reduce_implILb1ES3_NS6_12zip_iteratorINS7_INS6_11hip_rocprim26transform_input_iterator_tIbNSD_35transform_pair_of_input_iterators_tIbNS6_6detail15normal_iteratorINS6_10device_ptrIKjEEEESL_NS6_8equal_toIjEEEENSG_9not_fun_tINSD_8identityEEEEENSD_19counting_iterator_tIlEES8_S8_S8_S8_S8_S8_S8_S8_EEEEPS9_S9_NSD_9__find_if7functorIS9_EEEE10hipError_tPvRmT1_T2_T3_mT4_P12ihipStream_tbEUlT_E1_NS1_11comp_targetILNS1_3genE8ELNS1_11target_archE1030ELNS1_3gpuE2ELNS1_3repE0EEENS1_30default_config_static_selectorELNS0_4arch9wavefront6targetE0EEEvS14_.private_seg_size, 0
	.set _ZN7rocprim17ROCPRIM_400000_NS6detail17trampoline_kernelINS0_14default_configENS1_22reduce_config_selectorIN6thrust23THRUST_200600_302600_NS5tupleIblNS6_9null_typeES8_S8_S8_S8_S8_S8_S8_EEEEZNS1_11reduce_implILb1ES3_NS6_12zip_iteratorINS7_INS6_11hip_rocprim26transform_input_iterator_tIbNSD_35transform_pair_of_input_iterators_tIbNS6_6detail15normal_iteratorINS6_10device_ptrIKjEEEESL_NS6_8equal_toIjEEEENSG_9not_fun_tINSD_8identityEEEEENSD_19counting_iterator_tIlEES8_S8_S8_S8_S8_S8_S8_S8_EEEEPS9_S9_NSD_9__find_if7functorIS9_EEEE10hipError_tPvRmT1_T2_T3_mT4_P12ihipStream_tbEUlT_E1_NS1_11comp_targetILNS1_3genE8ELNS1_11target_archE1030ELNS1_3gpuE2ELNS1_3repE0EEENS1_30default_config_static_selectorELNS0_4arch9wavefront6targetE0EEEvS14_.uses_vcc, 0
	.set _ZN7rocprim17ROCPRIM_400000_NS6detail17trampoline_kernelINS0_14default_configENS1_22reduce_config_selectorIN6thrust23THRUST_200600_302600_NS5tupleIblNS6_9null_typeES8_S8_S8_S8_S8_S8_S8_EEEEZNS1_11reduce_implILb1ES3_NS6_12zip_iteratorINS7_INS6_11hip_rocprim26transform_input_iterator_tIbNSD_35transform_pair_of_input_iterators_tIbNS6_6detail15normal_iteratorINS6_10device_ptrIKjEEEESL_NS6_8equal_toIjEEEENSG_9not_fun_tINSD_8identityEEEEENSD_19counting_iterator_tIlEES8_S8_S8_S8_S8_S8_S8_S8_EEEEPS9_S9_NSD_9__find_if7functorIS9_EEEE10hipError_tPvRmT1_T2_T3_mT4_P12ihipStream_tbEUlT_E1_NS1_11comp_targetILNS1_3genE8ELNS1_11target_archE1030ELNS1_3gpuE2ELNS1_3repE0EEENS1_30default_config_static_selectorELNS0_4arch9wavefront6targetE0EEEvS14_.uses_flat_scratch, 0
	.set _ZN7rocprim17ROCPRIM_400000_NS6detail17trampoline_kernelINS0_14default_configENS1_22reduce_config_selectorIN6thrust23THRUST_200600_302600_NS5tupleIblNS6_9null_typeES8_S8_S8_S8_S8_S8_S8_EEEEZNS1_11reduce_implILb1ES3_NS6_12zip_iteratorINS7_INS6_11hip_rocprim26transform_input_iterator_tIbNSD_35transform_pair_of_input_iterators_tIbNS6_6detail15normal_iteratorINS6_10device_ptrIKjEEEESL_NS6_8equal_toIjEEEENSG_9not_fun_tINSD_8identityEEEEENSD_19counting_iterator_tIlEES8_S8_S8_S8_S8_S8_S8_S8_EEEEPS9_S9_NSD_9__find_if7functorIS9_EEEE10hipError_tPvRmT1_T2_T3_mT4_P12ihipStream_tbEUlT_E1_NS1_11comp_targetILNS1_3genE8ELNS1_11target_archE1030ELNS1_3gpuE2ELNS1_3repE0EEENS1_30default_config_static_selectorELNS0_4arch9wavefront6targetE0EEEvS14_.has_dyn_sized_stack, 0
	.set _ZN7rocprim17ROCPRIM_400000_NS6detail17trampoline_kernelINS0_14default_configENS1_22reduce_config_selectorIN6thrust23THRUST_200600_302600_NS5tupleIblNS6_9null_typeES8_S8_S8_S8_S8_S8_S8_EEEEZNS1_11reduce_implILb1ES3_NS6_12zip_iteratorINS7_INS6_11hip_rocprim26transform_input_iterator_tIbNSD_35transform_pair_of_input_iterators_tIbNS6_6detail15normal_iteratorINS6_10device_ptrIKjEEEESL_NS6_8equal_toIjEEEENSG_9not_fun_tINSD_8identityEEEEENSD_19counting_iterator_tIlEES8_S8_S8_S8_S8_S8_S8_S8_EEEEPS9_S9_NSD_9__find_if7functorIS9_EEEE10hipError_tPvRmT1_T2_T3_mT4_P12ihipStream_tbEUlT_E1_NS1_11comp_targetILNS1_3genE8ELNS1_11target_archE1030ELNS1_3gpuE2ELNS1_3repE0EEENS1_30default_config_static_selectorELNS0_4arch9wavefront6targetE0EEEvS14_.has_recursion, 0
	.set _ZN7rocprim17ROCPRIM_400000_NS6detail17trampoline_kernelINS0_14default_configENS1_22reduce_config_selectorIN6thrust23THRUST_200600_302600_NS5tupleIblNS6_9null_typeES8_S8_S8_S8_S8_S8_S8_EEEEZNS1_11reduce_implILb1ES3_NS6_12zip_iteratorINS7_INS6_11hip_rocprim26transform_input_iterator_tIbNSD_35transform_pair_of_input_iterators_tIbNS6_6detail15normal_iteratorINS6_10device_ptrIKjEEEESL_NS6_8equal_toIjEEEENSG_9not_fun_tINSD_8identityEEEEENSD_19counting_iterator_tIlEES8_S8_S8_S8_S8_S8_S8_S8_EEEEPS9_S9_NSD_9__find_if7functorIS9_EEEE10hipError_tPvRmT1_T2_T3_mT4_P12ihipStream_tbEUlT_E1_NS1_11comp_targetILNS1_3genE8ELNS1_11target_archE1030ELNS1_3gpuE2ELNS1_3repE0EEENS1_30default_config_static_selectorELNS0_4arch9wavefront6targetE0EEEvS14_.has_indirect_call, 0
	.section	.AMDGPU.csdata,"",@progbits
; Kernel info:
; codeLenInByte = 0
; TotalNumSgprs: 0
; NumVgprs: 0
; ScratchSize: 0
; MemoryBound: 0
; FloatMode: 240
; IeeeMode: 1
; LDSByteSize: 0 bytes/workgroup (compile time only)
; SGPRBlocks: 0
; VGPRBlocks: 0
; NumSGPRsForWavesPerEU: 1
; NumVGPRsForWavesPerEU: 1
; NamedBarCnt: 0
; Occupancy: 16
; WaveLimiterHint : 0
; COMPUTE_PGM_RSRC2:SCRATCH_EN: 0
; COMPUTE_PGM_RSRC2:USER_SGPR: 2
; COMPUTE_PGM_RSRC2:TRAP_HANDLER: 0
; COMPUTE_PGM_RSRC2:TGID_X_EN: 1
; COMPUTE_PGM_RSRC2:TGID_Y_EN: 0
; COMPUTE_PGM_RSRC2:TGID_Z_EN: 0
; COMPUTE_PGM_RSRC2:TIDIG_COMP_CNT: 0
	.section	.text._ZN6thrust23THRUST_200600_302600_NS11hip_rocprim14__parallel_for6kernelILj256ENS1_20__uninitialized_fill7functorINS0_10device_ptrItEEtEEmLj1EEEvT0_T1_SA_,"axG",@progbits,_ZN6thrust23THRUST_200600_302600_NS11hip_rocprim14__parallel_for6kernelILj256ENS1_20__uninitialized_fill7functorINS0_10device_ptrItEEtEEmLj1EEEvT0_T1_SA_,comdat
	.protected	_ZN6thrust23THRUST_200600_302600_NS11hip_rocprim14__parallel_for6kernelILj256ENS1_20__uninitialized_fill7functorINS0_10device_ptrItEEtEEmLj1EEEvT0_T1_SA_ ; -- Begin function _ZN6thrust23THRUST_200600_302600_NS11hip_rocprim14__parallel_for6kernelILj256ENS1_20__uninitialized_fill7functorINS0_10device_ptrItEEtEEmLj1EEEvT0_T1_SA_
	.globl	_ZN6thrust23THRUST_200600_302600_NS11hip_rocprim14__parallel_for6kernelILj256ENS1_20__uninitialized_fill7functorINS0_10device_ptrItEEtEEmLj1EEEvT0_T1_SA_
	.p2align	8
	.type	_ZN6thrust23THRUST_200600_302600_NS11hip_rocprim14__parallel_for6kernelILj256ENS1_20__uninitialized_fill7functorINS0_10device_ptrItEEtEEmLj1EEEvT0_T1_SA_,@function
_ZN6thrust23THRUST_200600_302600_NS11hip_rocprim14__parallel_for6kernelILj256ENS1_20__uninitialized_fill7functorINS0_10device_ptrItEEtEEmLj1EEEvT0_T1_SA_: ; @_ZN6thrust23THRUST_200600_302600_NS11hip_rocprim14__parallel_for6kernelILj256ENS1_20__uninitialized_fill7functorINS0_10device_ptrItEEtEEmLj1EEEvT0_T1_SA_
; %bb.0:
	s_load_b128 s[8:11], s[0:1], 0x10
	s_bfe_u32 s2, ttmp6, 0x4000c
	s_and_b32 s3, ttmp6, 15
	s_add_co_i32 s2, s2, 1
	s_getreg_b32 s4, hwreg(HW_REG_IB_STS2, 6, 4)
	s_mul_i32 s2, ttmp9, s2
	s_delay_alu instid0(SALU_CYCLE_1)
	s_add_co_i32 s3, s3, s2
	s_cmp_eq_u32 s4, 0
	s_load_b96 s[4:6], s[0:1], 0x0
	s_wait_xcnt 0x0
	s_cselect_b32 s0, ttmp9, s3
	s_mov_b32 s1, 0
	s_lshl_b32 s0, s0, 8
	s_wait_kmcnt 0x0
	s_add_nc_u64 s[0:1], s[10:11], s[0:1]
	s_delay_alu instid0(SALU_CYCLE_1) | instskip(NEXT) | instid1(SALU_CYCLE_1)
	s_sub_nc_u64 s[2:3], s[8:9], s[0:1]
	v_cmp_lt_u64_e64 s3, 0xff, s[2:3]
	s_and_b32 vcc_lo, exec_lo, s3
	s_mov_b32 s3, -1
	s_cbranch_vccz .LBB169_3
; %bb.1:
	s_and_not1_b32 vcc_lo, exec_lo, s3
	s_cbranch_vccz .LBB169_6
.LBB169_2:
	s_endpgm
.LBB169_3:
	v_cmp_gt_u32_e32 vcc_lo, s2, v0
	s_and_saveexec_b32 s2, vcc_lo
	s_cbranch_execz .LBB169_5
; %bb.4:
	v_mov_b32_e32 v1, s6
	s_lshl_b64 s[8:9], s[0:1], 1
	s_delay_alu instid0(SALU_CYCLE_1)
	s_add_nc_u64 s[8:9], s[4:5], s[8:9]
	flat_store_b16 v0, v1, s[8:9] scale_offset
.LBB169_5:
	s_wait_xcnt 0x0
	s_or_b32 exec_lo, exec_lo, s2
	s_cbranch_execnz .LBB169_2
.LBB169_6:
	v_mov_b32_e32 v1, s6
	s_lshl_b64 s[0:1], s[0:1], 1
	s_delay_alu instid0(SALU_CYCLE_1)
	s_add_nc_u64 s[0:1], s[4:5], s[0:1]
	flat_store_b16 v0, v1, s[0:1] scale_offset
	s_endpgm
	.section	.rodata,"a",@progbits
	.p2align	6, 0x0
	.amdhsa_kernel _ZN6thrust23THRUST_200600_302600_NS11hip_rocprim14__parallel_for6kernelILj256ENS1_20__uninitialized_fill7functorINS0_10device_ptrItEEtEEmLj1EEEvT0_T1_SA_
		.amdhsa_group_segment_fixed_size 0
		.amdhsa_private_segment_fixed_size 0
		.amdhsa_kernarg_size 32
		.amdhsa_user_sgpr_count 2
		.amdhsa_user_sgpr_dispatch_ptr 0
		.amdhsa_user_sgpr_queue_ptr 0
		.amdhsa_user_sgpr_kernarg_segment_ptr 1
		.amdhsa_user_sgpr_dispatch_id 0
		.amdhsa_user_sgpr_kernarg_preload_length 0
		.amdhsa_user_sgpr_kernarg_preload_offset 0
		.amdhsa_user_sgpr_private_segment_size 0
		.amdhsa_wavefront_size32 1
		.amdhsa_uses_dynamic_stack 0
		.amdhsa_enable_private_segment 0
		.amdhsa_system_sgpr_workgroup_id_x 1
		.amdhsa_system_sgpr_workgroup_id_y 0
		.amdhsa_system_sgpr_workgroup_id_z 0
		.amdhsa_system_sgpr_workgroup_info 0
		.amdhsa_system_vgpr_workitem_id 0
		.amdhsa_next_free_vgpr 2
		.amdhsa_next_free_sgpr 12
		.amdhsa_named_barrier_count 0
		.amdhsa_reserve_vcc 1
		.amdhsa_float_round_mode_32 0
		.amdhsa_float_round_mode_16_64 0
		.amdhsa_float_denorm_mode_32 3
		.amdhsa_float_denorm_mode_16_64 3
		.amdhsa_fp16_overflow 0
		.amdhsa_memory_ordered 1
		.amdhsa_forward_progress 1
		.amdhsa_inst_pref_size 2
		.amdhsa_round_robin_scheduling 0
		.amdhsa_exception_fp_ieee_invalid_op 0
		.amdhsa_exception_fp_denorm_src 0
		.amdhsa_exception_fp_ieee_div_zero 0
		.amdhsa_exception_fp_ieee_overflow 0
		.amdhsa_exception_fp_ieee_underflow 0
		.amdhsa_exception_fp_ieee_inexact 0
		.amdhsa_exception_int_div_zero 0
	.end_amdhsa_kernel
	.section	.text._ZN6thrust23THRUST_200600_302600_NS11hip_rocprim14__parallel_for6kernelILj256ENS1_20__uninitialized_fill7functorINS0_10device_ptrItEEtEEmLj1EEEvT0_T1_SA_,"axG",@progbits,_ZN6thrust23THRUST_200600_302600_NS11hip_rocprim14__parallel_for6kernelILj256ENS1_20__uninitialized_fill7functorINS0_10device_ptrItEEtEEmLj1EEEvT0_T1_SA_,comdat
.Lfunc_end169:
	.size	_ZN6thrust23THRUST_200600_302600_NS11hip_rocprim14__parallel_for6kernelILj256ENS1_20__uninitialized_fill7functorINS0_10device_ptrItEEtEEmLj1EEEvT0_T1_SA_, .Lfunc_end169-_ZN6thrust23THRUST_200600_302600_NS11hip_rocprim14__parallel_for6kernelILj256ENS1_20__uninitialized_fill7functorINS0_10device_ptrItEEtEEmLj1EEEvT0_T1_SA_
                                        ; -- End function
	.set _ZN6thrust23THRUST_200600_302600_NS11hip_rocprim14__parallel_for6kernelILj256ENS1_20__uninitialized_fill7functorINS0_10device_ptrItEEtEEmLj1EEEvT0_T1_SA_.num_vgpr, 2
	.set _ZN6thrust23THRUST_200600_302600_NS11hip_rocprim14__parallel_for6kernelILj256ENS1_20__uninitialized_fill7functorINS0_10device_ptrItEEtEEmLj1EEEvT0_T1_SA_.num_agpr, 0
	.set _ZN6thrust23THRUST_200600_302600_NS11hip_rocprim14__parallel_for6kernelILj256ENS1_20__uninitialized_fill7functorINS0_10device_ptrItEEtEEmLj1EEEvT0_T1_SA_.numbered_sgpr, 12
	.set _ZN6thrust23THRUST_200600_302600_NS11hip_rocprim14__parallel_for6kernelILj256ENS1_20__uninitialized_fill7functorINS0_10device_ptrItEEtEEmLj1EEEvT0_T1_SA_.num_named_barrier, 0
	.set _ZN6thrust23THRUST_200600_302600_NS11hip_rocprim14__parallel_for6kernelILj256ENS1_20__uninitialized_fill7functorINS0_10device_ptrItEEtEEmLj1EEEvT0_T1_SA_.private_seg_size, 0
	.set _ZN6thrust23THRUST_200600_302600_NS11hip_rocprim14__parallel_for6kernelILj256ENS1_20__uninitialized_fill7functorINS0_10device_ptrItEEtEEmLj1EEEvT0_T1_SA_.uses_vcc, 1
	.set _ZN6thrust23THRUST_200600_302600_NS11hip_rocprim14__parallel_for6kernelILj256ENS1_20__uninitialized_fill7functorINS0_10device_ptrItEEtEEmLj1EEEvT0_T1_SA_.uses_flat_scratch, 0
	.set _ZN6thrust23THRUST_200600_302600_NS11hip_rocprim14__parallel_for6kernelILj256ENS1_20__uninitialized_fill7functorINS0_10device_ptrItEEtEEmLj1EEEvT0_T1_SA_.has_dyn_sized_stack, 0
	.set _ZN6thrust23THRUST_200600_302600_NS11hip_rocprim14__parallel_for6kernelILj256ENS1_20__uninitialized_fill7functorINS0_10device_ptrItEEtEEmLj1EEEvT0_T1_SA_.has_recursion, 0
	.set _ZN6thrust23THRUST_200600_302600_NS11hip_rocprim14__parallel_for6kernelILj256ENS1_20__uninitialized_fill7functorINS0_10device_ptrItEEtEEmLj1EEEvT0_T1_SA_.has_indirect_call, 0
	.section	.AMDGPU.csdata,"",@progbits
; Kernel info:
; codeLenInByte = 204
; TotalNumSgprs: 14
; NumVgprs: 2
; ScratchSize: 0
; MemoryBound: 0
; FloatMode: 240
; IeeeMode: 1
; LDSByteSize: 0 bytes/workgroup (compile time only)
; SGPRBlocks: 0
; VGPRBlocks: 0
; NumSGPRsForWavesPerEU: 14
; NumVGPRsForWavesPerEU: 2
; NamedBarCnt: 0
; Occupancy: 16
; WaveLimiterHint : 0
; COMPUTE_PGM_RSRC2:SCRATCH_EN: 0
; COMPUTE_PGM_RSRC2:USER_SGPR: 2
; COMPUTE_PGM_RSRC2:TRAP_HANDLER: 0
; COMPUTE_PGM_RSRC2:TGID_X_EN: 1
; COMPUTE_PGM_RSRC2:TGID_Y_EN: 0
; COMPUTE_PGM_RSRC2:TGID_Z_EN: 0
; COMPUTE_PGM_RSRC2:TIDIG_COMP_CNT: 0
	.section	.text._ZN7rocprim17ROCPRIM_400000_NS6detail17trampoline_kernelINS0_14default_configENS1_21merge_config_selectorINS0_5tupleIJttEEENS0_10empty_typeEEEZNS1_10merge_implIS3_NS0_12zip_iteratorINS5_IJN6thrust23THRUST_200600_302600_NS6detail15normal_iteratorINSC_10device_ptrIKtEEEESI_EEEEESK_NSA_INS5_IJNSE_INSF_ItEEEESM_EEEEEPS7_SP_SP_NSC_11hip_rocprim7__merge17predicate_wrapperIttNSC_4lessItEEEEEE10hipError_tPvRmT0_T1_T2_T3_T4_T5_mmT6_P12ihipStream_tbEUlT_E_NS1_11comp_targetILNS1_3genE0ELNS1_11target_archE4294967295ELNS1_3gpuE0ELNS1_3repE0EEENS1_30default_config_static_selectorELNS0_4arch9wavefront6targetE0EEEvS10_,"axG",@progbits,_ZN7rocprim17ROCPRIM_400000_NS6detail17trampoline_kernelINS0_14default_configENS1_21merge_config_selectorINS0_5tupleIJttEEENS0_10empty_typeEEEZNS1_10merge_implIS3_NS0_12zip_iteratorINS5_IJN6thrust23THRUST_200600_302600_NS6detail15normal_iteratorINSC_10device_ptrIKtEEEESI_EEEEESK_NSA_INS5_IJNSE_INSF_ItEEEESM_EEEEEPS7_SP_SP_NSC_11hip_rocprim7__merge17predicate_wrapperIttNSC_4lessItEEEEEE10hipError_tPvRmT0_T1_T2_T3_T4_T5_mmT6_P12ihipStream_tbEUlT_E_NS1_11comp_targetILNS1_3genE0ELNS1_11target_archE4294967295ELNS1_3gpuE0ELNS1_3repE0EEENS1_30default_config_static_selectorELNS0_4arch9wavefront6targetE0EEEvS10_,comdat
	.protected	_ZN7rocprim17ROCPRIM_400000_NS6detail17trampoline_kernelINS0_14default_configENS1_21merge_config_selectorINS0_5tupleIJttEEENS0_10empty_typeEEEZNS1_10merge_implIS3_NS0_12zip_iteratorINS5_IJN6thrust23THRUST_200600_302600_NS6detail15normal_iteratorINSC_10device_ptrIKtEEEESI_EEEEESK_NSA_INS5_IJNSE_INSF_ItEEEESM_EEEEEPS7_SP_SP_NSC_11hip_rocprim7__merge17predicate_wrapperIttNSC_4lessItEEEEEE10hipError_tPvRmT0_T1_T2_T3_T4_T5_mmT6_P12ihipStream_tbEUlT_E_NS1_11comp_targetILNS1_3genE0ELNS1_11target_archE4294967295ELNS1_3gpuE0ELNS1_3repE0EEENS1_30default_config_static_selectorELNS0_4arch9wavefront6targetE0EEEvS10_ ; -- Begin function _ZN7rocprim17ROCPRIM_400000_NS6detail17trampoline_kernelINS0_14default_configENS1_21merge_config_selectorINS0_5tupleIJttEEENS0_10empty_typeEEEZNS1_10merge_implIS3_NS0_12zip_iteratorINS5_IJN6thrust23THRUST_200600_302600_NS6detail15normal_iteratorINSC_10device_ptrIKtEEEESI_EEEEESK_NSA_INS5_IJNSE_INSF_ItEEEESM_EEEEEPS7_SP_SP_NSC_11hip_rocprim7__merge17predicate_wrapperIttNSC_4lessItEEEEEE10hipError_tPvRmT0_T1_T2_T3_T4_T5_mmT6_P12ihipStream_tbEUlT_E_NS1_11comp_targetILNS1_3genE0ELNS1_11target_archE4294967295ELNS1_3gpuE0ELNS1_3repE0EEENS1_30default_config_static_selectorELNS0_4arch9wavefront6targetE0EEEvS10_
	.globl	_ZN7rocprim17ROCPRIM_400000_NS6detail17trampoline_kernelINS0_14default_configENS1_21merge_config_selectorINS0_5tupleIJttEEENS0_10empty_typeEEEZNS1_10merge_implIS3_NS0_12zip_iteratorINS5_IJN6thrust23THRUST_200600_302600_NS6detail15normal_iteratorINSC_10device_ptrIKtEEEESI_EEEEESK_NSA_INS5_IJNSE_INSF_ItEEEESM_EEEEEPS7_SP_SP_NSC_11hip_rocprim7__merge17predicate_wrapperIttNSC_4lessItEEEEEE10hipError_tPvRmT0_T1_T2_T3_T4_T5_mmT6_P12ihipStream_tbEUlT_E_NS1_11comp_targetILNS1_3genE0ELNS1_11target_archE4294967295ELNS1_3gpuE0ELNS1_3repE0EEENS1_30default_config_static_selectorELNS0_4arch9wavefront6targetE0EEEvS10_
	.p2align	8
	.type	_ZN7rocprim17ROCPRIM_400000_NS6detail17trampoline_kernelINS0_14default_configENS1_21merge_config_selectorINS0_5tupleIJttEEENS0_10empty_typeEEEZNS1_10merge_implIS3_NS0_12zip_iteratorINS5_IJN6thrust23THRUST_200600_302600_NS6detail15normal_iteratorINSC_10device_ptrIKtEEEESI_EEEEESK_NSA_INS5_IJNSE_INSF_ItEEEESM_EEEEEPS7_SP_SP_NSC_11hip_rocprim7__merge17predicate_wrapperIttNSC_4lessItEEEEEE10hipError_tPvRmT0_T1_T2_T3_T4_T5_mmT6_P12ihipStream_tbEUlT_E_NS1_11comp_targetILNS1_3genE0ELNS1_11target_archE4294967295ELNS1_3gpuE0ELNS1_3repE0EEENS1_30default_config_static_selectorELNS0_4arch9wavefront6targetE0EEEvS10_,@function
_ZN7rocprim17ROCPRIM_400000_NS6detail17trampoline_kernelINS0_14default_configENS1_21merge_config_selectorINS0_5tupleIJttEEENS0_10empty_typeEEEZNS1_10merge_implIS3_NS0_12zip_iteratorINS5_IJN6thrust23THRUST_200600_302600_NS6detail15normal_iteratorINSC_10device_ptrIKtEEEESI_EEEEESK_NSA_INS5_IJNSE_INSF_ItEEEESM_EEEEEPS7_SP_SP_NSC_11hip_rocprim7__merge17predicate_wrapperIttNSC_4lessItEEEEEE10hipError_tPvRmT0_T1_T2_T3_T4_T5_mmT6_P12ihipStream_tbEUlT_E_NS1_11comp_targetILNS1_3genE0ELNS1_11target_archE4294967295ELNS1_3gpuE0ELNS1_3repE0EEENS1_30default_config_static_selectorELNS0_4arch9wavefront6targetE0EEEvS10_: ; @_ZN7rocprim17ROCPRIM_400000_NS6detail17trampoline_kernelINS0_14default_configENS1_21merge_config_selectorINS0_5tupleIJttEEENS0_10empty_typeEEEZNS1_10merge_implIS3_NS0_12zip_iteratorINS5_IJN6thrust23THRUST_200600_302600_NS6detail15normal_iteratorINSC_10device_ptrIKtEEEESI_EEEEESK_NSA_INS5_IJNSE_INSF_ItEEEESM_EEEEEPS7_SP_SP_NSC_11hip_rocprim7__merge17predicate_wrapperIttNSC_4lessItEEEEEE10hipError_tPvRmT0_T1_T2_T3_T4_T5_mmT6_P12ihipStream_tbEUlT_E_NS1_11comp_targetILNS1_3genE0ELNS1_11target_archE4294967295ELNS1_3gpuE0ELNS1_3repE0EEENS1_30default_config_static_selectorELNS0_4arch9wavefront6targetE0EEEvS10_
; %bb.0:
	s_clause 0x2
	s_load_b32 s4, s[0:1], 0x38
	s_load_b32 s2, s[0:1], 0x4c
	s_load_b128 s[8:11], s[0:1], 0x28
	s_getreg_b32 s7, hwreg(HW_REG_IB_STS2, 6, 4)
	s_wait_kmcnt 0x0
	s_cvt_f32_u32 s3, s4
	s_and_b32 s6, s2, 0xffff
	s_and_b32 s2, ttmp6, 15
	s_delay_alu instid0(SALU_CYCLE_1) | instskip(SKIP_1) | instid1(SALU_CYCLE_1)
	v_rcp_iflag_f32_e32 v1, s3
	s_bfe_u32 s3, ttmp6, 0x4000c
	s_add_co_i32 s3, s3, 1
	s_delay_alu instid0(SALU_CYCLE_1) | instskip(NEXT) | instid1(SALU_CYCLE_1)
	s_mul_i32 s3, ttmp9, s3
	s_add_co_i32 s2, s2, s3
	v_nop
	s_delay_alu instid0(TRANS32_DEP_1)
	v_readfirstlane_b32 s5, v1
	s_cmp_eq_u32 s7, 0
	s_cselect_b32 s7, ttmp9, s2
	s_sub_co_i32 s12, 0, s4
	s_mul_f32 s5, s5, 0x4f7ffffe
	s_add_nc_u64 s[2:3], s[10:11], s[8:9]
	v_mad_u32 v6, s7, s6, v0
	s_add_co_i32 s13, s4, s2
	s_cvt_u32_f32 s5, s5
	s_add_co_i32 s13, s13, -1
	s_delay_alu instid0(SALU_CYCLE_2) | instskip(NEXT) | instid1(SALU_CYCLE_1)
	s_mul_i32 s12, s12, s5
	s_mul_hi_u32 s12, s5, s12
	s_delay_alu instid0(SALU_CYCLE_1) | instskip(NEXT) | instid1(SALU_CYCLE_1)
	s_add_co_i32 s5, s5, s12
	s_mul_hi_u32 s5, s13, s5
	s_delay_alu instid0(SALU_CYCLE_1) | instskip(SKIP_2) | instid1(SALU_CYCLE_1)
	s_mul_i32 s12, s5, s4
	s_add_co_i32 s7, s5, 1
	s_sub_co_i32 s6, s13, s12
	s_sub_co_i32 s12, s6, s4
	s_cmp_ge_u32 s6, s4
	s_cselect_b32 s5, s7, s5
	s_cselect_b32 s6, s12, s6
	s_add_co_i32 s7, s5, 1
	s_cmp_ge_u32 s6, s4
	s_cselect_b32 s5, s7, s5
	s_delay_alu instid0(SALU_CYCLE_1)
	v_cmp_ge_u32_e32 vcc_lo, s5, v6
	s_and_saveexec_b32 s5, vcc_lo
	s_cbranch_execz .LBB170_6
; %bb.1:
	v_mul_lo_u32 v0, v6, s4
	v_mov_b32_e32 v1, 0
	s_load_b128 s[4:7], s[0:1], 0x0
	s_delay_alu instid0(VALU_DEP_1) | instskip(SKIP_1) | instid1(VALU_DEP_1)
	v_min_u64 v[4:5], v[0:1], s[2:3]
	s_mov_b32 s2, exec_lo
	v_max_u64 v[0:1], v[4:5], s[10:11]
	v_min_u64 v[2:3], v[4:5], s[8:9]
	s_delay_alu instid0(VALU_DEP_2) | instskip(NEXT) | instid1(VALU_DEP_1)
	v_sub_nc_u64_e64 v[0:1], v[0:1], s[10:11]
	v_cmpx_lt_u64_e64 v[0:1], v[2:3]
	s_cbranch_execz .LBB170_5
; %bb.2:
	s_wait_xcnt 0x0
	s_load_b64 s[0:1], s[0:1], 0x18
	s_wait_kmcnt 0x0
	v_lshl_add_u64 v[4:5], v[4:5], 1, s[0:1]
	s_mov_b32 s0, 0
.LBB170_3:                              ; =>This Inner Loop Header: Depth=1
	v_add_nc_u64_e32 v[8:9], v[2:3], v[0:1]
	s_delay_alu instid0(VALU_DEP_1) | instskip(SKIP_2) | instid1(VALU_DEP_2)
	v_lshrrev_b64 v[10:11], 1, v[8:9]
	v_and_b32_e32 v8, -2, v8
	v_xor_b32_e32 v13, -1, v9
	v_xor_b32_e32 v12, -2, v8
	v_add_nc_u64_e32 v[8:9], s[6:7], v[8:9]
	s_delay_alu instid0(VALU_DEP_2)
	v_add_nc_u64_e32 v[12:13], v[4:5], v[12:13]
	global_load_u16 v7, v[8:9], off
	global_load_u16 v14, v[12:13], off
	s_wait_xcnt 0x1
	v_add_nc_u64_e32 v[8:9], 1, v[10:11]
	s_wait_loadcnt 0x0
	v_cmp_lt_u16_e32 vcc_lo, v14, v7
	v_dual_cndmask_b32 v3, v3, v11 :: v_dual_cndmask_b32 v2, v2, v10
	s_delay_alu instid0(VALU_DEP_3) | instskip(NEXT) | instid1(VALU_DEP_1)
	v_dual_cndmask_b32 v1, v9, v1 :: v_dual_cndmask_b32 v0, v8, v0
	v_cmp_ge_u64_e32 vcc_lo, v[0:1], v[2:3]
	s_or_b32 s0, vcc_lo, s0
	s_delay_alu instid0(SALU_CYCLE_1)
	s_and_not1_b32 exec_lo, exec_lo, s0
	s_cbranch_execnz .LBB170_3
; %bb.4:
	s_or_b32 exec_lo, exec_lo, s0
.LBB170_5:
	s_delay_alu instid0(SALU_CYCLE_1)
	s_or_b32 exec_lo, exec_lo, s2
	s_wait_kmcnt 0x0
	global_store_b32 v6, v0, s[4:5] scale_offset
.LBB170_6:
	s_endpgm
	.section	.rodata,"a",@progbits
	.p2align	6, 0x0
	.amdhsa_kernel _ZN7rocprim17ROCPRIM_400000_NS6detail17trampoline_kernelINS0_14default_configENS1_21merge_config_selectorINS0_5tupleIJttEEENS0_10empty_typeEEEZNS1_10merge_implIS3_NS0_12zip_iteratorINS5_IJN6thrust23THRUST_200600_302600_NS6detail15normal_iteratorINSC_10device_ptrIKtEEEESI_EEEEESK_NSA_INS5_IJNSE_INSF_ItEEEESM_EEEEEPS7_SP_SP_NSC_11hip_rocprim7__merge17predicate_wrapperIttNSC_4lessItEEEEEE10hipError_tPvRmT0_T1_T2_T3_T4_T5_mmT6_P12ihipStream_tbEUlT_E_NS1_11comp_targetILNS1_3genE0ELNS1_11target_archE4294967295ELNS1_3gpuE0ELNS1_3repE0EEENS1_30default_config_static_selectorELNS0_4arch9wavefront6targetE0EEEvS10_
		.amdhsa_group_segment_fixed_size 0
		.amdhsa_private_segment_fixed_size 0
		.amdhsa_kernarg_size 320
		.amdhsa_user_sgpr_count 2
		.amdhsa_user_sgpr_dispatch_ptr 0
		.amdhsa_user_sgpr_queue_ptr 0
		.amdhsa_user_sgpr_kernarg_segment_ptr 1
		.amdhsa_user_sgpr_dispatch_id 0
		.amdhsa_user_sgpr_kernarg_preload_length 0
		.amdhsa_user_sgpr_kernarg_preload_offset 0
		.amdhsa_user_sgpr_private_segment_size 0
		.amdhsa_wavefront_size32 1
		.amdhsa_uses_dynamic_stack 0
		.amdhsa_enable_private_segment 0
		.amdhsa_system_sgpr_workgroup_id_x 1
		.amdhsa_system_sgpr_workgroup_id_y 0
		.amdhsa_system_sgpr_workgroup_id_z 0
		.amdhsa_system_sgpr_workgroup_info 0
		.amdhsa_system_vgpr_workitem_id 0
		.amdhsa_next_free_vgpr 15
		.amdhsa_next_free_sgpr 14
		.amdhsa_named_barrier_count 0
		.amdhsa_reserve_vcc 1
		.amdhsa_float_round_mode_32 0
		.amdhsa_float_round_mode_16_64 0
		.amdhsa_float_denorm_mode_32 3
		.amdhsa_float_denorm_mode_16_64 3
		.amdhsa_fp16_overflow 0
		.amdhsa_memory_ordered 1
		.amdhsa_forward_progress 1
		.amdhsa_inst_pref_size 4
		.amdhsa_round_robin_scheduling 0
		.amdhsa_exception_fp_ieee_invalid_op 0
		.amdhsa_exception_fp_denorm_src 0
		.amdhsa_exception_fp_ieee_div_zero 0
		.amdhsa_exception_fp_ieee_overflow 0
		.amdhsa_exception_fp_ieee_underflow 0
		.amdhsa_exception_fp_ieee_inexact 0
		.amdhsa_exception_int_div_zero 0
	.end_amdhsa_kernel
	.section	.text._ZN7rocprim17ROCPRIM_400000_NS6detail17trampoline_kernelINS0_14default_configENS1_21merge_config_selectorINS0_5tupleIJttEEENS0_10empty_typeEEEZNS1_10merge_implIS3_NS0_12zip_iteratorINS5_IJN6thrust23THRUST_200600_302600_NS6detail15normal_iteratorINSC_10device_ptrIKtEEEESI_EEEEESK_NSA_INS5_IJNSE_INSF_ItEEEESM_EEEEEPS7_SP_SP_NSC_11hip_rocprim7__merge17predicate_wrapperIttNSC_4lessItEEEEEE10hipError_tPvRmT0_T1_T2_T3_T4_T5_mmT6_P12ihipStream_tbEUlT_E_NS1_11comp_targetILNS1_3genE0ELNS1_11target_archE4294967295ELNS1_3gpuE0ELNS1_3repE0EEENS1_30default_config_static_selectorELNS0_4arch9wavefront6targetE0EEEvS10_,"axG",@progbits,_ZN7rocprim17ROCPRIM_400000_NS6detail17trampoline_kernelINS0_14default_configENS1_21merge_config_selectorINS0_5tupleIJttEEENS0_10empty_typeEEEZNS1_10merge_implIS3_NS0_12zip_iteratorINS5_IJN6thrust23THRUST_200600_302600_NS6detail15normal_iteratorINSC_10device_ptrIKtEEEESI_EEEEESK_NSA_INS5_IJNSE_INSF_ItEEEESM_EEEEEPS7_SP_SP_NSC_11hip_rocprim7__merge17predicate_wrapperIttNSC_4lessItEEEEEE10hipError_tPvRmT0_T1_T2_T3_T4_T5_mmT6_P12ihipStream_tbEUlT_E_NS1_11comp_targetILNS1_3genE0ELNS1_11target_archE4294967295ELNS1_3gpuE0ELNS1_3repE0EEENS1_30default_config_static_selectorELNS0_4arch9wavefront6targetE0EEEvS10_,comdat
.Lfunc_end170:
	.size	_ZN7rocprim17ROCPRIM_400000_NS6detail17trampoline_kernelINS0_14default_configENS1_21merge_config_selectorINS0_5tupleIJttEEENS0_10empty_typeEEEZNS1_10merge_implIS3_NS0_12zip_iteratorINS5_IJN6thrust23THRUST_200600_302600_NS6detail15normal_iteratorINSC_10device_ptrIKtEEEESI_EEEEESK_NSA_INS5_IJNSE_INSF_ItEEEESM_EEEEEPS7_SP_SP_NSC_11hip_rocprim7__merge17predicate_wrapperIttNSC_4lessItEEEEEE10hipError_tPvRmT0_T1_T2_T3_T4_T5_mmT6_P12ihipStream_tbEUlT_E_NS1_11comp_targetILNS1_3genE0ELNS1_11target_archE4294967295ELNS1_3gpuE0ELNS1_3repE0EEENS1_30default_config_static_selectorELNS0_4arch9wavefront6targetE0EEEvS10_, .Lfunc_end170-_ZN7rocprim17ROCPRIM_400000_NS6detail17trampoline_kernelINS0_14default_configENS1_21merge_config_selectorINS0_5tupleIJttEEENS0_10empty_typeEEEZNS1_10merge_implIS3_NS0_12zip_iteratorINS5_IJN6thrust23THRUST_200600_302600_NS6detail15normal_iteratorINSC_10device_ptrIKtEEEESI_EEEEESK_NSA_INS5_IJNSE_INSF_ItEEEESM_EEEEEPS7_SP_SP_NSC_11hip_rocprim7__merge17predicate_wrapperIttNSC_4lessItEEEEEE10hipError_tPvRmT0_T1_T2_T3_T4_T5_mmT6_P12ihipStream_tbEUlT_E_NS1_11comp_targetILNS1_3genE0ELNS1_11target_archE4294967295ELNS1_3gpuE0ELNS1_3repE0EEENS1_30default_config_static_selectorELNS0_4arch9wavefront6targetE0EEEvS10_
                                        ; -- End function
	.set _ZN7rocprim17ROCPRIM_400000_NS6detail17trampoline_kernelINS0_14default_configENS1_21merge_config_selectorINS0_5tupleIJttEEENS0_10empty_typeEEEZNS1_10merge_implIS3_NS0_12zip_iteratorINS5_IJN6thrust23THRUST_200600_302600_NS6detail15normal_iteratorINSC_10device_ptrIKtEEEESI_EEEEESK_NSA_INS5_IJNSE_INSF_ItEEEESM_EEEEEPS7_SP_SP_NSC_11hip_rocprim7__merge17predicate_wrapperIttNSC_4lessItEEEEEE10hipError_tPvRmT0_T1_T2_T3_T4_T5_mmT6_P12ihipStream_tbEUlT_E_NS1_11comp_targetILNS1_3genE0ELNS1_11target_archE4294967295ELNS1_3gpuE0ELNS1_3repE0EEENS1_30default_config_static_selectorELNS0_4arch9wavefront6targetE0EEEvS10_.num_vgpr, 15
	.set _ZN7rocprim17ROCPRIM_400000_NS6detail17trampoline_kernelINS0_14default_configENS1_21merge_config_selectorINS0_5tupleIJttEEENS0_10empty_typeEEEZNS1_10merge_implIS3_NS0_12zip_iteratorINS5_IJN6thrust23THRUST_200600_302600_NS6detail15normal_iteratorINSC_10device_ptrIKtEEEESI_EEEEESK_NSA_INS5_IJNSE_INSF_ItEEEESM_EEEEEPS7_SP_SP_NSC_11hip_rocprim7__merge17predicate_wrapperIttNSC_4lessItEEEEEE10hipError_tPvRmT0_T1_T2_T3_T4_T5_mmT6_P12ihipStream_tbEUlT_E_NS1_11comp_targetILNS1_3genE0ELNS1_11target_archE4294967295ELNS1_3gpuE0ELNS1_3repE0EEENS1_30default_config_static_selectorELNS0_4arch9wavefront6targetE0EEEvS10_.num_agpr, 0
	.set _ZN7rocprim17ROCPRIM_400000_NS6detail17trampoline_kernelINS0_14default_configENS1_21merge_config_selectorINS0_5tupleIJttEEENS0_10empty_typeEEEZNS1_10merge_implIS3_NS0_12zip_iteratorINS5_IJN6thrust23THRUST_200600_302600_NS6detail15normal_iteratorINSC_10device_ptrIKtEEEESI_EEEEESK_NSA_INS5_IJNSE_INSF_ItEEEESM_EEEEEPS7_SP_SP_NSC_11hip_rocprim7__merge17predicate_wrapperIttNSC_4lessItEEEEEE10hipError_tPvRmT0_T1_T2_T3_T4_T5_mmT6_P12ihipStream_tbEUlT_E_NS1_11comp_targetILNS1_3genE0ELNS1_11target_archE4294967295ELNS1_3gpuE0ELNS1_3repE0EEENS1_30default_config_static_selectorELNS0_4arch9wavefront6targetE0EEEvS10_.numbered_sgpr, 14
	.set _ZN7rocprim17ROCPRIM_400000_NS6detail17trampoline_kernelINS0_14default_configENS1_21merge_config_selectorINS0_5tupleIJttEEENS0_10empty_typeEEEZNS1_10merge_implIS3_NS0_12zip_iteratorINS5_IJN6thrust23THRUST_200600_302600_NS6detail15normal_iteratorINSC_10device_ptrIKtEEEESI_EEEEESK_NSA_INS5_IJNSE_INSF_ItEEEESM_EEEEEPS7_SP_SP_NSC_11hip_rocprim7__merge17predicate_wrapperIttNSC_4lessItEEEEEE10hipError_tPvRmT0_T1_T2_T3_T4_T5_mmT6_P12ihipStream_tbEUlT_E_NS1_11comp_targetILNS1_3genE0ELNS1_11target_archE4294967295ELNS1_3gpuE0ELNS1_3repE0EEENS1_30default_config_static_selectorELNS0_4arch9wavefront6targetE0EEEvS10_.num_named_barrier, 0
	.set _ZN7rocprim17ROCPRIM_400000_NS6detail17trampoline_kernelINS0_14default_configENS1_21merge_config_selectorINS0_5tupleIJttEEENS0_10empty_typeEEEZNS1_10merge_implIS3_NS0_12zip_iteratorINS5_IJN6thrust23THRUST_200600_302600_NS6detail15normal_iteratorINSC_10device_ptrIKtEEEESI_EEEEESK_NSA_INS5_IJNSE_INSF_ItEEEESM_EEEEEPS7_SP_SP_NSC_11hip_rocprim7__merge17predicate_wrapperIttNSC_4lessItEEEEEE10hipError_tPvRmT0_T1_T2_T3_T4_T5_mmT6_P12ihipStream_tbEUlT_E_NS1_11comp_targetILNS1_3genE0ELNS1_11target_archE4294967295ELNS1_3gpuE0ELNS1_3repE0EEENS1_30default_config_static_selectorELNS0_4arch9wavefront6targetE0EEEvS10_.private_seg_size, 0
	.set _ZN7rocprim17ROCPRIM_400000_NS6detail17trampoline_kernelINS0_14default_configENS1_21merge_config_selectorINS0_5tupleIJttEEENS0_10empty_typeEEEZNS1_10merge_implIS3_NS0_12zip_iteratorINS5_IJN6thrust23THRUST_200600_302600_NS6detail15normal_iteratorINSC_10device_ptrIKtEEEESI_EEEEESK_NSA_INS5_IJNSE_INSF_ItEEEESM_EEEEEPS7_SP_SP_NSC_11hip_rocprim7__merge17predicate_wrapperIttNSC_4lessItEEEEEE10hipError_tPvRmT0_T1_T2_T3_T4_T5_mmT6_P12ihipStream_tbEUlT_E_NS1_11comp_targetILNS1_3genE0ELNS1_11target_archE4294967295ELNS1_3gpuE0ELNS1_3repE0EEENS1_30default_config_static_selectorELNS0_4arch9wavefront6targetE0EEEvS10_.uses_vcc, 1
	.set _ZN7rocprim17ROCPRIM_400000_NS6detail17trampoline_kernelINS0_14default_configENS1_21merge_config_selectorINS0_5tupleIJttEEENS0_10empty_typeEEEZNS1_10merge_implIS3_NS0_12zip_iteratorINS5_IJN6thrust23THRUST_200600_302600_NS6detail15normal_iteratorINSC_10device_ptrIKtEEEESI_EEEEESK_NSA_INS5_IJNSE_INSF_ItEEEESM_EEEEEPS7_SP_SP_NSC_11hip_rocprim7__merge17predicate_wrapperIttNSC_4lessItEEEEEE10hipError_tPvRmT0_T1_T2_T3_T4_T5_mmT6_P12ihipStream_tbEUlT_E_NS1_11comp_targetILNS1_3genE0ELNS1_11target_archE4294967295ELNS1_3gpuE0ELNS1_3repE0EEENS1_30default_config_static_selectorELNS0_4arch9wavefront6targetE0EEEvS10_.uses_flat_scratch, 0
	.set _ZN7rocprim17ROCPRIM_400000_NS6detail17trampoline_kernelINS0_14default_configENS1_21merge_config_selectorINS0_5tupleIJttEEENS0_10empty_typeEEEZNS1_10merge_implIS3_NS0_12zip_iteratorINS5_IJN6thrust23THRUST_200600_302600_NS6detail15normal_iteratorINSC_10device_ptrIKtEEEESI_EEEEESK_NSA_INS5_IJNSE_INSF_ItEEEESM_EEEEEPS7_SP_SP_NSC_11hip_rocprim7__merge17predicate_wrapperIttNSC_4lessItEEEEEE10hipError_tPvRmT0_T1_T2_T3_T4_T5_mmT6_P12ihipStream_tbEUlT_E_NS1_11comp_targetILNS1_3genE0ELNS1_11target_archE4294967295ELNS1_3gpuE0ELNS1_3repE0EEENS1_30default_config_static_selectorELNS0_4arch9wavefront6targetE0EEEvS10_.has_dyn_sized_stack, 0
	.set _ZN7rocprim17ROCPRIM_400000_NS6detail17trampoline_kernelINS0_14default_configENS1_21merge_config_selectorINS0_5tupleIJttEEENS0_10empty_typeEEEZNS1_10merge_implIS3_NS0_12zip_iteratorINS5_IJN6thrust23THRUST_200600_302600_NS6detail15normal_iteratorINSC_10device_ptrIKtEEEESI_EEEEESK_NSA_INS5_IJNSE_INSF_ItEEEESM_EEEEEPS7_SP_SP_NSC_11hip_rocprim7__merge17predicate_wrapperIttNSC_4lessItEEEEEE10hipError_tPvRmT0_T1_T2_T3_T4_T5_mmT6_P12ihipStream_tbEUlT_E_NS1_11comp_targetILNS1_3genE0ELNS1_11target_archE4294967295ELNS1_3gpuE0ELNS1_3repE0EEENS1_30default_config_static_selectorELNS0_4arch9wavefront6targetE0EEEvS10_.has_recursion, 0
	.set _ZN7rocprim17ROCPRIM_400000_NS6detail17trampoline_kernelINS0_14default_configENS1_21merge_config_selectorINS0_5tupleIJttEEENS0_10empty_typeEEEZNS1_10merge_implIS3_NS0_12zip_iteratorINS5_IJN6thrust23THRUST_200600_302600_NS6detail15normal_iteratorINSC_10device_ptrIKtEEEESI_EEEEESK_NSA_INS5_IJNSE_INSF_ItEEEESM_EEEEEPS7_SP_SP_NSC_11hip_rocprim7__merge17predicate_wrapperIttNSC_4lessItEEEEEE10hipError_tPvRmT0_T1_T2_T3_T4_T5_mmT6_P12ihipStream_tbEUlT_E_NS1_11comp_targetILNS1_3genE0ELNS1_11target_archE4294967295ELNS1_3gpuE0ELNS1_3repE0EEENS1_30default_config_static_selectorELNS0_4arch9wavefront6targetE0EEEvS10_.has_indirect_call, 0
	.section	.AMDGPU.csdata,"",@progbits
; Kernel info:
; codeLenInByte = 480
; TotalNumSgprs: 16
; NumVgprs: 15
; ScratchSize: 0
; MemoryBound: 0
; FloatMode: 240
; IeeeMode: 1
; LDSByteSize: 0 bytes/workgroup (compile time only)
; SGPRBlocks: 0
; VGPRBlocks: 0
; NumSGPRsForWavesPerEU: 16
; NumVGPRsForWavesPerEU: 15
; NamedBarCnt: 0
; Occupancy: 16
; WaveLimiterHint : 0
; COMPUTE_PGM_RSRC2:SCRATCH_EN: 0
; COMPUTE_PGM_RSRC2:USER_SGPR: 2
; COMPUTE_PGM_RSRC2:TRAP_HANDLER: 0
; COMPUTE_PGM_RSRC2:TGID_X_EN: 1
; COMPUTE_PGM_RSRC2:TGID_Y_EN: 0
; COMPUTE_PGM_RSRC2:TGID_Z_EN: 0
; COMPUTE_PGM_RSRC2:TIDIG_COMP_CNT: 0
	.section	.text._ZN7rocprim17ROCPRIM_400000_NS6detail17trampoline_kernelINS0_14default_configENS1_21merge_config_selectorINS0_5tupleIJttEEENS0_10empty_typeEEEZNS1_10merge_implIS3_NS0_12zip_iteratorINS5_IJN6thrust23THRUST_200600_302600_NS6detail15normal_iteratorINSC_10device_ptrIKtEEEESI_EEEEESK_NSA_INS5_IJNSE_INSF_ItEEEESM_EEEEEPS7_SP_SP_NSC_11hip_rocprim7__merge17predicate_wrapperIttNSC_4lessItEEEEEE10hipError_tPvRmT0_T1_T2_T3_T4_T5_mmT6_P12ihipStream_tbEUlT_E_NS1_11comp_targetILNS1_3genE5ELNS1_11target_archE942ELNS1_3gpuE9ELNS1_3repE0EEENS1_30default_config_static_selectorELNS0_4arch9wavefront6targetE0EEEvS10_,"axG",@progbits,_ZN7rocprim17ROCPRIM_400000_NS6detail17trampoline_kernelINS0_14default_configENS1_21merge_config_selectorINS0_5tupleIJttEEENS0_10empty_typeEEEZNS1_10merge_implIS3_NS0_12zip_iteratorINS5_IJN6thrust23THRUST_200600_302600_NS6detail15normal_iteratorINSC_10device_ptrIKtEEEESI_EEEEESK_NSA_INS5_IJNSE_INSF_ItEEEESM_EEEEEPS7_SP_SP_NSC_11hip_rocprim7__merge17predicate_wrapperIttNSC_4lessItEEEEEE10hipError_tPvRmT0_T1_T2_T3_T4_T5_mmT6_P12ihipStream_tbEUlT_E_NS1_11comp_targetILNS1_3genE5ELNS1_11target_archE942ELNS1_3gpuE9ELNS1_3repE0EEENS1_30default_config_static_selectorELNS0_4arch9wavefront6targetE0EEEvS10_,comdat
	.protected	_ZN7rocprim17ROCPRIM_400000_NS6detail17trampoline_kernelINS0_14default_configENS1_21merge_config_selectorINS0_5tupleIJttEEENS0_10empty_typeEEEZNS1_10merge_implIS3_NS0_12zip_iteratorINS5_IJN6thrust23THRUST_200600_302600_NS6detail15normal_iteratorINSC_10device_ptrIKtEEEESI_EEEEESK_NSA_INS5_IJNSE_INSF_ItEEEESM_EEEEEPS7_SP_SP_NSC_11hip_rocprim7__merge17predicate_wrapperIttNSC_4lessItEEEEEE10hipError_tPvRmT0_T1_T2_T3_T4_T5_mmT6_P12ihipStream_tbEUlT_E_NS1_11comp_targetILNS1_3genE5ELNS1_11target_archE942ELNS1_3gpuE9ELNS1_3repE0EEENS1_30default_config_static_selectorELNS0_4arch9wavefront6targetE0EEEvS10_ ; -- Begin function _ZN7rocprim17ROCPRIM_400000_NS6detail17trampoline_kernelINS0_14default_configENS1_21merge_config_selectorINS0_5tupleIJttEEENS0_10empty_typeEEEZNS1_10merge_implIS3_NS0_12zip_iteratorINS5_IJN6thrust23THRUST_200600_302600_NS6detail15normal_iteratorINSC_10device_ptrIKtEEEESI_EEEEESK_NSA_INS5_IJNSE_INSF_ItEEEESM_EEEEEPS7_SP_SP_NSC_11hip_rocprim7__merge17predicate_wrapperIttNSC_4lessItEEEEEE10hipError_tPvRmT0_T1_T2_T3_T4_T5_mmT6_P12ihipStream_tbEUlT_E_NS1_11comp_targetILNS1_3genE5ELNS1_11target_archE942ELNS1_3gpuE9ELNS1_3repE0EEENS1_30default_config_static_selectorELNS0_4arch9wavefront6targetE0EEEvS10_
	.globl	_ZN7rocprim17ROCPRIM_400000_NS6detail17trampoline_kernelINS0_14default_configENS1_21merge_config_selectorINS0_5tupleIJttEEENS0_10empty_typeEEEZNS1_10merge_implIS3_NS0_12zip_iteratorINS5_IJN6thrust23THRUST_200600_302600_NS6detail15normal_iteratorINSC_10device_ptrIKtEEEESI_EEEEESK_NSA_INS5_IJNSE_INSF_ItEEEESM_EEEEEPS7_SP_SP_NSC_11hip_rocprim7__merge17predicate_wrapperIttNSC_4lessItEEEEEE10hipError_tPvRmT0_T1_T2_T3_T4_T5_mmT6_P12ihipStream_tbEUlT_E_NS1_11comp_targetILNS1_3genE5ELNS1_11target_archE942ELNS1_3gpuE9ELNS1_3repE0EEENS1_30default_config_static_selectorELNS0_4arch9wavefront6targetE0EEEvS10_
	.p2align	8
	.type	_ZN7rocprim17ROCPRIM_400000_NS6detail17trampoline_kernelINS0_14default_configENS1_21merge_config_selectorINS0_5tupleIJttEEENS0_10empty_typeEEEZNS1_10merge_implIS3_NS0_12zip_iteratorINS5_IJN6thrust23THRUST_200600_302600_NS6detail15normal_iteratorINSC_10device_ptrIKtEEEESI_EEEEESK_NSA_INS5_IJNSE_INSF_ItEEEESM_EEEEEPS7_SP_SP_NSC_11hip_rocprim7__merge17predicate_wrapperIttNSC_4lessItEEEEEE10hipError_tPvRmT0_T1_T2_T3_T4_T5_mmT6_P12ihipStream_tbEUlT_E_NS1_11comp_targetILNS1_3genE5ELNS1_11target_archE942ELNS1_3gpuE9ELNS1_3repE0EEENS1_30default_config_static_selectorELNS0_4arch9wavefront6targetE0EEEvS10_,@function
_ZN7rocprim17ROCPRIM_400000_NS6detail17trampoline_kernelINS0_14default_configENS1_21merge_config_selectorINS0_5tupleIJttEEENS0_10empty_typeEEEZNS1_10merge_implIS3_NS0_12zip_iteratorINS5_IJN6thrust23THRUST_200600_302600_NS6detail15normal_iteratorINSC_10device_ptrIKtEEEESI_EEEEESK_NSA_INS5_IJNSE_INSF_ItEEEESM_EEEEEPS7_SP_SP_NSC_11hip_rocprim7__merge17predicate_wrapperIttNSC_4lessItEEEEEE10hipError_tPvRmT0_T1_T2_T3_T4_T5_mmT6_P12ihipStream_tbEUlT_E_NS1_11comp_targetILNS1_3genE5ELNS1_11target_archE942ELNS1_3gpuE9ELNS1_3repE0EEENS1_30default_config_static_selectorELNS0_4arch9wavefront6targetE0EEEvS10_: ; @_ZN7rocprim17ROCPRIM_400000_NS6detail17trampoline_kernelINS0_14default_configENS1_21merge_config_selectorINS0_5tupleIJttEEENS0_10empty_typeEEEZNS1_10merge_implIS3_NS0_12zip_iteratorINS5_IJN6thrust23THRUST_200600_302600_NS6detail15normal_iteratorINSC_10device_ptrIKtEEEESI_EEEEESK_NSA_INS5_IJNSE_INSF_ItEEEESM_EEEEEPS7_SP_SP_NSC_11hip_rocprim7__merge17predicate_wrapperIttNSC_4lessItEEEEEE10hipError_tPvRmT0_T1_T2_T3_T4_T5_mmT6_P12ihipStream_tbEUlT_E_NS1_11comp_targetILNS1_3genE5ELNS1_11target_archE942ELNS1_3gpuE9ELNS1_3repE0EEENS1_30default_config_static_selectorELNS0_4arch9wavefront6targetE0EEEvS10_
; %bb.0:
	.section	.rodata,"a",@progbits
	.p2align	6, 0x0
	.amdhsa_kernel _ZN7rocprim17ROCPRIM_400000_NS6detail17trampoline_kernelINS0_14default_configENS1_21merge_config_selectorINS0_5tupleIJttEEENS0_10empty_typeEEEZNS1_10merge_implIS3_NS0_12zip_iteratorINS5_IJN6thrust23THRUST_200600_302600_NS6detail15normal_iteratorINSC_10device_ptrIKtEEEESI_EEEEESK_NSA_INS5_IJNSE_INSF_ItEEEESM_EEEEEPS7_SP_SP_NSC_11hip_rocprim7__merge17predicate_wrapperIttNSC_4lessItEEEEEE10hipError_tPvRmT0_T1_T2_T3_T4_T5_mmT6_P12ihipStream_tbEUlT_E_NS1_11comp_targetILNS1_3genE5ELNS1_11target_archE942ELNS1_3gpuE9ELNS1_3repE0EEENS1_30default_config_static_selectorELNS0_4arch9wavefront6targetE0EEEvS10_
		.amdhsa_group_segment_fixed_size 0
		.amdhsa_private_segment_fixed_size 0
		.amdhsa_kernarg_size 64
		.amdhsa_user_sgpr_count 2
		.amdhsa_user_sgpr_dispatch_ptr 0
		.amdhsa_user_sgpr_queue_ptr 0
		.amdhsa_user_sgpr_kernarg_segment_ptr 1
		.amdhsa_user_sgpr_dispatch_id 0
		.amdhsa_user_sgpr_kernarg_preload_length 0
		.amdhsa_user_sgpr_kernarg_preload_offset 0
		.amdhsa_user_sgpr_private_segment_size 0
		.amdhsa_wavefront_size32 1
		.amdhsa_uses_dynamic_stack 0
		.amdhsa_enable_private_segment 0
		.amdhsa_system_sgpr_workgroup_id_x 1
		.amdhsa_system_sgpr_workgroup_id_y 0
		.amdhsa_system_sgpr_workgroup_id_z 0
		.amdhsa_system_sgpr_workgroup_info 0
		.amdhsa_system_vgpr_workitem_id 0
		.amdhsa_next_free_vgpr 1
		.amdhsa_next_free_sgpr 1
		.amdhsa_named_barrier_count 0
		.amdhsa_reserve_vcc 0
		.amdhsa_float_round_mode_32 0
		.amdhsa_float_round_mode_16_64 0
		.amdhsa_float_denorm_mode_32 3
		.amdhsa_float_denorm_mode_16_64 3
		.amdhsa_fp16_overflow 0
		.amdhsa_memory_ordered 1
		.amdhsa_forward_progress 1
		.amdhsa_inst_pref_size 0
		.amdhsa_round_robin_scheduling 0
		.amdhsa_exception_fp_ieee_invalid_op 0
		.amdhsa_exception_fp_denorm_src 0
		.amdhsa_exception_fp_ieee_div_zero 0
		.amdhsa_exception_fp_ieee_overflow 0
		.amdhsa_exception_fp_ieee_underflow 0
		.amdhsa_exception_fp_ieee_inexact 0
		.amdhsa_exception_int_div_zero 0
	.end_amdhsa_kernel
	.section	.text._ZN7rocprim17ROCPRIM_400000_NS6detail17trampoline_kernelINS0_14default_configENS1_21merge_config_selectorINS0_5tupleIJttEEENS0_10empty_typeEEEZNS1_10merge_implIS3_NS0_12zip_iteratorINS5_IJN6thrust23THRUST_200600_302600_NS6detail15normal_iteratorINSC_10device_ptrIKtEEEESI_EEEEESK_NSA_INS5_IJNSE_INSF_ItEEEESM_EEEEEPS7_SP_SP_NSC_11hip_rocprim7__merge17predicate_wrapperIttNSC_4lessItEEEEEE10hipError_tPvRmT0_T1_T2_T3_T4_T5_mmT6_P12ihipStream_tbEUlT_E_NS1_11comp_targetILNS1_3genE5ELNS1_11target_archE942ELNS1_3gpuE9ELNS1_3repE0EEENS1_30default_config_static_selectorELNS0_4arch9wavefront6targetE0EEEvS10_,"axG",@progbits,_ZN7rocprim17ROCPRIM_400000_NS6detail17trampoline_kernelINS0_14default_configENS1_21merge_config_selectorINS0_5tupleIJttEEENS0_10empty_typeEEEZNS1_10merge_implIS3_NS0_12zip_iteratorINS5_IJN6thrust23THRUST_200600_302600_NS6detail15normal_iteratorINSC_10device_ptrIKtEEEESI_EEEEESK_NSA_INS5_IJNSE_INSF_ItEEEESM_EEEEEPS7_SP_SP_NSC_11hip_rocprim7__merge17predicate_wrapperIttNSC_4lessItEEEEEE10hipError_tPvRmT0_T1_T2_T3_T4_T5_mmT6_P12ihipStream_tbEUlT_E_NS1_11comp_targetILNS1_3genE5ELNS1_11target_archE942ELNS1_3gpuE9ELNS1_3repE0EEENS1_30default_config_static_selectorELNS0_4arch9wavefront6targetE0EEEvS10_,comdat
.Lfunc_end171:
	.size	_ZN7rocprim17ROCPRIM_400000_NS6detail17trampoline_kernelINS0_14default_configENS1_21merge_config_selectorINS0_5tupleIJttEEENS0_10empty_typeEEEZNS1_10merge_implIS3_NS0_12zip_iteratorINS5_IJN6thrust23THRUST_200600_302600_NS6detail15normal_iteratorINSC_10device_ptrIKtEEEESI_EEEEESK_NSA_INS5_IJNSE_INSF_ItEEEESM_EEEEEPS7_SP_SP_NSC_11hip_rocprim7__merge17predicate_wrapperIttNSC_4lessItEEEEEE10hipError_tPvRmT0_T1_T2_T3_T4_T5_mmT6_P12ihipStream_tbEUlT_E_NS1_11comp_targetILNS1_3genE5ELNS1_11target_archE942ELNS1_3gpuE9ELNS1_3repE0EEENS1_30default_config_static_selectorELNS0_4arch9wavefront6targetE0EEEvS10_, .Lfunc_end171-_ZN7rocprim17ROCPRIM_400000_NS6detail17trampoline_kernelINS0_14default_configENS1_21merge_config_selectorINS0_5tupleIJttEEENS0_10empty_typeEEEZNS1_10merge_implIS3_NS0_12zip_iteratorINS5_IJN6thrust23THRUST_200600_302600_NS6detail15normal_iteratorINSC_10device_ptrIKtEEEESI_EEEEESK_NSA_INS5_IJNSE_INSF_ItEEEESM_EEEEEPS7_SP_SP_NSC_11hip_rocprim7__merge17predicate_wrapperIttNSC_4lessItEEEEEE10hipError_tPvRmT0_T1_T2_T3_T4_T5_mmT6_P12ihipStream_tbEUlT_E_NS1_11comp_targetILNS1_3genE5ELNS1_11target_archE942ELNS1_3gpuE9ELNS1_3repE0EEENS1_30default_config_static_selectorELNS0_4arch9wavefront6targetE0EEEvS10_
                                        ; -- End function
	.set _ZN7rocprim17ROCPRIM_400000_NS6detail17trampoline_kernelINS0_14default_configENS1_21merge_config_selectorINS0_5tupleIJttEEENS0_10empty_typeEEEZNS1_10merge_implIS3_NS0_12zip_iteratorINS5_IJN6thrust23THRUST_200600_302600_NS6detail15normal_iteratorINSC_10device_ptrIKtEEEESI_EEEEESK_NSA_INS5_IJNSE_INSF_ItEEEESM_EEEEEPS7_SP_SP_NSC_11hip_rocprim7__merge17predicate_wrapperIttNSC_4lessItEEEEEE10hipError_tPvRmT0_T1_T2_T3_T4_T5_mmT6_P12ihipStream_tbEUlT_E_NS1_11comp_targetILNS1_3genE5ELNS1_11target_archE942ELNS1_3gpuE9ELNS1_3repE0EEENS1_30default_config_static_selectorELNS0_4arch9wavefront6targetE0EEEvS10_.num_vgpr, 0
	.set _ZN7rocprim17ROCPRIM_400000_NS6detail17trampoline_kernelINS0_14default_configENS1_21merge_config_selectorINS0_5tupleIJttEEENS0_10empty_typeEEEZNS1_10merge_implIS3_NS0_12zip_iteratorINS5_IJN6thrust23THRUST_200600_302600_NS6detail15normal_iteratorINSC_10device_ptrIKtEEEESI_EEEEESK_NSA_INS5_IJNSE_INSF_ItEEEESM_EEEEEPS7_SP_SP_NSC_11hip_rocprim7__merge17predicate_wrapperIttNSC_4lessItEEEEEE10hipError_tPvRmT0_T1_T2_T3_T4_T5_mmT6_P12ihipStream_tbEUlT_E_NS1_11comp_targetILNS1_3genE5ELNS1_11target_archE942ELNS1_3gpuE9ELNS1_3repE0EEENS1_30default_config_static_selectorELNS0_4arch9wavefront6targetE0EEEvS10_.num_agpr, 0
	.set _ZN7rocprim17ROCPRIM_400000_NS6detail17trampoline_kernelINS0_14default_configENS1_21merge_config_selectorINS0_5tupleIJttEEENS0_10empty_typeEEEZNS1_10merge_implIS3_NS0_12zip_iteratorINS5_IJN6thrust23THRUST_200600_302600_NS6detail15normal_iteratorINSC_10device_ptrIKtEEEESI_EEEEESK_NSA_INS5_IJNSE_INSF_ItEEEESM_EEEEEPS7_SP_SP_NSC_11hip_rocprim7__merge17predicate_wrapperIttNSC_4lessItEEEEEE10hipError_tPvRmT0_T1_T2_T3_T4_T5_mmT6_P12ihipStream_tbEUlT_E_NS1_11comp_targetILNS1_3genE5ELNS1_11target_archE942ELNS1_3gpuE9ELNS1_3repE0EEENS1_30default_config_static_selectorELNS0_4arch9wavefront6targetE0EEEvS10_.numbered_sgpr, 0
	.set _ZN7rocprim17ROCPRIM_400000_NS6detail17trampoline_kernelINS0_14default_configENS1_21merge_config_selectorINS0_5tupleIJttEEENS0_10empty_typeEEEZNS1_10merge_implIS3_NS0_12zip_iteratorINS5_IJN6thrust23THRUST_200600_302600_NS6detail15normal_iteratorINSC_10device_ptrIKtEEEESI_EEEEESK_NSA_INS5_IJNSE_INSF_ItEEEESM_EEEEEPS7_SP_SP_NSC_11hip_rocprim7__merge17predicate_wrapperIttNSC_4lessItEEEEEE10hipError_tPvRmT0_T1_T2_T3_T4_T5_mmT6_P12ihipStream_tbEUlT_E_NS1_11comp_targetILNS1_3genE5ELNS1_11target_archE942ELNS1_3gpuE9ELNS1_3repE0EEENS1_30default_config_static_selectorELNS0_4arch9wavefront6targetE0EEEvS10_.num_named_barrier, 0
	.set _ZN7rocprim17ROCPRIM_400000_NS6detail17trampoline_kernelINS0_14default_configENS1_21merge_config_selectorINS0_5tupleIJttEEENS0_10empty_typeEEEZNS1_10merge_implIS3_NS0_12zip_iteratorINS5_IJN6thrust23THRUST_200600_302600_NS6detail15normal_iteratorINSC_10device_ptrIKtEEEESI_EEEEESK_NSA_INS5_IJNSE_INSF_ItEEEESM_EEEEEPS7_SP_SP_NSC_11hip_rocprim7__merge17predicate_wrapperIttNSC_4lessItEEEEEE10hipError_tPvRmT0_T1_T2_T3_T4_T5_mmT6_P12ihipStream_tbEUlT_E_NS1_11comp_targetILNS1_3genE5ELNS1_11target_archE942ELNS1_3gpuE9ELNS1_3repE0EEENS1_30default_config_static_selectorELNS0_4arch9wavefront6targetE0EEEvS10_.private_seg_size, 0
	.set _ZN7rocprim17ROCPRIM_400000_NS6detail17trampoline_kernelINS0_14default_configENS1_21merge_config_selectorINS0_5tupleIJttEEENS0_10empty_typeEEEZNS1_10merge_implIS3_NS0_12zip_iteratorINS5_IJN6thrust23THRUST_200600_302600_NS6detail15normal_iteratorINSC_10device_ptrIKtEEEESI_EEEEESK_NSA_INS5_IJNSE_INSF_ItEEEESM_EEEEEPS7_SP_SP_NSC_11hip_rocprim7__merge17predicate_wrapperIttNSC_4lessItEEEEEE10hipError_tPvRmT0_T1_T2_T3_T4_T5_mmT6_P12ihipStream_tbEUlT_E_NS1_11comp_targetILNS1_3genE5ELNS1_11target_archE942ELNS1_3gpuE9ELNS1_3repE0EEENS1_30default_config_static_selectorELNS0_4arch9wavefront6targetE0EEEvS10_.uses_vcc, 0
	.set _ZN7rocprim17ROCPRIM_400000_NS6detail17trampoline_kernelINS0_14default_configENS1_21merge_config_selectorINS0_5tupleIJttEEENS0_10empty_typeEEEZNS1_10merge_implIS3_NS0_12zip_iteratorINS5_IJN6thrust23THRUST_200600_302600_NS6detail15normal_iteratorINSC_10device_ptrIKtEEEESI_EEEEESK_NSA_INS5_IJNSE_INSF_ItEEEESM_EEEEEPS7_SP_SP_NSC_11hip_rocprim7__merge17predicate_wrapperIttNSC_4lessItEEEEEE10hipError_tPvRmT0_T1_T2_T3_T4_T5_mmT6_P12ihipStream_tbEUlT_E_NS1_11comp_targetILNS1_3genE5ELNS1_11target_archE942ELNS1_3gpuE9ELNS1_3repE0EEENS1_30default_config_static_selectorELNS0_4arch9wavefront6targetE0EEEvS10_.uses_flat_scratch, 0
	.set _ZN7rocprim17ROCPRIM_400000_NS6detail17trampoline_kernelINS0_14default_configENS1_21merge_config_selectorINS0_5tupleIJttEEENS0_10empty_typeEEEZNS1_10merge_implIS3_NS0_12zip_iteratorINS5_IJN6thrust23THRUST_200600_302600_NS6detail15normal_iteratorINSC_10device_ptrIKtEEEESI_EEEEESK_NSA_INS5_IJNSE_INSF_ItEEEESM_EEEEEPS7_SP_SP_NSC_11hip_rocprim7__merge17predicate_wrapperIttNSC_4lessItEEEEEE10hipError_tPvRmT0_T1_T2_T3_T4_T5_mmT6_P12ihipStream_tbEUlT_E_NS1_11comp_targetILNS1_3genE5ELNS1_11target_archE942ELNS1_3gpuE9ELNS1_3repE0EEENS1_30default_config_static_selectorELNS0_4arch9wavefront6targetE0EEEvS10_.has_dyn_sized_stack, 0
	.set _ZN7rocprim17ROCPRIM_400000_NS6detail17trampoline_kernelINS0_14default_configENS1_21merge_config_selectorINS0_5tupleIJttEEENS0_10empty_typeEEEZNS1_10merge_implIS3_NS0_12zip_iteratorINS5_IJN6thrust23THRUST_200600_302600_NS6detail15normal_iteratorINSC_10device_ptrIKtEEEESI_EEEEESK_NSA_INS5_IJNSE_INSF_ItEEEESM_EEEEEPS7_SP_SP_NSC_11hip_rocprim7__merge17predicate_wrapperIttNSC_4lessItEEEEEE10hipError_tPvRmT0_T1_T2_T3_T4_T5_mmT6_P12ihipStream_tbEUlT_E_NS1_11comp_targetILNS1_3genE5ELNS1_11target_archE942ELNS1_3gpuE9ELNS1_3repE0EEENS1_30default_config_static_selectorELNS0_4arch9wavefront6targetE0EEEvS10_.has_recursion, 0
	.set _ZN7rocprim17ROCPRIM_400000_NS6detail17trampoline_kernelINS0_14default_configENS1_21merge_config_selectorINS0_5tupleIJttEEENS0_10empty_typeEEEZNS1_10merge_implIS3_NS0_12zip_iteratorINS5_IJN6thrust23THRUST_200600_302600_NS6detail15normal_iteratorINSC_10device_ptrIKtEEEESI_EEEEESK_NSA_INS5_IJNSE_INSF_ItEEEESM_EEEEEPS7_SP_SP_NSC_11hip_rocprim7__merge17predicate_wrapperIttNSC_4lessItEEEEEE10hipError_tPvRmT0_T1_T2_T3_T4_T5_mmT6_P12ihipStream_tbEUlT_E_NS1_11comp_targetILNS1_3genE5ELNS1_11target_archE942ELNS1_3gpuE9ELNS1_3repE0EEENS1_30default_config_static_selectorELNS0_4arch9wavefront6targetE0EEEvS10_.has_indirect_call, 0
	.section	.AMDGPU.csdata,"",@progbits
; Kernel info:
; codeLenInByte = 0
; TotalNumSgprs: 0
; NumVgprs: 0
; ScratchSize: 0
; MemoryBound: 0
; FloatMode: 240
; IeeeMode: 1
; LDSByteSize: 0 bytes/workgroup (compile time only)
; SGPRBlocks: 0
; VGPRBlocks: 0
; NumSGPRsForWavesPerEU: 1
; NumVGPRsForWavesPerEU: 1
; NamedBarCnt: 0
; Occupancy: 16
; WaveLimiterHint : 0
; COMPUTE_PGM_RSRC2:SCRATCH_EN: 0
; COMPUTE_PGM_RSRC2:USER_SGPR: 2
; COMPUTE_PGM_RSRC2:TRAP_HANDLER: 0
; COMPUTE_PGM_RSRC2:TGID_X_EN: 1
; COMPUTE_PGM_RSRC2:TGID_Y_EN: 0
; COMPUTE_PGM_RSRC2:TGID_Z_EN: 0
; COMPUTE_PGM_RSRC2:TIDIG_COMP_CNT: 0
	.section	.text._ZN7rocprim17ROCPRIM_400000_NS6detail17trampoline_kernelINS0_14default_configENS1_21merge_config_selectorINS0_5tupleIJttEEENS0_10empty_typeEEEZNS1_10merge_implIS3_NS0_12zip_iteratorINS5_IJN6thrust23THRUST_200600_302600_NS6detail15normal_iteratorINSC_10device_ptrIKtEEEESI_EEEEESK_NSA_INS5_IJNSE_INSF_ItEEEESM_EEEEEPS7_SP_SP_NSC_11hip_rocprim7__merge17predicate_wrapperIttNSC_4lessItEEEEEE10hipError_tPvRmT0_T1_T2_T3_T4_T5_mmT6_P12ihipStream_tbEUlT_E_NS1_11comp_targetILNS1_3genE4ELNS1_11target_archE910ELNS1_3gpuE8ELNS1_3repE0EEENS1_30default_config_static_selectorELNS0_4arch9wavefront6targetE0EEEvS10_,"axG",@progbits,_ZN7rocprim17ROCPRIM_400000_NS6detail17trampoline_kernelINS0_14default_configENS1_21merge_config_selectorINS0_5tupleIJttEEENS0_10empty_typeEEEZNS1_10merge_implIS3_NS0_12zip_iteratorINS5_IJN6thrust23THRUST_200600_302600_NS6detail15normal_iteratorINSC_10device_ptrIKtEEEESI_EEEEESK_NSA_INS5_IJNSE_INSF_ItEEEESM_EEEEEPS7_SP_SP_NSC_11hip_rocprim7__merge17predicate_wrapperIttNSC_4lessItEEEEEE10hipError_tPvRmT0_T1_T2_T3_T4_T5_mmT6_P12ihipStream_tbEUlT_E_NS1_11comp_targetILNS1_3genE4ELNS1_11target_archE910ELNS1_3gpuE8ELNS1_3repE0EEENS1_30default_config_static_selectorELNS0_4arch9wavefront6targetE0EEEvS10_,comdat
	.protected	_ZN7rocprim17ROCPRIM_400000_NS6detail17trampoline_kernelINS0_14default_configENS1_21merge_config_selectorINS0_5tupleIJttEEENS0_10empty_typeEEEZNS1_10merge_implIS3_NS0_12zip_iteratorINS5_IJN6thrust23THRUST_200600_302600_NS6detail15normal_iteratorINSC_10device_ptrIKtEEEESI_EEEEESK_NSA_INS5_IJNSE_INSF_ItEEEESM_EEEEEPS7_SP_SP_NSC_11hip_rocprim7__merge17predicate_wrapperIttNSC_4lessItEEEEEE10hipError_tPvRmT0_T1_T2_T3_T4_T5_mmT6_P12ihipStream_tbEUlT_E_NS1_11comp_targetILNS1_3genE4ELNS1_11target_archE910ELNS1_3gpuE8ELNS1_3repE0EEENS1_30default_config_static_selectorELNS0_4arch9wavefront6targetE0EEEvS10_ ; -- Begin function _ZN7rocprim17ROCPRIM_400000_NS6detail17trampoline_kernelINS0_14default_configENS1_21merge_config_selectorINS0_5tupleIJttEEENS0_10empty_typeEEEZNS1_10merge_implIS3_NS0_12zip_iteratorINS5_IJN6thrust23THRUST_200600_302600_NS6detail15normal_iteratorINSC_10device_ptrIKtEEEESI_EEEEESK_NSA_INS5_IJNSE_INSF_ItEEEESM_EEEEEPS7_SP_SP_NSC_11hip_rocprim7__merge17predicate_wrapperIttNSC_4lessItEEEEEE10hipError_tPvRmT0_T1_T2_T3_T4_T5_mmT6_P12ihipStream_tbEUlT_E_NS1_11comp_targetILNS1_3genE4ELNS1_11target_archE910ELNS1_3gpuE8ELNS1_3repE0EEENS1_30default_config_static_selectorELNS0_4arch9wavefront6targetE0EEEvS10_
	.globl	_ZN7rocprim17ROCPRIM_400000_NS6detail17trampoline_kernelINS0_14default_configENS1_21merge_config_selectorINS0_5tupleIJttEEENS0_10empty_typeEEEZNS1_10merge_implIS3_NS0_12zip_iteratorINS5_IJN6thrust23THRUST_200600_302600_NS6detail15normal_iteratorINSC_10device_ptrIKtEEEESI_EEEEESK_NSA_INS5_IJNSE_INSF_ItEEEESM_EEEEEPS7_SP_SP_NSC_11hip_rocprim7__merge17predicate_wrapperIttNSC_4lessItEEEEEE10hipError_tPvRmT0_T1_T2_T3_T4_T5_mmT6_P12ihipStream_tbEUlT_E_NS1_11comp_targetILNS1_3genE4ELNS1_11target_archE910ELNS1_3gpuE8ELNS1_3repE0EEENS1_30default_config_static_selectorELNS0_4arch9wavefront6targetE0EEEvS10_
	.p2align	8
	.type	_ZN7rocprim17ROCPRIM_400000_NS6detail17trampoline_kernelINS0_14default_configENS1_21merge_config_selectorINS0_5tupleIJttEEENS0_10empty_typeEEEZNS1_10merge_implIS3_NS0_12zip_iteratorINS5_IJN6thrust23THRUST_200600_302600_NS6detail15normal_iteratorINSC_10device_ptrIKtEEEESI_EEEEESK_NSA_INS5_IJNSE_INSF_ItEEEESM_EEEEEPS7_SP_SP_NSC_11hip_rocprim7__merge17predicate_wrapperIttNSC_4lessItEEEEEE10hipError_tPvRmT0_T1_T2_T3_T4_T5_mmT6_P12ihipStream_tbEUlT_E_NS1_11comp_targetILNS1_3genE4ELNS1_11target_archE910ELNS1_3gpuE8ELNS1_3repE0EEENS1_30default_config_static_selectorELNS0_4arch9wavefront6targetE0EEEvS10_,@function
_ZN7rocprim17ROCPRIM_400000_NS6detail17trampoline_kernelINS0_14default_configENS1_21merge_config_selectorINS0_5tupleIJttEEENS0_10empty_typeEEEZNS1_10merge_implIS3_NS0_12zip_iteratorINS5_IJN6thrust23THRUST_200600_302600_NS6detail15normal_iteratorINSC_10device_ptrIKtEEEESI_EEEEESK_NSA_INS5_IJNSE_INSF_ItEEEESM_EEEEEPS7_SP_SP_NSC_11hip_rocprim7__merge17predicate_wrapperIttNSC_4lessItEEEEEE10hipError_tPvRmT0_T1_T2_T3_T4_T5_mmT6_P12ihipStream_tbEUlT_E_NS1_11comp_targetILNS1_3genE4ELNS1_11target_archE910ELNS1_3gpuE8ELNS1_3repE0EEENS1_30default_config_static_selectorELNS0_4arch9wavefront6targetE0EEEvS10_: ; @_ZN7rocprim17ROCPRIM_400000_NS6detail17trampoline_kernelINS0_14default_configENS1_21merge_config_selectorINS0_5tupleIJttEEENS0_10empty_typeEEEZNS1_10merge_implIS3_NS0_12zip_iteratorINS5_IJN6thrust23THRUST_200600_302600_NS6detail15normal_iteratorINSC_10device_ptrIKtEEEESI_EEEEESK_NSA_INS5_IJNSE_INSF_ItEEEESM_EEEEEPS7_SP_SP_NSC_11hip_rocprim7__merge17predicate_wrapperIttNSC_4lessItEEEEEE10hipError_tPvRmT0_T1_T2_T3_T4_T5_mmT6_P12ihipStream_tbEUlT_E_NS1_11comp_targetILNS1_3genE4ELNS1_11target_archE910ELNS1_3gpuE8ELNS1_3repE0EEENS1_30default_config_static_selectorELNS0_4arch9wavefront6targetE0EEEvS10_
; %bb.0:
	.section	.rodata,"a",@progbits
	.p2align	6, 0x0
	.amdhsa_kernel _ZN7rocprim17ROCPRIM_400000_NS6detail17trampoline_kernelINS0_14default_configENS1_21merge_config_selectorINS0_5tupleIJttEEENS0_10empty_typeEEEZNS1_10merge_implIS3_NS0_12zip_iteratorINS5_IJN6thrust23THRUST_200600_302600_NS6detail15normal_iteratorINSC_10device_ptrIKtEEEESI_EEEEESK_NSA_INS5_IJNSE_INSF_ItEEEESM_EEEEEPS7_SP_SP_NSC_11hip_rocprim7__merge17predicate_wrapperIttNSC_4lessItEEEEEE10hipError_tPvRmT0_T1_T2_T3_T4_T5_mmT6_P12ihipStream_tbEUlT_E_NS1_11comp_targetILNS1_3genE4ELNS1_11target_archE910ELNS1_3gpuE8ELNS1_3repE0EEENS1_30default_config_static_selectorELNS0_4arch9wavefront6targetE0EEEvS10_
		.amdhsa_group_segment_fixed_size 0
		.amdhsa_private_segment_fixed_size 0
		.amdhsa_kernarg_size 64
		.amdhsa_user_sgpr_count 2
		.amdhsa_user_sgpr_dispatch_ptr 0
		.amdhsa_user_sgpr_queue_ptr 0
		.amdhsa_user_sgpr_kernarg_segment_ptr 1
		.amdhsa_user_sgpr_dispatch_id 0
		.amdhsa_user_sgpr_kernarg_preload_length 0
		.amdhsa_user_sgpr_kernarg_preload_offset 0
		.amdhsa_user_sgpr_private_segment_size 0
		.amdhsa_wavefront_size32 1
		.amdhsa_uses_dynamic_stack 0
		.amdhsa_enable_private_segment 0
		.amdhsa_system_sgpr_workgroup_id_x 1
		.amdhsa_system_sgpr_workgroup_id_y 0
		.amdhsa_system_sgpr_workgroup_id_z 0
		.amdhsa_system_sgpr_workgroup_info 0
		.amdhsa_system_vgpr_workitem_id 0
		.amdhsa_next_free_vgpr 1
		.amdhsa_next_free_sgpr 1
		.amdhsa_named_barrier_count 0
		.amdhsa_reserve_vcc 0
		.amdhsa_float_round_mode_32 0
		.amdhsa_float_round_mode_16_64 0
		.amdhsa_float_denorm_mode_32 3
		.amdhsa_float_denorm_mode_16_64 3
		.amdhsa_fp16_overflow 0
		.amdhsa_memory_ordered 1
		.amdhsa_forward_progress 1
		.amdhsa_inst_pref_size 0
		.amdhsa_round_robin_scheduling 0
		.amdhsa_exception_fp_ieee_invalid_op 0
		.amdhsa_exception_fp_denorm_src 0
		.amdhsa_exception_fp_ieee_div_zero 0
		.amdhsa_exception_fp_ieee_overflow 0
		.amdhsa_exception_fp_ieee_underflow 0
		.amdhsa_exception_fp_ieee_inexact 0
		.amdhsa_exception_int_div_zero 0
	.end_amdhsa_kernel
	.section	.text._ZN7rocprim17ROCPRIM_400000_NS6detail17trampoline_kernelINS0_14default_configENS1_21merge_config_selectorINS0_5tupleIJttEEENS0_10empty_typeEEEZNS1_10merge_implIS3_NS0_12zip_iteratorINS5_IJN6thrust23THRUST_200600_302600_NS6detail15normal_iteratorINSC_10device_ptrIKtEEEESI_EEEEESK_NSA_INS5_IJNSE_INSF_ItEEEESM_EEEEEPS7_SP_SP_NSC_11hip_rocprim7__merge17predicate_wrapperIttNSC_4lessItEEEEEE10hipError_tPvRmT0_T1_T2_T3_T4_T5_mmT6_P12ihipStream_tbEUlT_E_NS1_11comp_targetILNS1_3genE4ELNS1_11target_archE910ELNS1_3gpuE8ELNS1_3repE0EEENS1_30default_config_static_selectorELNS0_4arch9wavefront6targetE0EEEvS10_,"axG",@progbits,_ZN7rocprim17ROCPRIM_400000_NS6detail17trampoline_kernelINS0_14default_configENS1_21merge_config_selectorINS0_5tupleIJttEEENS0_10empty_typeEEEZNS1_10merge_implIS3_NS0_12zip_iteratorINS5_IJN6thrust23THRUST_200600_302600_NS6detail15normal_iteratorINSC_10device_ptrIKtEEEESI_EEEEESK_NSA_INS5_IJNSE_INSF_ItEEEESM_EEEEEPS7_SP_SP_NSC_11hip_rocprim7__merge17predicate_wrapperIttNSC_4lessItEEEEEE10hipError_tPvRmT0_T1_T2_T3_T4_T5_mmT6_P12ihipStream_tbEUlT_E_NS1_11comp_targetILNS1_3genE4ELNS1_11target_archE910ELNS1_3gpuE8ELNS1_3repE0EEENS1_30default_config_static_selectorELNS0_4arch9wavefront6targetE0EEEvS10_,comdat
.Lfunc_end172:
	.size	_ZN7rocprim17ROCPRIM_400000_NS6detail17trampoline_kernelINS0_14default_configENS1_21merge_config_selectorINS0_5tupleIJttEEENS0_10empty_typeEEEZNS1_10merge_implIS3_NS0_12zip_iteratorINS5_IJN6thrust23THRUST_200600_302600_NS6detail15normal_iteratorINSC_10device_ptrIKtEEEESI_EEEEESK_NSA_INS5_IJNSE_INSF_ItEEEESM_EEEEEPS7_SP_SP_NSC_11hip_rocprim7__merge17predicate_wrapperIttNSC_4lessItEEEEEE10hipError_tPvRmT0_T1_T2_T3_T4_T5_mmT6_P12ihipStream_tbEUlT_E_NS1_11comp_targetILNS1_3genE4ELNS1_11target_archE910ELNS1_3gpuE8ELNS1_3repE0EEENS1_30default_config_static_selectorELNS0_4arch9wavefront6targetE0EEEvS10_, .Lfunc_end172-_ZN7rocprim17ROCPRIM_400000_NS6detail17trampoline_kernelINS0_14default_configENS1_21merge_config_selectorINS0_5tupleIJttEEENS0_10empty_typeEEEZNS1_10merge_implIS3_NS0_12zip_iteratorINS5_IJN6thrust23THRUST_200600_302600_NS6detail15normal_iteratorINSC_10device_ptrIKtEEEESI_EEEEESK_NSA_INS5_IJNSE_INSF_ItEEEESM_EEEEEPS7_SP_SP_NSC_11hip_rocprim7__merge17predicate_wrapperIttNSC_4lessItEEEEEE10hipError_tPvRmT0_T1_T2_T3_T4_T5_mmT6_P12ihipStream_tbEUlT_E_NS1_11comp_targetILNS1_3genE4ELNS1_11target_archE910ELNS1_3gpuE8ELNS1_3repE0EEENS1_30default_config_static_selectorELNS0_4arch9wavefront6targetE0EEEvS10_
                                        ; -- End function
	.set _ZN7rocprim17ROCPRIM_400000_NS6detail17trampoline_kernelINS0_14default_configENS1_21merge_config_selectorINS0_5tupleIJttEEENS0_10empty_typeEEEZNS1_10merge_implIS3_NS0_12zip_iteratorINS5_IJN6thrust23THRUST_200600_302600_NS6detail15normal_iteratorINSC_10device_ptrIKtEEEESI_EEEEESK_NSA_INS5_IJNSE_INSF_ItEEEESM_EEEEEPS7_SP_SP_NSC_11hip_rocprim7__merge17predicate_wrapperIttNSC_4lessItEEEEEE10hipError_tPvRmT0_T1_T2_T3_T4_T5_mmT6_P12ihipStream_tbEUlT_E_NS1_11comp_targetILNS1_3genE4ELNS1_11target_archE910ELNS1_3gpuE8ELNS1_3repE0EEENS1_30default_config_static_selectorELNS0_4arch9wavefront6targetE0EEEvS10_.num_vgpr, 0
	.set _ZN7rocprim17ROCPRIM_400000_NS6detail17trampoline_kernelINS0_14default_configENS1_21merge_config_selectorINS0_5tupleIJttEEENS0_10empty_typeEEEZNS1_10merge_implIS3_NS0_12zip_iteratorINS5_IJN6thrust23THRUST_200600_302600_NS6detail15normal_iteratorINSC_10device_ptrIKtEEEESI_EEEEESK_NSA_INS5_IJNSE_INSF_ItEEEESM_EEEEEPS7_SP_SP_NSC_11hip_rocprim7__merge17predicate_wrapperIttNSC_4lessItEEEEEE10hipError_tPvRmT0_T1_T2_T3_T4_T5_mmT6_P12ihipStream_tbEUlT_E_NS1_11comp_targetILNS1_3genE4ELNS1_11target_archE910ELNS1_3gpuE8ELNS1_3repE0EEENS1_30default_config_static_selectorELNS0_4arch9wavefront6targetE0EEEvS10_.num_agpr, 0
	.set _ZN7rocprim17ROCPRIM_400000_NS6detail17trampoline_kernelINS0_14default_configENS1_21merge_config_selectorINS0_5tupleIJttEEENS0_10empty_typeEEEZNS1_10merge_implIS3_NS0_12zip_iteratorINS5_IJN6thrust23THRUST_200600_302600_NS6detail15normal_iteratorINSC_10device_ptrIKtEEEESI_EEEEESK_NSA_INS5_IJNSE_INSF_ItEEEESM_EEEEEPS7_SP_SP_NSC_11hip_rocprim7__merge17predicate_wrapperIttNSC_4lessItEEEEEE10hipError_tPvRmT0_T1_T2_T3_T4_T5_mmT6_P12ihipStream_tbEUlT_E_NS1_11comp_targetILNS1_3genE4ELNS1_11target_archE910ELNS1_3gpuE8ELNS1_3repE0EEENS1_30default_config_static_selectorELNS0_4arch9wavefront6targetE0EEEvS10_.numbered_sgpr, 0
	.set _ZN7rocprim17ROCPRIM_400000_NS6detail17trampoline_kernelINS0_14default_configENS1_21merge_config_selectorINS0_5tupleIJttEEENS0_10empty_typeEEEZNS1_10merge_implIS3_NS0_12zip_iteratorINS5_IJN6thrust23THRUST_200600_302600_NS6detail15normal_iteratorINSC_10device_ptrIKtEEEESI_EEEEESK_NSA_INS5_IJNSE_INSF_ItEEEESM_EEEEEPS7_SP_SP_NSC_11hip_rocprim7__merge17predicate_wrapperIttNSC_4lessItEEEEEE10hipError_tPvRmT0_T1_T2_T3_T4_T5_mmT6_P12ihipStream_tbEUlT_E_NS1_11comp_targetILNS1_3genE4ELNS1_11target_archE910ELNS1_3gpuE8ELNS1_3repE0EEENS1_30default_config_static_selectorELNS0_4arch9wavefront6targetE0EEEvS10_.num_named_barrier, 0
	.set _ZN7rocprim17ROCPRIM_400000_NS6detail17trampoline_kernelINS0_14default_configENS1_21merge_config_selectorINS0_5tupleIJttEEENS0_10empty_typeEEEZNS1_10merge_implIS3_NS0_12zip_iteratorINS5_IJN6thrust23THRUST_200600_302600_NS6detail15normal_iteratorINSC_10device_ptrIKtEEEESI_EEEEESK_NSA_INS5_IJNSE_INSF_ItEEEESM_EEEEEPS7_SP_SP_NSC_11hip_rocprim7__merge17predicate_wrapperIttNSC_4lessItEEEEEE10hipError_tPvRmT0_T1_T2_T3_T4_T5_mmT6_P12ihipStream_tbEUlT_E_NS1_11comp_targetILNS1_3genE4ELNS1_11target_archE910ELNS1_3gpuE8ELNS1_3repE0EEENS1_30default_config_static_selectorELNS0_4arch9wavefront6targetE0EEEvS10_.private_seg_size, 0
	.set _ZN7rocprim17ROCPRIM_400000_NS6detail17trampoline_kernelINS0_14default_configENS1_21merge_config_selectorINS0_5tupleIJttEEENS0_10empty_typeEEEZNS1_10merge_implIS3_NS0_12zip_iteratorINS5_IJN6thrust23THRUST_200600_302600_NS6detail15normal_iteratorINSC_10device_ptrIKtEEEESI_EEEEESK_NSA_INS5_IJNSE_INSF_ItEEEESM_EEEEEPS7_SP_SP_NSC_11hip_rocprim7__merge17predicate_wrapperIttNSC_4lessItEEEEEE10hipError_tPvRmT0_T1_T2_T3_T4_T5_mmT6_P12ihipStream_tbEUlT_E_NS1_11comp_targetILNS1_3genE4ELNS1_11target_archE910ELNS1_3gpuE8ELNS1_3repE0EEENS1_30default_config_static_selectorELNS0_4arch9wavefront6targetE0EEEvS10_.uses_vcc, 0
	.set _ZN7rocprim17ROCPRIM_400000_NS6detail17trampoline_kernelINS0_14default_configENS1_21merge_config_selectorINS0_5tupleIJttEEENS0_10empty_typeEEEZNS1_10merge_implIS3_NS0_12zip_iteratorINS5_IJN6thrust23THRUST_200600_302600_NS6detail15normal_iteratorINSC_10device_ptrIKtEEEESI_EEEEESK_NSA_INS5_IJNSE_INSF_ItEEEESM_EEEEEPS7_SP_SP_NSC_11hip_rocprim7__merge17predicate_wrapperIttNSC_4lessItEEEEEE10hipError_tPvRmT0_T1_T2_T3_T4_T5_mmT6_P12ihipStream_tbEUlT_E_NS1_11comp_targetILNS1_3genE4ELNS1_11target_archE910ELNS1_3gpuE8ELNS1_3repE0EEENS1_30default_config_static_selectorELNS0_4arch9wavefront6targetE0EEEvS10_.uses_flat_scratch, 0
	.set _ZN7rocprim17ROCPRIM_400000_NS6detail17trampoline_kernelINS0_14default_configENS1_21merge_config_selectorINS0_5tupleIJttEEENS0_10empty_typeEEEZNS1_10merge_implIS3_NS0_12zip_iteratorINS5_IJN6thrust23THRUST_200600_302600_NS6detail15normal_iteratorINSC_10device_ptrIKtEEEESI_EEEEESK_NSA_INS5_IJNSE_INSF_ItEEEESM_EEEEEPS7_SP_SP_NSC_11hip_rocprim7__merge17predicate_wrapperIttNSC_4lessItEEEEEE10hipError_tPvRmT0_T1_T2_T3_T4_T5_mmT6_P12ihipStream_tbEUlT_E_NS1_11comp_targetILNS1_3genE4ELNS1_11target_archE910ELNS1_3gpuE8ELNS1_3repE0EEENS1_30default_config_static_selectorELNS0_4arch9wavefront6targetE0EEEvS10_.has_dyn_sized_stack, 0
	.set _ZN7rocprim17ROCPRIM_400000_NS6detail17trampoline_kernelINS0_14default_configENS1_21merge_config_selectorINS0_5tupleIJttEEENS0_10empty_typeEEEZNS1_10merge_implIS3_NS0_12zip_iteratorINS5_IJN6thrust23THRUST_200600_302600_NS6detail15normal_iteratorINSC_10device_ptrIKtEEEESI_EEEEESK_NSA_INS5_IJNSE_INSF_ItEEEESM_EEEEEPS7_SP_SP_NSC_11hip_rocprim7__merge17predicate_wrapperIttNSC_4lessItEEEEEE10hipError_tPvRmT0_T1_T2_T3_T4_T5_mmT6_P12ihipStream_tbEUlT_E_NS1_11comp_targetILNS1_3genE4ELNS1_11target_archE910ELNS1_3gpuE8ELNS1_3repE0EEENS1_30default_config_static_selectorELNS0_4arch9wavefront6targetE0EEEvS10_.has_recursion, 0
	.set _ZN7rocprim17ROCPRIM_400000_NS6detail17trampoline_kernelINS0_14default_configENS1_21merge_config_selectorINS0_5tupleIJttEEENS0_10empty_typeEEEZNS1_10merge_implIS3_NS0_12zip_iteratorINS5_IJN6thrust23THRUST_200600_302600_NS6detail15normal_iteratorINSC_10device_ptrIKtEEEESI_EEEEESK_NSA_INS5_IJNSE_INSF_ItEEEESM_EEEEEPS7_SP_SP_NSC_11hip_rocprim7__merge17predicate_wrapperIttNSC_4lessItEEEEEE10hipError_tPvRmT0_T1_T2_T3_T4_T5_mmT6_P12ihipStream_tbEUlT_E_NS1_11comp_targetILNS1_3genE4ELNS1_11target_archE910ELNS1_3gpuE8ELNS1_3repE0EEENS1_30default_config_static_selectorELNS0_4arch9wavefront6targetE0EEEvS10_.has_indirect_call, 0
	.section	.AMDGPU.csdata,"",@progbits
; Kernel info:
; codeLenInByte = 0
; TotalNumSgprs: 0
; NumVgprs: 0
; ScratchSize: 0
; MemoryBound: 0
; FloatMode: 240
; IeeeMode: 1
; LDSByteSize: 0 bytes/workgroup (compile time only)
; SGPRBlocks: 0
; VGPRBlocks: 0
; NumSGPRsForWavesPerEU: 1
; NumVGPRsForWavesPerEU: 1
; NamedBarCnt: 0
; Occupancy: 16
; WaveLimiterHint : 0
; COMPUTE_PGM_RSRC2:SCRATCH_EN: 0
; COMPUTE_PGM_RSRC2:USER_SGPR: 2
; COMPUTE_PGM_RSRC2:TRAP_HANDLER: 0
; COMPUTE_PGM_RSRC2:TGID_X_EN: 1
; COMPUTE_PGM_RSRC2:TGID_Y_EN: 0
; COMPUTE_PGM_RSRC2:TGID_Z_EN: 0
; COMPUTE_PGM_RSRC2:TIDIG_COMP_CNT: 0
	.section	.text._ZN7rocprim17ROCPRIM_400000_NS6detail17trampoline_kernelINS0_14default_configENS1_21merge_config_selectorINS0_5tupleIJttEEENS0_10empty_typeEEEZNS1_10merge_implIS3_NS0_12zip_iteratorINS5_IJN6thrust23THRUST_200600_302600_NS6detail15normal_iteratorINSC_10device_ptrIKtEEEESI_EEEEESK_NSA_INS5_IJNSE_INSF_ItEEEESM_EEEEEPS7_SP_SP_NSC_11hip_rocprim7__merge17predicate_wrapperIttNSC_4lessItEEEEEE10hipError_tPvRmT0_T1_T2_T3_T4_T5_mmT6_P12ihipStream_tbEUlT_E_NS1_11comp_targetILNS1_3genE3ELNS1_11target_archE908ELNS1_3gpuE7ELNS1_3repE0EEENS1_30default_config_static_selectorELNS0_4arch9wavefront6targetE0EEEvS10_,"axG",@progbits,_ZN7rocprim17ROCPRIM_400000_NS6detail17trampoline_kernelINS0_14default_configENS1_21merge_config_selectorINS0_5tupleIJttEEENS0_10empty_typeEEEZNS1_10merge_implIS3_NS0_12zip_iteratorINS5_IJN6thrust23THRUST_200600_302600_NS6detail15normal_iteratorINSC_10device_ptrIKtEEEESI_EEEEESK_NSA_INS5_IJNSE_INSF_ItEEEESM_EEEEEPS7_SP_SP_NSC_11hip_rocprim7__merge17predicate_wrapperIttNSC_4lessItEEEEEE10hipError_tPvRmT0_T1_T2_T3_T4_T5_mmT6_P12ihipStream_tbEUlT_E_NS1_11comp_targetILNS1_3genE3ELNS1_11target_archE908ELNS1_3gpuE7ELNS1_3repE0EEENS1_30default_config_static_selectorELNS0_4arch9wavefront6targetE0EEEvS10_,comdat
	.protected	_ZN7rocprim17ROCPRIM_400000_NS6detail17trampoline_kernelINS0_14default_configENS1_21merge_config_selectorINS0_5tupleIJttEEENS0_10empty_typeEEEZNS1_10merge_implIS3_NS0_12zip_iteratorINS5_IJN6thrust23THRUST_200600_302600_NS6detail15normal_iteratorINSC_10device_ptrIKtEEEESI_EEEEESK_NSA_INS5_IJNSE_INSF_ItEEEESM_EEEEEPS7_SP_SP_NSC_11hip_rocprim7__merge17predicate_wrapperIttNSC_4lessItEEEEEE10hipError_tPvRmT0_T1_T2_T3_T4_T5_mmT6_P12ihipStream_tbEUlT_E_NS1_11comp_targetILNS1_3genE3ELNS1_11target_archE908ELNS1_3gpuE7ELNS1_3repE0EEENS1_30default_config_static_selectorELNS0_4arch9wavefront6targetE0EEEvS10_ ; -- Begin function _ZN7rocprim17ROCPRIM_400000_NS6detail17trampoline_kernelINS0_14default_configENS1_21merge_config_selectorINS0_5tupleIJttEEENS0_10empty_typeEEEZNS1_10merge_implIS3_NS0_12zip_iteratorINS5_IJN6thrust23THRUST_200600_302600_NS6detail15normal_iteratorINSC_10device_ptrIKtEEEESI_EEEEESK_NSA_INS5_IJNSE_INSF_ItEEEESM_EEEEEPS7_SP_SP_NSC_11hip_rocprim7__merge17predicate_wrapperIttNSC_4lessItEEEEEE10hipError_tPvRmT0_T1_T2_T3_T4_T5_mmT6_P12ihipStream_tbEUlT_E_NS1_11comp_targetILNS1_3genE3ELNS1_11target_archE908ELNS1_3gpuE7ELNS1_3repE0EEENS1_30default_config_static_selectorELNS0_4arch9wavefront6targetE0EEEvS10_
	.globl	_ZN7rocprim17ROCPRIM_400000_NS6detail17trampoline_kernelINS0_14default_configENS1_21merge_config_selectorINS0_5tupleIJttEEENS0_10empty_typeEEEZNS1_10merge_implIS3_NS0_12zip_iteratorINS5_IJN6thrust23THRUST_200600_302600_NS6detail15normal_iteratorINSC_10device_ptrIKtEEEESI_EEEEESK_NSA_INS5_IJNSE_INSF_ItEEEESM_EEEEEPS7_SP_SP_NSC_11hip_rocprim7__merge17predicate_wrapperIttNSC_4lessItEEEEEE10hipError_tPvRmT0_T1_T2_T3_T4_T5_mmT6_P12ihipStream_tbEUlT_E_NS1_11comp_targetILNS1_3genE3ELNS1_11target_archE908ELNS1_3gpuE7ELNS1_3repE0EEENS1_30default_config_static_selectorELNS0_4arch9wavefront6targetE0EEEvS10_
	.p2align	8
	.type	_ZN7rocprim17ROCPRIM_400000_NS6detail17trampoline_kernelINS0_14default_configENS1_21merge_config_selectorINS0_5tupleIJttEEENS0_10empty_typeEEEZNS1_10merge_implIS3_NS0_12zip_iteratorINS5_IJN6thrust23THRUST_200600_302600_NS6detail15normal_iteratorINSC_10device_ptrIKtEEEESI_EEEEESK_NSA_INS5_IJNSE_INSF_ItEEEESM_EEEEEPS7_SP_SP_NSC_11hip_rocprim7__merge17predicate_wrapperIttNSC_4lessItEEEEEE10hipError_tPvRmT0_T1_T2_T3_T4_T5_mmT6_P12ihipStream_tbEUlT_E_NS1_11comp_targetILNS1_3genE3ELNS1_11target_archE908ELNS1_3gpuE7ELNS1_3repE0EEENS1_30default_config_static_selectorELNS0_4arch9wavefront6targetE0EEEvS10_,@function
_ZN7rocprim17ROCPRIM_400000_NS6detail17trampoline_kernelINS0_14default_configENS1_21merge_config_selectorINS0_5tupleIJttEEENS0_10empty_typeEEEZNS1_10merge_implIS3_NS0_12zip_iteratorINS5_IJN6thrust23THRUST_200600_302600_NS6detail15normal_iteratorINSC_10device_ptrIKtEEEESI_EEEEESK_NSA_INS5_IJNSE_INSF_ItEEEESM_EEEEEPS7_SP_SP_NSC_11hip_rocprim7__merge17predicate_wrapperIttNSC_4lessItEEEEEE10hipError_tPvRmT0_T1_T2_T3_T4_T5_mmT6_P12ihipStream_tbEUlT_E_NS1_11comp_targetILNS1_3genE3ELNS1_11target_archE908ELNS1_3gpuE7ELNS1_3repE0EEENS1_30default_config_static_selectorELNS0_4arch9wavefront6targetE0EEEvS10_: ; @_ZN7rocprim17ROCPRIM_400000_NS6detail17trampoline_kernelINS0_14default_configENS1_21merge_config_selectorINS0_5tupleIJttEEENS0_10empty_typeEEEZNS1_10merge_implIS3_NS0_12zip_iteratorINS5_IJN6thrust23THRUST_200600_302600_NS6detail15normal_iteratorINSC_10device_ptrIKtEEEESI_EEEEESK_NSA_INS5_IJNSE_INSF_ItEEEESM_EEEEEPS7_SP_SP_NSC_11hip_rocprim7__merge17predicate_wrapperIttNSC_4lessItEEEEEE10hipError_tPvRmT0_T1_T2_T3_T4_T5_mmT6_P12ihipStream_tbEUlT_E_NS1_11comp_targetILNS1_3genE3ELNS1_11target_archE908ELNS1_3gpuE7ELNS1_3repE0EEENS1_30default_config_static_selectorELNS0_4arch9wavefront6targetE0EEEvS10_
; %bb.0:
	.section	.rodata,"a",@progbits
	.p2align	6, 0x0
	.amdhsa_kernel _ZN7rocprim17ROCPRIM_400000_NS6detail17trampoline_kernelINS0_14default_configENS1_21merge_config_selectorINS0_5tupleIJttEEENS0_10empty_typeEEEZNS1_10merge_implIS3_NS0_12zip_iteratorINS5_IJN6thrust23THRUST_200600_302600_NS6detail15normal_iteratorINSC_10device_ptrIKtEEEESI_EEEEESK_NSA_INS5_IJNSE_INSF_ItEEEESM_EEEEEPS7_SP_SP_NSC_11hip_rocprim7__merge17predicate_wrapperIttNSC_4lessItEEEEEE10hipError_tPvRmT0_T1_T2_T3_T4_T5_mmT6_P12ihipStream_tbEUlT_E_NS1_11comp_targetILNS1_3genE3ELNS1_11target_archE908ELNS1_3gpuE7ELNS1_3repE0EEENS1_30default_config_static_selectorELNS0_4arch9wavefront6targetE0EEEvS10_
		.amdhsa_group_segment_fixed_size 0
		.amdhsa_private_segment_fixed_size 0
		.amdhsa_kernarg_size 64
		.amdhsa_user_sgpr_count 2
		.amdhsa_user_sgpr_dispatch_ptr 0
		.amdhsa_user_sgpr_queue_ptr 0
		.amdhsa_user_sgpr_kernarg_segment_ptr 1
		.amdhsa_user_sgpr_dispatch_id 0
		.amdhsa_user_sgpr_kernarg_preload_length 0
		.amdhsa_user_sgpr_kernarg_preload_offset 0
		.amdhsa_user_sgpr_private_segment_size 0
		.amdhsa_wavefront_size32 1
		.amdhsa_uses_dynamic_stack 0
		.amdhsa_enable_private_segment 0
		.amdhsa_system_sgpr_workgroup_id_x 1
		.amdhsa_system_sgpr_workgroup_id_y 0
		.amdhsa_system_sgpr_workgroup_id_z 0
		.amdhsa_system_sgpr_workgroup_info 0
		.amdhsa_system_vgpr_workitem_id 0
		.amdhsa_next_free_vgpr 1
		.amdhsa_next_free_sgpr 1
		.amdhsa_named_barrier_count 0
		.amdhsa_reserve_vcc 0
		.amdhsa_float_round_mode_32 0
		.amdhsa_float_round_mode_16_64 0
		.amdhsa_float_denorm_mode_32 3
		.amdhsa_float_denorm_mode_16_64 3
		.amdhsa_fp16_overflow 0
		.amdhsa_memory_ordered 1
		.amdhsa_forward_progress 1
		.amdhsa_inst_pref_size 0
		.amdhsa_round_robin_scheduling 0
		.amdhsa_exception_fp_ieee_invalid_op 0
		.amdhsa_exception_fp_denorm_src 0
		.amdhsa_exception_fp_ieee_div_zero 0
		.amdhsa_exception_fp_ieee_overflow 0
		.amdhsa_exception_fp_ieee_underflow 0
		.amdhsa_exception_fp_ieee_inexact 0
		.amdhsa_exception_int_div_zero 0
	.end_amdhsa_kernel
	.section	.text._ZN7rocprim17ROCPRIM_400000_NS6detail17trampoline_kernelINS0_14default_configENS1_21merge_config_selectorINS0_5tupleIJttEEENS0_10empty_typeEEEZNS1_10merge_implIS3_NS0_12zip_iteratorINS5_IJN6thrust23THRUST_200600_302600_NS6detail15normal_iteratorINSC_10device_ptrIKtEEEESI_EEEEESK_NSA_INS5_IJNSE_INSF_ItEEEESM_EEEEEPS7_SP_SP_NSC_11hip_rocprim7__merge17predicate_wrapperIttNSC_4lessItEEEEEE10hipError_tPvRmT0_T1_T2_T3_T4_T5_mmT6_P12ihipStream_tbEUlT_E_NS1_11comp_targetILNS1_3genE3ELNS1_11target_archE908ELNS1_3gpuE7ELNS1_3repE0EEENS1_30default_config_static_selectorELNS0_4arch9wavefront6targetE0EEEvS10_,"axG",@progbits,_ZN7rocprim17ROCPRIM_400000_NS6detail17trampoline_kernelINS0_14default_configENS1_21merge_config_selectorINS0_5tupleIJttEEENS0_10empty_typeEEEZNS1_10merge_implIS3_NS0_12zip_iteratorINS5_IJN6thrust23THRUST_200600_302600_NS6detail15normal_iteratorINSC_10device_ptrIKtEEEESI_EEEEESK_NSA_INS5_IJNSE_INSF_ItEEEESM_EEEEEPS7_SP_SP_NSC_11hip_rocprim7__merge17predicate_wrapperIttNSC_4lessItEEEEEE10hipError_tPvRmT0_T1_T2_T3_T4_T5_mmT6_P12ihipStream_tbEUlT_E_NS1_11comp_targetILNS1_3genE3ELNS1_11target_archE908ELNS1_3gpuE7ELNS1_3repE0EEENS1_30default_config_static_selectorELNS0_4arch9wavefront6targetE0EEEvS10_,comdat
.Lfunc_end173:
	.size	_ZN7rocprim17ROCPRIM_400000_NS6detail17trampoline_kernelINS0_14default_configENS1_21merge_config_selectorINS0_5tupleIJttEEENS0_10empty_typeEEEZNS1_10merge_implIS3_NS0_12zip_iteratorINS5_IJN6thrust23THRUST_200600_302600_NS6detail15normal_iteratorINSC_10device_ptrIKtEEEESI_EEEEESK_NSA_INS5_IJNSE_INSF_ItEEEESM_EEEEEPS7_SP_SP_NSC_11hip_rocprim7__merge17predicate_wrapperIttNSC_4lessItEEEEEE10hipError_tPvRmT0_T1_T2_T3_T4_T5_mmT6_P12ihipStream_tbEUlT_E_NS1_11comp_targetILNS1_3genE3ELNS1_11target_archE908ELNS1_3gpuE7ELNS1_3repE0EEENS1_30default_config_static_selectorELNS0_4arch9wavefront6targetE0EEEvS10_, .Lfunc_end173-_ZN7rocprim17ROCPRIM_400000_NS6detail17trampoline_kernelINS0_14default_configENS1_21merge_config_selectorINS0_5tupleIJttEEENS0_10empty_typeEEEZNS1_10merge_implIS3_NS0_12zip_iteratorINS5_IJN6thrust23THRUST_200600_302600_NS6detail15normal_iteratorINSC_10device_ptrIKtEEEESI_EEEEESK_NSA_INS5_IJNSE_INSF_ItEEEESM_EEEEEPS7_SP_SP_NSC_11hip_rocprim7__merge17predicate_wrapperIttNSC_4lessItEEEEEE10hipError_tPvRmT0_T1_T2_T3_T4_T5_mmT6_P12ihipStream_tbEUlT_E_NS1_11comp_targetILNS1_3genE3ELNS1_11target_archE908ELNS1_3gpuE7ELNS1_3repE0EEENS1_30default_config_static_selectorELNS0_4arch9wavefront6targetE0EEEvS10_
                                        ; -- End function
	.set _ZN7rocprim17ROCPRIM_400000_NS6detail17trampoline_kernelINS0_14default_configENS1_21merge_config_selectorINS0_5tupleIJttEEENS0_10empty_typeEEEZNS1_10merge_implIS3_NS0_12zip_iteratorINS5_IJN6thrust23THRUST_200600_302600_NS6detail15normal_iteratorINSC_10device_ptrIKtEEEESI_EEEEESK_NSA_INS5_IJNSE_INSF_ItEEEESM_EEEEEPS7_SP_SP_NSC_11hip_rocprim7__merge17predicate_wrapperIttNSC_4lessItEEEEEE10hipError_tPvRmT0_T1_T2_T3_T4_T5_mmT6_P12ihipStream_tbEUlT_E_NS1_11comp_targetILNS1_3genE3ELNS1_11target_archE908ELNS1_3gpuE7ELNS1_3repE0EEENS1_30default_config_static_selectorELNS0_4arch9wavefront6targetE0EEEvS10_.num_vgpr, 0
	.set _ZN7rocprim17ROCPRIM_400000_NS6detail17trampoline_kernelINS0_14default_configENS1_21merge_config_selectorINS0_5tupleIJttEEENS0_10empty_typeEEEZNS1_10merge_implIS3_NS0_12zip_iteratorINS5_IJN6thrust23THRUST_200600_302600_NS6detail15normal_iteratorINSC_10device_ptrIKtEEEESI_EEEEESK_NSA_INS5_IJNSE_INSF_ItEEEESM_EEEEEPS7_SP_SP_NSC_11hip_rocprim7__merge17predicate_wrapperIttNSC_4lessItEEEEEE10hipError_tPvRmT0_T1_T2_T3_T4_T5_mmT6_P12ihipStream_tbEUlT_E_NS1_11comp_targetILNS1_3genE3ELNS1_11target_archE908ELNS1_3gpuE7ELNS1_3repE0EEENS1_30default_config_static_selectorELNS0_4arch9wavefront6targetE0EEEvS10_.num_agpr, 0
	.set _ZN7rocprim17ROCPRIM_400000_NS6detail17trampoline_kernelINS0_14default_configENS1_21merge_config_selectorINS0_5tupleIJttEEENS0_10empty_typeEEEZNS1_10merge_implIS3_NS0_12zip_iteratorINS5_IJN6thrust23THRUST_200600_302600_NS6detail15normal_iteratorINSC_10device_ptrIKtEEEESI_EEEEESK_NSA_INS5_IJNSE_INSF_ItEEEESM_EEEEEPS7_SP_SP_NSC_11hip_rocprim7__merge17predicate_wrapperIttNSC_4lessItEEEEEE10hipError_tPvRmT0_T1_T2_T3_T4_T5_mmT6_P12ihipStream_tbEUlT_E_NS1_11comp_targetILNS1_3genE3ELNS1_11target_archE908ELNS1_3gpuE7ELNS1_3repE0EEENS1_30default_config_static_selectorELNS0_4arch9wavefront6targetE0EEEvS10_.numbered_sgpr, 0
	.set _ZN7rocprim17ROCPRIM_400000_NS6detail17trampoline_kernelINS0_14default_configENS1_21merge_config_selectorINS0_5tupleIJttEEENS0_10empty_typeEEEZNS1_10merge_implIS3_NS0_12zip_iteratorINS5_IJN6thrust23THRUST_200600_302600_NS6detail15normal_iteratorINSC_10device_ptrIKtEEEESI_EEEEESK_NSA_INS5_IJNSE_INSF_ItEEEESM_EEEEEPS7_SP_SP_NSC_11hip_rocprim7__merge17predicate_wrapperIttNSC_4lessItEEEEEE10hipError_tPvRmT0_T1_T2_T3_T4_T5_mmT6_P12ihipStream_tbEUlT_E_NS1_11comp_targetILNS1_3genE3ELNS1_11target_archE908ELNS1_3gpuE7ELNS1_3repE0EEENS1_30default_config_static_selectorELNS0_4arch9wavefront6targetE0EEEvS10_.num_named_barrier, 0
	.set _ZN7rocprim17ROCPRIM_400000_NS6detail17trampoline_kernelINS0_14default_configENS1_21merge_config_selectorINS0_5tupleIJttEEENS0_10empty_typeEEEZNS1_10merge_implIS3_NS0_12zip_iteratorINS5_IJN6thrust23THRUST_200600_302600_NS6detail15normal_iteratorINSC_10device_ptrIKtEEEESI_EEEEESK_NSA_INS5_IJNSE_INSF_ItEEEESM_EEEEEPS7_SP_SP_NSC_11hip_rocprim7__merge17predicate_wrapperIttNSC_4lessItEEEEEE10hipError_tPvRmT0_T1_T2_T3_T4_T5_mmT6_P12ihipStream_tbEUlT_E_NS1_11comp_targetILNS1_3genE3ELNS1_11target_archE908ELNS1_3gpuE7ELNS1_3repE0EEENS1_30default_config_static_selectorELNS0_4arch9wavefront6targetE0EEEvS10_.private_seg_size, 0
	.set _ZN7rocprim17ROCPRIM_400000_NS6detail17trampoline_kernelINS0_14default_configENS1_21merge_config_selectorINS0_5tupleIJttEEENS0_10empty_typeEEEZNS1_10merge_implIS3_NS0_12zip_iteratorINS5_IJN6thrust23THRUST_200600_302600_NS6detail15normal_iteratorINSC_10device_ptrIKtEEEESI_EEEEESK_NSA_INS5_IJNSE_INSF_ItEEEESM_EEEEEPS7_SP_SP_NSC_11hip_rocprim7__merge17predicate_wrapperIttNSC_4lessItEEEEEE10hipError_tPvRmT0_T1_T2_T3_T4_T5_mmT6_P12ihipStream_tbEUlT_E_NS1_11comp_targetILNS1_3genE3ELNS1_11target_archE908ELNS1_3gpuE7ELNS1_3repE0EEENS1_30default_config_static_selectorELNS0_4arch9wavefront6targetE0EEEvS10_.uses_vcc, 0
	.set _ZN7rocprim17ROCPRIM_400000_NS6detail17trampoline_kernelINS0_14default_configENS1_21merge_config_selectorINS0_5tupleIJttEEENS0_10empty_typeEEEZNS1_10merge_implIS3_NS0_12zip_iteratorINS5_IJN6thrust23THRUST_200600_302600_NS6detail15normal_iteratorINSC_10device_ptrIKtEEEESI_EEEEESK_NSA_INS5_IJNSE_INSF_ItEEEESM_EEEEEPS7_SP_SP_NSC_11hip_rocprim7__merge17predicate_wrapperIttNSC_4lessItEEEEEE10hipError_tPvRmT0_T1_T2_T3_T4_T5_mmT6_P12ihipStream_tbEUlT_E_NS1_11comp_targetILNS1_3genE3ELNS1_11target_archE908ELNS1_3gpuE7ELNS1_3repE0EEENS1_30default_config_static_selectorELNS0_4arch9wavefront6targetE0EEEvS10_.uses_flat_scratch, 0
	.set _ZN7rocprim17ROCPRIM_400000_NS6detail17trampoline_kernelINS0_14default_configENS1_21merge_config_selectorINS0_5tupleIJttEEENS0_10empty_typeEEEZNS1_10merge_implIS3_NS0_12zip_iteratorINS5_IJN6thrust23THRUST_200600_302600_NS6detail15normal_iteratorINSC_10device_ptrIKtEEEESI_EEEEESK_NSA_INS5_IJNSE_INSF_ItEEEESM_EEEEEPS7_SP_SP_NSC_11hip_rocprim7__merge17predicate_wrapperIttNSC_4lessItEEEEEE10hipError_tPvRmT0_T1_T2_T3_T4_T5_mmT6_P12ihipStream_tbEUlT_E_NS1_11comp_targetILNS1_3genE3ELNS1_11target_archE908ELNS1_3gpuE7ELNS1_3repE0EEENS1_30default_config_static_selectorELNS0_4arch9wavefront6targetE0EEEvS10_.has_dyn_sized_stack, 0
	.set _ZN7rocprim17ROCPRIM_400000_NS6detail17trampoline_kernelINS0_14default_configENS1_21merge_config_selectorINS0_5tupleIJttEEENS0_10empty_typeEEEZNS1_10merge_implIS3_NS0_12zip_iteratorINS5_IJN6thrust23THRUST_200600_302600_NS6detail15normal_iteratorINSC_10device_ptrIKtEEEESI_EEEEESK_NSA_INS5_IJNSE_INSF_ItEEEESM_EEEEEPS7_SP_SP_NSC_11hip_rocprim7__merge17predicate_wrapperIttNSC_4lessItEEEEEE10hipError_tPvRmT0_T1_T2_T3_T4_T5_mmT6_P12ihipStream_tbEUlT_E_NS1_11comp_targetILNS1_3genE3ELNS1_11target_archE908ELNS1_3gpuE7ELNS1_3repE0EEENS1_30default_config_static_selectorELNS0_4arch9wavefront6targetE0EEEvS10_.has_recursion, 0
	.set _ZN7rocprim17ROCPRIM_400000_NS6detail17trampoline_kernelINS0_14default_configENS1_21merge_config_selectorINS0_5tupleIJttEEENS0_10empty_typeEEEZNS1_10merge_implIS3_NS0_12zip_iteratorINS5_IJN6thrust23THRUST_200600_302600_NS6detail15normal_iteratorINSC_10device_ptrIKtEEEESI_EEEEESK_NSA_INS5_IJNSE_INSF_ItEEEESM_EEEEEPS7_SP_SP_NSC_11hip_rocprim7__merge17predicate_wrapperIttNSC_4lessItEEEEEE10hipError_tPvRmT0_T1_T2_T3_T4_T5_mmT6_P12ihipStream_tbEUlT_E_NS1_11comp_targetILNS1_3genE3ELNS1_11target_archE908ELNS1_3gpuE7ELNS1_3repE0EEENS1_30default_config_static_selectorELNS0_4arch9wavefront6targetE0EEEvS10_.has_indirect_call, 0
	.section	.AMDGPU.csdata,"",@progbits
; Kernel info:
; codeLenInByte = 0
; TotalNumSgprs: 0
; NumVgprs: 0
; ScratchSize: 0
; MemoryBound: 0
; FloatMode: 240
; IeeeMode: 1
; LDSByteSize: 0 bytes/workgroup (compile time only)
; SGPRBlocks: 0
; VGPRBlocks: 0
; NumSGPRsForWavesPerEU: 1
; NumVGPRsForWavesPerEU: 1
; NamedBarCnt: 0
; Occupancy: 16
; WaveLimiterHint : 0
; COMPUTE_PGM_RSRC2:SCRATCH_EN: 0
; COMPUTE_PGM_RSRC2:USER_SGPR: 2
; COMPUTE_PGM_RSRC2:TRAP_HANDLER: 0
; COMPUTE_PGM_RSRC2:TGID_X_EN: 1
; COMPUTE_PGM_RSRC2:TGID_Y_EN: 0
; COMPUTE_PGM_RSRC2:TGID_Z_EN: 0
; COMPUTE_PGM_RSRC2:TIDIG_COMP_CNT: 0
	.section	.text._ZN7rocprim17ROCPRIM_400000_NS6detail17trampoline_kernelINS0_14default_configENS1_21merge_config_selectorINS0_5tupleIJttEEENS0_10empty_typeEEEZNS1_10merge_implIS3_NS0_12zip_iteratorINS5_IJN6thrust23THRUST_200600_302600_NS6detail15normal_iteratorINSC_10device_ptrIKtEEEESI_EEEEESK_NSA_INS5_IJNSE_INSF_ItEEEESM_EEEEEPS7_SP_SP_NSC_11hip_rocprim7__merge17predicate_wrapperIttNSC_4lessItEEEEEE10hipError_tPvRmT0_T1_T2_T3_T4_T5_mmT6_P12ihipStream_tbEUlT_E_NS1_11comp_targetILNS1_3genE2ELNS1_11target_archE906ELNS1_3gpuE6ELNS1_3repE0EEENS1_30default_config_static_selectorELNS0_4arch9wavefront6targetE0EEEvS10_,"axG",@progbits,_ZN7rocprim17ROCPRIM_400000_NS6detail17trampoline_kernelINS0_14default_configENS1_21merge_config_selectorINS0_5tupleIJttEEENS0_10empty_typeEEEZNS1_10merge_implIS3_NS0_12zip_iteratorINS5_IJN6thrust23THRUST_200600_302600_NS6detail15normal_iteratorINSC_10device_ptrIKtEEEESI_EEEEESK_NSA_INS5_IJNSE_INSF_ItEEEESM_EEEEEPS7_SP_SP_NSC_11hip_rocprim7__merge17predicate_wrapperIttNSC_4lessItEEEEEE10hipError_tPvRmT0_T1_T2_T3_T4_T5_mmT6_P12ihipStream_tbEUlT_E_NS1_11comp_targetILNS1_3genE2ELNS1_11target_archE906ELNS1_3gpuE6ELNS1_3repE0EEENS1_30default_config_static_selectorELNS0_4arch9wavefront6targetE0EEEvS10_,comdat
	.protected	_ZN7rocprim17ROCPRIM_400000_NS6detail17trampoline_kernelINS0_14default_configENS1_21merge_config_selectorINS0_5tupleIJttEEENS0_10empty_typeEEEZNS1_10merge_implIS3_NS0_12zip_iteratorINS5_IJN6thrust23THRUST_200600_302600_NS6detail15normal_iteratorINSC_10device_ptrIKtEEEESI_EEEEESK_NSA_INS5_IJNSE_INSF_ItEEEESM_EEEEEPS7_SP_SP_NSC_11hip_rocprim7__merge17predicate_wrapperIttNSC_4lessItEEEEEE10hipError_tPvRmT0_T1_T2_T3_T4_T5_mmT6_P12ihipStream_tbEUlT_E_NS1_11comp_targetILNS1_3genE2ELNS1_11target_archE906ELNS1_3gpuE6ELNS1_3repE0EEENS1_30default_config_static_selectorELNS0_4arch9wavefront6targetE0EEEvS10_ ; -- Begin function _ZN7rocprim17ROCPRIM_400000_NS6detail17trampoline_kernelINS0_14default_configENS1_21merge_config_selectorINS0_5tupleIJttEEENS0_10empty_typeEEEZNS1_10merge_implIS3_NS0_12zip_iteratorINS5_IJN6thrust23THRUST_200600_302600_NS6detail15normal_iteratorINSC_10device_ptrIKtEEEESI_EEEEESK_NSA_INS5_IJNSE_INSF_ItEEEESM_EEEEEPS7_SP_SP_NSC_11hip_rocprim7__merge17predicate_wrapperIttNSC_4lessItEEEEEE10hipError_tPvRmT0_T1_T2_T3_T4_T5_mmT6_P12ihipStream_tbEUlT_E_NS1_11comp_targetILNS1_3genE2ELNS1_11target_archE906ELNS1_3gpuE6ELNS1_3repE0EEENS1_30default_config_static_selectorELNS0_4arch9wavefront6targetE0EEEvS10_
	.globl	_ZN7rocprim17ROCPRIM_400000_NS6detail17trampoline_kernelINS0_14default_configENS1_21merge_config_selectorINS0_5tupleIJttEEENS0_10empty_typeEEEZNS1_10merge_implIS3_NS0_12zip_iteratorINS5_IJN6thrust23THRUST_200600_302600_NS6detail15normal_iteratorINSC_10device_ptrIKtEEEESI_EEEEESK_NSA_INS5_IJNSE_INSF_ItEEEESM_EEEEEPS7_SP_SP_NSC_11hip_rocprim7__merge17predicate_wrapperIttNSC_4lessItEEEEEE10hipError_tPvRmT0_T1_T2_T3_T4_T5_mmT6_P12ihipStream_tbEUlT_E_NS1_11comp_targetILNS1_3genE2ELNS1_11target_archE906ELNS1_3gpuE6ELNS1_3repE0EEENS1_30default_config_static_selectorELNS0_4arch9wavefront6targetE0EEEvS10_
	.p2align	8
	.type	_ZN7rocprim17ROCPRIM_400000_NS6detail17trampoline_kernelINS0_14default_configENS1_21merge_config_selectorINS0_5tupleIJttEEENS0_10empty_typeEEEZNS1_10merge_implIS3_NS0_12zip_iteratorINS5_IJN6thrust23THRUST_200600_302600_NS6detail15normal_iteratorINSC_10device_ptrIKtEEEESI_EEEEESK_NSA_INS5_IJNSE_INSF_ItEEEESM_EEEEEPS7_SP_SP_NSC_11hip_rocprim7__merge17predicate_wrapperIttNSC_4lessItEEEEEE10hipError_tPvRmT0_T1_T2_T3_T4_T5_mmT6_P12ihipStream_tbEUlT_E_NS1_11comp_targetILNS1_3genE2ELNS1_11target_archE906ELNS1_3gpuE6ELNS1_3repE0EEENS1_30default_config_static_selectorELNS0_4arch9wavefront6targetE0EEEvS10_,@function
_ZN7rocprim17ROCPRIM_400000_NS6detail17trampoline_kernelINS0_14default_configENS1_21merge_config_selectorINS0_5tupleIJttEEENS0_10empty_typeEEEZNS1_10merge_implIS3_NS0_12zip_iteratorINS5_IJN6thrust23THRUST_200600_302600_NS6detail15normal_iteratorINSC_10device_ptrIKtEEEESI_EEEEESK_NSA_INS5_IJNSE_INSF_ItEEEESM_EEEEEPS7_SP_SP_NSC_11hip_rocprim7__merge17predicate_wrapperIttNSC_4lessItEEEEEE10hipError_tPvRmT0_T1_T2_T3_T4_T5_mmT6_P12ihipStream_tbEUlT_E_NS1_11comp_targetILNS1_3genE2ELNS1_11target_archE906ELNS1_3gpuE6ELNS1_3repE0EEENS1_30default_config_static_selectorELNS0_4arch9wavefront6targetE0EEEvS10_: ; @_ZN7rocprim17ROCPRIM_400000_NS6detail17trampoline_kernelINS0_14default_configENS1_21merge_config_selectorINS0_5tupleIJttEEENS0_10empty_typeEEEZNS1_10merge_implIS3_NS0_12zip_iteratorINS5_IJN6thrust23THRUST_200600_302600_NS6detail15normal_iteratorINSC_10device_ptrIKtEEEESI_EEEEESK_NSA_INS5_IJNSE_INSF_ItEEEESM_EEEEEPS7_SP_SP_NSC_11hip_rocprim7__merge17predicate_wrapperIttNSC_4lessItEEEEEE10hipError_tPvRmT0_T1_T2_T3_T4_T5_mmT6_P12ihipStream_tbEUlT_E_NS1_11comp_targetILNS1_3genE2ELNS1_11target_archE906ELNS1_3gpuE6ELNS1_3repE0EEENS1_30default_config_static_selectorELNS0_4arch9wavefront6targetE0EEEvS10_
; %bb.0:
	.section	.rodata,"a",@progbits
	.p2align	6, 0x0
	.amdhsa_kernel _ZN7rocprim17ROCPRIM_400000_NS6detail17trampoline_kernelINS0_14default_configENS1_21merge_config_selectorINS0_5tupleIJttEEENS0_10empty_typeEEEZNS1_10merge_implIS3_NS0_12zip_iteratorINS5_IJN6thrust23THRUST_200600_302600_NS6detail15normal_iteratorINSC_10device_ptrIKtEEEESI_EEEEESK_NSA_INS5_IJNSE_INSF_ItEEEESM_EEEEEPS7_SP_SP_NSC_11hip_rocprim7__merge17predicate_wrapperIttNSC_4lessItEEEEEE10hipError_tPvRmT0_T1_T2_T3_T4_T5_mmT6_P12ihipStream_tbEUlT_E_NS1_11comp_targetILNS1_3genE2ELNS1_11target_archE906ELNS1_3gpuE6ELNS1_3repE0EEENS1_30default_config_static_selectorELNS0_4arch9wavefront6targetE0EEEvS10_
		.amdhsa_group_segment_fixed_size 0
		.amdhsa_private_segment_fixed_size 0
		.amdhsa_kernarg_size 64
		.amdhsa_user_sgpr_count 2
		.amdhsa_user_sgpr_dispatch_ptr 0
		.amdhsa_user_sgpr_queue_ptr 0
		.amdhsa_user_sgpr_kernarg_segment_ptr 1
		.amdhsa_user_sgpr_dispatch_id 0
		.amdhsa_user_sgpr_kernarg_preload_length 0
		.amdhsa_user_sgpr_kernarg_preload_offset 0
		.amdhsa_user_sgpr_private_segment_size 0
		.amdhsa_wavefront_size32 1
		.amdhsa_uses_dynamic_stack 0
		.amdhsa_enable_private_segment 0
		.amdhsa_system_sgpr_workgroup_id_x 1
		.amdhsa_system_sgpr_workgroup_id_y 0
		.amdhsa_system_sgpr_workgroup_id_z 0
		.amdhsa_system_sgpr_workgroup_info 0
		.amdhsa_system_vgpr_workitem_id 0
		.amdhsa_next_free_vgpr 1
		.amdhsa_next_free_sgpr 1
		.amdhsa_named_barrier_count 0
		.amdhsa_reserve_vcc 0
		.amdhsa_float_round_mode_32 0
		.amdhsa_float_round_mode_16_64 0
		.amdhsa_float_denorm_mode_32 3
		.amdhsa_float_denorm_mode_16_64 3
		.amdhsa_fp16_overflow 0
		.amdhsa_memory_ordered 1
		.amdhsa_forward_progress 1
		.amdhsa_inst_pref_size 0
		.amdhsa_round_robin_scheduling 0
		.amdhsa_exception_fp_ieee_invalid_op 0
		.amdhsa_exception_fp_denorm_src 0
		.amdhsa_exception_fp_ieee_div_zero 0
		.amdhsa_exception_fp_ieee_overflow 0
		.amdhsa_exception_fp_ieee_underflow 0
		.amdhsa_exception_fp_ieee_inexact 0
		.amdhsa_exception_int_div_zero 0
	.end_amdhsa_kernel
	.section	.text._ZN7rocprim17ROCPRIM_400000_NS6detail17trampoline_kernelINS0_14default_configENS1_21merge_config_selectorINS0_5tupleIJttEEENS0_10empty_typeEEEZNS1_10merge_implIS3_NS0_12zip_iteratorINS5_IJN6thrust23THRUST_200600_302600_NS6detail15normal_iteratorINSC_10device_ptrIKtEEEESI_EEEEESK_NSA_INS5_IJNSE_INSF_ItEEEESM_EEEEEPS7_SP_SP_NSC_11hip_rocprim7__merge17predicate_wrapperIttNSC_4lessItEEEEEE10hipError_tPvRmT0_T1_T2_T3_T4_T5_mmT6_P12ihipStream_tbEUlT_E_NS1_11comp_targetILNS1_3genE2ELNS1_11target_archE906ELNS1_3gpuE6ELNS1_3repE0EEENS1_30default_config_static_selectorELNS0_4arch9wavefront6targetE0EEEvS10_,"axG",@progbits,_ZN7rocprim17ROCPRIM_400000_NS6detail17trampoline_kernelINS0_14default_configENS1_21merge_config_selectorINS0_5tupleIJttEEENS0_10empty_typeEEEZNS1_10merge_implIS3_NS0_12zip_iteratorINS5_IJN6thrust23THRUST_200600_302600_NS6detail15normal_iteratorINSC_10device_ptrIKtEEEESI_EEEEESK_NSA_INS5_IJNSE_INSF_ItEEEESM_EEEEEPS7_SP_SP_NSC_11hip_rocprim7__merge17predicate_wrapperIttNSC_4lessItEEEEEE10hipError_tPvRmT0_T1_T2_T3_T4_T5_mmT6_P12ihipStream_tbEUlT_E_NS1_11comp_targetILNS1_3genE2ELNS1_11target_archE906ELNS1_3gpuE6ELNS1_3repE0EEENS1_30default_config_static_selectorELNS0_4arch9wavefront6targetE0EEEvS10_,comdat
.Lfunc_end174:
	.size	_ZN7rocprim17ROCPRIM_400000_NS6detail17trampoline_kernelINS0_14default_configENS1_21merge_config_selectorINS0_5tupleIJttEEENS0_10empty_typeEEEZNS1_10merge_implIS3_NS0_12zip_iteratorINS5_IJN6thrust23THRUST_200600_302600_NS6detail15normal_iteratorINSC_10device_ptrIKtEEEESI_EEEEESK_NSA_INS5_IJNSE_INSF_ItEEEESM_EEEEEPS7_SP_SP_NSC_11hip_rocprim7__merge17predicate_wrapperIttNSC_4lessItEEEEEE10hipError_tPvRmT0_T1_T2_T3_T4_T5_mmT6_P12ihipStream_tbEUlT_E_NS1_11comp_targetILNS1_3genE2ELNS1_11target_archE906ELNS1_3gpuE6ELNS1_3repE0EEENS1_30default_config_static_selectorELNS0_4arch9wavefront6targetE0EEEvS10_, .Lfunc_end174-_ZN7rocprim17ROCPRIM_400000_NS6detail17trampoline_kernelINS0_14default_configENS1_21merge_config_selectorINS0_5tupleIJttEEENS0_10empty_typeEEEZNS1_10merge_implIS3_NS0_12zip_iteratorINS5_IJN6thrust23THRUST_200600_302600_NS6detail15normal_iteratorINSC_10device_ptrIKtEEEESI_EEEEESK_NSA_INS5_IJNSE_INSF_ItEEEESM_EEEEEPS7_SP_SP_NSC_11hip_rocprim7__merge17predicate_wrapperIttNSC_4lessItEEEEEE10hipError_tPvRmT0_T1_T2_T3_T4_T5_mmT6_P12ihipStream_tbEUlT_E_NS1_11comp_targetILNS1_3genE2ELNS1_11target_archE906ELNS1_3gpuE6ELNS1_3repE0EEENS1_30default_config_static_selectorELNS0_4arch9wavefront6targetE0EEEvS10_
                                        ; -- End function
	.set _ZN7rocprim17ROCPRIM_400000_NS6detail17trampoline_kernelINS0_14default_configENS1_21merge_config_selectorINS0_5tupleIJttEEENS0_10empty_typeEEEZNS1_10merge_implIS3_NS0_12zip_iteratorINS5_IJN6thrust23THRUST_200600_302600_NS6detail15normal_iteratorINSC_10device_ptrIKtEEEESI_EEEEESK_NSA_INS5_IJNSE_INSF_ItEEEESM_EEEEEPS7_SP_SP_NSC_11hip_rocprim7__merge17predicate_wrapperIttNSC_4lessItEEEEEE10hipError_tPvRmT0_T1_T2_T3_T4_T5_mmT6_P12ihipStream_tbEUlT_E_NS1_11comp_targetILNS1_3genE2ELNS1_11target_archE906ELNS1_3gpuE6ELNS1_3repE0EEENS1_30default_config_static_selectorELNS0_4arch9wavefront6targetE0EEEvS10_.num_vgpr, 0
	.set _ZN7rocprim17ROCPRIM_400000_NS6detail17trampoline_kernelINS0_14default_configENS1_21merge_config_selectorINS0_5tupleIJttEEENS0_10empty_typeEEEZNS1_10merge_implIS3_NS0_12zip_iteratorINS5_IJN6thrust23THRUST_200600_302600_NS6detail15normal_iteratorINSC_10device_ptrIKtEEEESI_EEEEESK_NSA_INS5_IJNSE_INSF_ItEEEESM_EEEEEPS7_SP_SP_NSC_11hip_rocprim7__merge17predicate_wrapperIttNSC_4lessItEEEEEE10hipError_tPvRmT0_T1_T2_T3_T4_T5_mmT6_P12ihipStream_tbEUlT_E_NS1_11comp_targetILNS1_3genE2ELNS1_11target_archE906ELNS1_3gpuE6ELNS1_3repE0EEENS1_30default_config_static_selectorELNS0_4arch9wavefront6targetE0EEEvS10_.num_agpr, 0
	.set _ZN7rocprim17ROCPRIM_400000_NS6detail17trampoline_kernelINS0_14default_configENS1_21merge_config_selectorINS0_5tupleIJttEEENS0_10empty_typeEEEZNS1_10merge_implIS3_NS0_12zip_iteratorINS5_IJN6thrust23THRUST_200600_302600_NS6detail15normal_iteratorINSC_10device_ptrIKtEEEESI_EEEEESK_NSA_INS5_IJNSE_INSF_ItEEEESM_EEEEEPS7_SP_SP_NSC_11hip_rocprim7__merge17predicate_wrapperIttNSC_4lessItEEEEEE10hipError_tPvRmT0_T1_T2_T3_T4_T5_mmT6_P12ihipStream_tbEUlT_E_NS1_11comp_targetILNS1_3genE2ELNS1_11target_archE906ELNS1_3gpuE6ELNS1_3repE0EEENS1_30default_config_static_selectorELNS0_4arch9wavefront6targetE0EEEvS10_.numbered_sgpr, 0
	.set _ZN7rocprim17ROCPRIM_400000_NS6detail17trampoline_kernelINS0_14default_configENS1_21merge_config_selectorINS0_5tupleIJttEEENS0_10empty_typeEEEZNS1_10merge_implIS3_NS0_12zip_iteratorINS5_IJN6thrust23THRUST_200600_302600_NS6detail15normal_iteratorINSC_10device_ptrIKtEEEESI_EEEEESK_NSA_INS5_IJNSE_INSF_ItEEEESM_EEEEEPS7_SP_SP_NSC_11hip_rocprim7__merge17predicate_wrapperIttNSC_4lessItEEEEEE10hipError_tPvRmT0_T1_T2_T3_T4_T5_mmT6_P12ihipStream_tbEUlT_E_NS1_11comp_targetILNS1_3genE2ELNS1_11target_archE906ELNS1_3gpuE6ELNS1_3repE0EEENS1_30default_config_static_selectorELNS0_4arch9wavefront6targetE0EEEvS10_.num_named_barrier, 0
	.set _ZN7rocprim17ROCPRIM_400000_NS6detail17trampoline_kernelINS0_14default_configENS1_21merge_config_selectorINS0_5tupleIJttEEENS0_10empty_typeEEEZNS1_10merge_implIS3_NS0_12zip_iteratorINS5_IJN6thrust23THRUST_200600_302600_NS6detail15normal_iteratorINSC_10device_ptrIKtEEEESI_EEEEESK_NSA_INS5_IJNSE_INSF_ItEEEESM_EEEEEPS7_SP_SP_NSC_11hip_rocprim7__merge17predicate_wrapperIttNSC_4lessItEEEEEE10hipError_tPvRmT0_T1_T2_T3_T4_T5_mmT6_P12ihipStream_tbEUlT_E_NS1_11comp_targetILNS1_3genE2ELNS1_11target_archE906ELNS1_3gpuE6ELNS1_3repE0EEENS1_30default_config_static_selectorELNS0_4arch9wavefront6targetE0EEEvS10_.private_seg_size, 0
	.set _ZN7rocprim17ROCPRIM_400000_NS6detail17trampoline_kernelINS0_14default_configENS1_21merge_config_selectorINS0_5tupleIJttEEENS0_10empty_typeEEEZNS1_10merge_implIS3_NS0_12zip_iteratorINS5_IJN6thrust23THRUST_200600_302600_NS6detail15normal_iteratorINSC_10device_ptrIKtEEEESI_EEEEESK_NSA_INS5_IJNSE_INSF_ItEEEESM_EEEEEPS7_SP_SP_NSC_11hip_rocprim7__merge17predicate_wrapperIttNSC_4lessItEEEEEE10hipError_tPvRmT0_T1_T2_T3_T4_T5_mmT6_P12ihipStream_tbEUlT_E_NS1_11comp_targetILNS1_3genE2ELNS1_11target_archE906ELNS1_3gpuE6ELNS1_3repE0EEENS1_30default_config_static_selectorELNS0_4arch9wavefront6targetE0EEEvS10_.uses_vcc, 0
	.set _ZN7rocprim17ROCPRIM_400000_NS6detail17trampoline_kernelINS0_14default_configENS1_21merge_config_selectorINS0_5tupleIJttEEENS0_10empty_typeEEEZNS1_10merge_implIS3_NS0_12zip_iteratorINS5_IJN6thrust23THRUST_200600_302600_NS6detail15normal_iteratorINSC_10device_ptrIKtEEEESI_EEEEESK_NSA_INS5_IJNSE_INSF_ItEEEESM_EEEEEPS7_SP_SP_NSC_11hip_rocprim7__merge17predicate_wrapperIttNSC_4lessItEEEEEE10hipError_tPvRmT0_T1_T2_T3_T4_T5_mmT6_P12ihipStream_tbEUlT_E_NS1_11comp_targetILNS1_3genE2ELNS1_11target_archE906ELNS1_3gpuE6ELNS1_3repE0EEENS1_30default_config_static_selectorELNS0_4arch9wavefront6targetE0EEEvS10_.uses_flat_scratch, 0
	.set _ZN7rocprim17ROCPRIM_400000_NS6detail17trampoline_kernelINS0_14default_configENS1_21merge_config_selectorINS0_5tupleIJttEEENS0_10empty_typeEEEZNS1_10merge_implIS3_NS0_12zip_iteratorINS5_IJN6thrust23THRUST_200600_302600_NS6detail15normal_iteratorINSC_10device_ptrIKtEEEESI_EEEEESK_NSA_INS5_IJNSE_INSF_ItEEEESM_EEEEEPS7_SP_SP_NSC_11hip_rocprim7__merge17predicate_wrapperIttNSC_4lessItEEEEEE10hipError_tPvRmT0_T1_T2_T3_T4_T5_mmT6_P12ihipStream_tbEUlT_E_NS1_11comp_targetILNS1_3genE2ELNS1_11target_archE906ELNS1_3gpuE6ELNS1_3repE0EEENS1_30default_config_static_selectorELNS0_4arch9wavefront6targetE0EEEvS10_.has_dyn_sized_stack, 0
	.set _ZN7rocprim17ROCPRIM_400000_NS6detail17trampoline_kernelINS0_14default_configENS1_21merge_config_selectorINS0_5tupleIJttEEENS0_10empty_typeEEEZNS1_10merge_implIS3_NS0_12zip_iteratorINS5_IJN6thrust23THRUST_200600_302600_NS6detail15normal_iteratorINSC_10device_ptrIKtEEEESI_EEEEESK_NSA_INS5_IJNSE_INSF_ItEEEESM_EEEEEPS7_SP_SP_NSC_11hip_rocprim7__merge17predicate_wrapperIttNSC_4lessItEEEEEE10hipError_tPvRmT0_T1_T2_T3_T4_T5_mmT6_P12ihipStream_tbEUlT_E_NS1_11comp_targetILNS1_3genE2ELNS1_11target_archE906ELNS1_3gpuE6ELNS1_3repE0EEENS1_30default_config_static_selectorELNS0_4arch9wavefront6targetE0EEEvS10_.has_recursion, 0
	.set _ZN7rocprim17ROCPRIM_400000_NS6detail17trampoline_kernelINS0_14default_configENS1_21merge_config_selectorINS0_5tupleIJttEEENS0_10empty_typeEEEZNS1_10merge_implIS3_NS0_12zip_iteratorINS5_IJN6thrust23THRUST_200600_302600_NS6detail15normal_iteratorINSC_10device_ptrIKtEEEESI_EEEEESK_NSA_INS5_IJNSE_INSF_ItEEEESM_EEEEEPS7_SP_SP_NSC_11hip_rocprim7__merge17predicate_wrapperIttNSC_4lessItEEEEEE10hipError_tPvRmT0_T1_T2_T3_T4_T5_mmT6_P12ihipStream_tbEUlT_E_NS1_11comp_targetILNS1_3genE2ELNS1_11target_archE906ELNS1_3gpuE6ELNS1_3repE0EEENS1_30default_config_static_selectorELNS0_4arch9wavefront6targetE0EEEvS10_.has_indirect_call, 0
	.section	.AMDGPU.csdata,"",@progbits
; Kernel info:
; codeLenInByte = 0
; TotalNumSgprs: 0
; NumVgprs: 0
; ScratchSize: 0
; MemoryBound: 0
; FloatMode: 240
; IeeeMode: 1
; LDSByteSize: 0 bytes/workgroup (compile time only)
; SGPRBlocks: 0
; VGPRBlocks: 0
; NumSGPRsForWavesPerEU: 1
; NumVGPRsForWavesPerEU: 1
; NamedBarCnt: 0
; Occupancy: 16
; WaveLimiterHint : 0
; COMPUTE_PGM_RSRC2:SCRATCH_EN: 0
; COMPUTE_PGM_RSRC2:USER_SGPR: 2
; COMPUTE_PGM_RSRC2:TRAP_HANDLER: 0
; COMPUTE_PGM_RSRC2:TGID_X_EN: 1
; COMPUTE_PGM_RSRC2:TGID_Y_EN: 0
; COMPUTE_PGM_RSRC2:TGID_Z_EN: 0
; COMPUTE_PGM_RSRC2:TIDIG_COMP_CNT: 0
	.section	.text._ZN7rocprim17ROCPRIM_400000_NS6detail17trampoline_kernelINS0_14default_configENS1_21merge_config_selectorINS0_5tupleIJttEEENS0_10empty_typeEEEZNS1_10merge_implIS3_NS0_12zip_iteratorINS5_IJN6thrust23THRUST_200600_302600_NS6detail15normal_iteratorINSC_10device_ptrIKtEEEESI_EEEEESK_NSA_INS5_IJNSE_INSF_ItEEEESM_EEEEEPS7_SP_SP_NSC_11hip_rocprim7__merge17predicate_wrapperIttNSC_4lessItEEEEEE10hipError_tPvRmT0_T1_T2_T3_T4_T5_mmT6_P12ihipStream_tbEUlT_E_NS1_11comp_targetILNS1_3genE10ELNS1_11target_archE1201ELNS1_3gpuE5ELNS1_3repE0EEENS1_30default_config_static_selectorELNS0_4arch9wavefront6targetE0EEEvS10_,"axG",@progbits,_ZN7rocprim17ROCPRIM_400000_NS6detail17trampoline_kernelINS0_14default_configENS1_21merge_config_selectorINS0_5tupleIJttEEENS0_10empty_typeEEEZNS1_10merge_implIS3_NS0_12zip_iteratorINS5_IJN6thrust23THRUST_200600_302600_NS6detail15normal_iteratorINSC_10device_ptrIKtEEEESI_EEEEESK_NSA_INS5_IJNSE_INSF_ItEEEESM_EEEEEPS7_SP_SP_NSC_11hip_rocprim7__merge17predicate_wrapperIttNSC_4lessItEEEEEE10hipError_tPvRmT0_T1_T2_T3_T4_T5_mmT6_P12ihipStream_tbEUlT_E_NS1_11comp_targetILNS1_3genE10ELNS1_11target_archE1201ELNS1_3gpuE5ELNS1_3repE0EEENS1_30default_config_static_selectorELNS0_4arch9wavefront6targetE0EEEvS10_,comdat
	.protected	_ZN7rocprim17ROCPRIM_400000_NS6detail17trampoline_kernelINS0_14default_configENS1_21merge_config_selectorINS0_5tupleIJttEEENS0_10empty_typeEEEZNS1_10merge_implIS3_NS0_12zip_iteratorINS5_IJN6thrust23THRUST_200600_302600_NS6detail15normal_iteratorINSC_10device_ptrIKtEEEESI_EEEEESK_NSA_INS5_IJNSE_INSF_ItEEEESM_EEEEEPS7_SP_SP_NSC_11hip_rocprim7__merge17predicate_wrapperIttNSC_4lessItEEEEEE10hipError_tPvRmT0_T1_T2_T3_T4_T5_mmT6_P12ihipStream_tbEUlT_E_NS1_11comp_targetILNS1_3genE10ELNS1_11target_archE1201ELNS1_3gpuE5ELNS1_3repE0EEENS1_30default_config_static_selectorELNS0_4arch9wavefront6targetE0EEEvS10_ ; -- Begin function _ZN7rocprim17ROCPRIM_400000_NS6detail17trampoline_kernelINS0_14default_configENS1_21merge_config_selectorINS0_5tupleIJttEEENS0_10empty_typeEEEZNS1_10merge_implIS3_NS0_12zip_iteratorINS5_IJN6thrust23THRUST_200600_302600_NS6detail15normal_iteratorINSC_10device_ptrIKtEEEESI_EEEEESK_NSA_INS5_IJNSE_INSF_ItEEEESM_EEEEEPS7_SP_SP_NSC_11hip_rocprim7__merge17predicate_wrapperIttNSC_4lessItEEEEEE10hipError_tPvRmT0_T1_T2_T3_T4_T5_mmT6_P12ihipStream_tbEUlT_E_NS1_11comp_targetILNS1_3genE10ELNS1_11target_archE1201ELNS1_3gpuE5ELNS1_3repE0EEENS1_30default_config_static_selectorELNS0_4arch9wavefront6targetE0EEEvS10_
	.globl	_ZN7rocprim17ROCPRIM_400000_NS6detail17trampoline_kernelINS0_14default_configENS1_21merge_config_selectorINS0_5tupleIJttEEENS0_10empty_typeEEEZNS1_10merge_implIS3_NS0_12zip_iteratorINS5_IJN6thrust23THRUST_200600_302600_NS6detail15normal_iteratorINSC_10device_ptrIKtEEEESI_EEEEESK_NSA_INS5_IJNSE_INSF_ItEEEESM_EEEEEPS7_SP_SP_NSC_11hip_rocprim7__merge17predicate_wrapperIttNSC_4lessItEEEEEE10hipError_tPvRmT0_T1_T2_T3_T4_T5_mmT6_P12ihipStream_tbEUlT_E_NS1_11comp_targetILNS1_3genE10ELNS1_11target_archE1201ELNS1_3gpuE5ELNS1_3repE0EEENS1_30default_config_static_selectorELNS0_4arch9wavefront6targetE0EEEvS10_
	.p2align	8
	.type	_ZN7rocprim17ROCPRIM_400000_NS6detail17trampoline_kernelINS0_14default_configENS1_21merge_config_selectorINS0_5tupleIJttEEENS0_10empty_typeEEEZNS1_10merge_implIS3_NS0_12zip_iteratorINS5_IJN6thrust23THRUST_200600_302600_NS6detail15normal_iteratorINSC_10device_ptrIKtEEEESI_EEEEESK_NSA_INS5_IJNSE_INSF_ItEEEESM_EEEEEPS7_SP_SP_NSC_11hip_rocprim7__merge17predicate_wrapperIttNSC_4lessItEEEEEE10hipError_tPvRmT0_T1_T2_T3_T4_T5_mmT6_P12ihipStream_tbEUlT_E_NS1_11comp_targetILNS1_3genE10ELNS1_11target_archE1201ELNS1_3gpuE5ELNS1_3repE0EEENS1_30default_config_static_selectorELNS0_4arch9wavefront6targetE0EEEvS10_,@function
_ZN7rocprim17ROCPRIM_400000_NS6detail17trampoline_kernelINS0_14default_configENS1_21merge_config_selectorINS0_5tupleIJttEEENS0_10empty_typeEEEZNS1_10merge_implIS3_NS0_12zip_iteratorINS5_IJN6thrust23THRUST_200600_302600_NS6detail15normal_iteratorINSC_10device_ptrIKtEEEESI_EEEEESK_NSA_INS5_IJNSE_INSF_ItEEEESM_EEEEEPS7_SP_SP_NSC_11hip_rocprim7__merge17predicate_wrapperIttNSC_4lessItEEEEEE10hipError_tPvRmT0_T1_T2_T3_T4_T5_mmT6_P12ihipStream_tbEUlT_E_NS1_11comp_targetILNS1_3genE10ELNS1_11target_archE1201ELNS1_3gpuE5ELNS1_3repE0EEENS1_30default_config_static_selectorELNS0_4arch9wavefront6targetE0EEEvS10_: ; @_ZN7rocprim17ROCPRIM_400000_NS6detail17trampoline_kernelINS0_14default_configENS1_21merge_config_selectorINS0_5tupleIJttEEENS0_10empty_typeEEEZNS1_10merge_implIS3_NS0_12zip_iteratorINS5_IJN6thrust23THRUST_200600_302600_NS6detail15normal_iteratorINSC_10device_ptrIKtEEEESI_EEEEESK_NSA_INS5_IJNSE_INSF_ItEEEESM_EEEEEPS7_SP_SP_NSC_11hip_rocprim7__merge17predicate_wrapperIttNSC_4lessItEEEEEE10hipError_tPvRmT0_T1_T2_T3_T4_T5_mmT6_P12ihipStream_tbEUlT_E_NS1_11comp_targetILNS1_3genE10ELNS1_11target_archE1201ELNS1_3gpuE5ELNS1_3repE0EEENS1_30default_config_static_selectorELNS0_4arch9wavefront6targetE0EEEvS10_
; %bb.0:
	.section	.rodata,"a",@progbits
	.p2align	6, 0x0
	.amdhsa_kernel _ZN7rocprim17ROCPRIM_400000_NS6detail17trampoline_kernelINS0_14default_configENS1_21merge_config_selectorINS0_5tupleIJttEEENS0_10empty_typeEEEZNS1_10merge_implIS3_NS0_12zip_iteratorINS5_IJN6thrust23THRUST_200600_302600_NS6detail15normal_iteratorINSC_10device_ptrIKtEEEESI_EEEEESK_NSA_INS5_IJNSE_INSF_ItEEEESM_EEEEEPS7_SP_SP_NSC_11hip_rocprim7__merge17predicate_wrapperIttNSC_4lessItEEEEEE10hipError_tPvRmT0_T1_T2_T3_T4_T5_mmT6_P12ihipStream_tbEUlT_E_NS1_11comp_targetILNS1_3genE10ELNS1_11target_archE1201ELNS1_3gpuE5ELNS1_3repE0EEENS1_30default_config_static_selectorELNS0_4arch9wavefront6targetE0EEEvS10_
		.amdhsa_group_segment_fixed_size 0
		.amdhsa_private_segment_fixed_size 0
		.amdhsa_kernarg_size 64
		.amdhsa_user_sgpr_count 2
		.amdhsa_user_sgpr_dispatch_ptr 0
		.amdhsa_user_sgpr_queue_ptr 0
		.amdhsa_user_sgpr_kernarg_segment_ptr 1
		.amdhsa_user_sgpr_dispatch_id 0
		.amdhsa_user_sgpr_kernarg_preload_length 0
		.amdhsa_user_sgpr_kernarg_preload_offset 0
		.amdhsa_user_sgpr_private_segment_size 0
		.amdhsa_wavefront_size32 1
		.amdhsa_uses_dynamic_stack 0
		.amdhsa_enable_private_segment 0
		.amdhsa_system_sgpr_workgroup_id_x 1
		.amdhsa_system_sgpr_workgroup_id_y 0
		.amdhsa_system_sgpr_workgroup_id_z 0
		.amdhsa_system_sgpr_workgroup_info 0
		.amdhsa_system_vgpr_workitem_id 0
		.amdhsa_next_free_vgpr 1
		.amdhsa_next_free_sgpr 1
		.amdhsa_named_barrier_count 0
		.amdhsa_reserve_vcc 0
		.amdhsa_float_round_mode_32 0
		.amdhsa_float_round_mode_16_64 0
		.amdhsa_float_denorm_mode_32 3
		.amdhsa_float_denorm_mode_16_64 3
		.amdhsa_fp16_overflow 0
		.amdhsa_memory_ordered 1
		.amdhsa_forward_progress 1
		.amdhsa_inst_pref_size 0
		.amdhsa_round_robin_scheduling 0
		.amdhsa_exception_fp_ieee_invalid_op 0
		.amdhsa_exception_fp_denorm_src 0
		.amdhsa_exception_fp_ieee_div_zero 0
		.amdhsa_exception_fp_ieee_overflow 0
		.amdhsa_exception_fp_ieee_underflow 0
		.amdhsa_exception_fp_ieee_inexact 0
		.amdhsa_exception_int_div_zero 0
	.end_amdhsa_kernel
	.section	.text._ZN7rocprim17ROCPRIM_400000_NS6detail17trampoline_kernelINS0_14default_configENS1_21merge_config_selectorINS0_5tupleIJttEEENS0_10empty_typeEEEZNS1_10merge_implIS3_NS0_12zip_iteratorINS5_IJN6thrust23THRUST_200600_302600_NS6detail15normal_iteratorINSC_10device_ptrIKtEEEESI_EEEEESK_NSA_INS5_IJNSE_INSF_ItEEEESM_EEEEEPS7_SP_SP_NSC_11hip_rocprim7__merge17predicate_wrapperIttNSC_4lessItEEEEEE10hipError_tPvRmT0_T1_T2_T3_T4_T5_mmT6_P12ihipStream_tbEUlT_E_NS1_11comp_targetILNS1_3genE10ELNS1_11target_archE1201ELNS1_3gpuE5ELNS1_3repE0EEENS1_30default_config_static_selectorELNS0_4arch9wavefront6targetE0EEEvS10_,"axG",@progbits,_ZN7rocprim17ROCPRIM_400000_NS6detail17trampoline_kernelINS0_14default_configENS1_21merge_config_selectorINS0_5tupleIJttEEENS0_10empty_typeEEEZNS1_10merge_implIS3_NS0_12zip_iteratorINS5_IJN6thrust23THRUST_200600_302600_NS6detail15normal_iteratorINSC_10device_ptrIKtEEEESI_EEEEESK_NSA_INS5_IJNSE_INSF_ItEEEESM_EEEEEPS7_SP_SP_NSC_11hip_rocprim7__merge17predicate_wrapperIttNSC_4lessItEEEEEE10hipError_tPvRmT0_T1_T2_T3_T4_T5_mmT6_P12ihipStream_tbEUlT_E_NS1_11comp_targetILNS1_3genE10ELNS1_11target_archE1201ELNS1_3gpuE5ELNS1_3repE0EEENS1_30default_config_static_selectorELNS0_4arch9wavefront6targetE0EEEvS10_,comdat
.Lfunc_end175:
	.size	_ZN7rocprim17ROCPRIM_400000_NS6detail17trampoline_kernelINS0_14default_configENS1_21merge_config_selectorINS0_5tupleIJttEEENS0_10empty_typeEEEZNS1_10merge_implIS3_NS0_12zip_iteratorINS5_IJN6thrust23THRUST_200600_302600_NS6detail15normal_iteratorINSC_10device_ptrIKtEEEESI_EEEEESK_NSA_INS5_IJNSE_INSF_ItEEEESM_EEEEEPS7_SP_SP_NSC_11hip_rocprim7__merge17predicate_wrapperIttNSC_4lessItEEEEEE10hipError_tPvRmT0_T1_T2_T3_T4_T5_mmT6_P12ihipStream_tbEUlT_E_NS1_11comp_targetILNS1_3genE10ELNS1_11target_archE1201ELNS1_3gpuE5ELNS1_3repE0EEENS1_30default_config_static_selectorELNS0_4arch9wavefront6targetE0EEEvS10_, .Lfunc_end175-_ZN7rocprim17ROCPRIM_400000_NS6detail17trampoline_kernelINS0_14default_configENS1_21merge_config_selectorINS0_5tupleIJttEEENS0_10empty_typeEEEZNS1_10merge_implIS3_NS0_12zip_iteratorINS5_IJN6thrust23THRUST_200600_302600_NS6detail15normal_iteratorINSC_10device_ptrIKtEEEESI_EEEEESK_NSA_INS5_IJNSE_INSF_ItEEEESM_EEEEEPS7_SP_SP_NSC_11hip_rocprim7__merge17predicate_wrapperIttNSC_4lessItEEEEEE10hipError_tPvRmT0_T1_T2_T3_T4_T5_mmT6_P12ihipStream_tbEUlT_E_NS1_11comp_targetILNS1_3genE10ELNS1_11target_archE1201ELNS1_3gpuE5ELNS1_3repE0EEENS1_30default_config_static_selectorELNS0_4arch9wavefront6targetE0EEEvS10_
                                        ; -- End function
	.set _ZN7rocprim17ROCPRIM_400000_NS6detail17trampoline_kernelINS0_14default_configENS1_21merge_config_selectorINS0_5tupleIJttEEENS0_10empty_typeEEEZNS1_10merge_implIS3_NS0_12zip_iteratorINS5_IJN6thrust23THRUST_200600_302600_NS6detail15normal_iteratorINSC_10device_ptrIKtEEEESI_EEEEESK_NSA_INS5_IJNSE_INSF_ItEEEESM_EEEEEPS7_SP_SP_NSC_11hip_rocprim7__merge17predicate_wrapperIttNSC_4lessItEEEEEE10hipError_tPvRmT0_T1_T2_T3_T4_T5_mmT6_P12ihipStream_tbEUlT_E_NS1_11comp_targetILNS1_3genE10ELNS1_11target_archE1201ELNS1_3gpuE5ELNS1_3repE0EEENS1_30default_config_static_selectorELNS0_4arch9wavefront6targetE0EEEvS10_.num_vgpr, 0
	.set _ZN7rocprim17ROCPRIM_400000_NS6detail17trampoline_kernelINS0_14default_configENS1_21merge_config_selectorINS0_5tupleIJttEEENS0_10empty_typeEEEZNS1_10merge_implIS3_NS0_12zip_iteratorINS5_IJN6thrust23THRUST_200600_302600_NS6detail15normal_iteratorINSC_10device_ptrIKtEEEESI_EEEEESK_NSA_INS5_IJNSE_INSF_ItEEEESM_EEEEEPS7_SP_SP_NSC_11hip_rocprim7__merge17predicate_wrapperIttNSC_4lessItEEEEEE10hipError_tPvRmT0_T1_T2_T3_T4_T5_mmT6_P12ihipStream_tbEUlT_E_NS1_11comp_targetILNS1_3genE10ELNS1_11target_archE1201ELNS1_3gpuE5ELNS1_3repE0EEENS1_30default_config_static_selectorELNS0_4arch9wavefront6targetE0EEEvS10_.num_agpr, 0
	.set _ZN7rocprim17ROCPRIM_400000_NS6detail17trampoline_kernelINS0_14default_configENS1_21merge_config_selectorINS0_5tupleIJttEEENS0_10empty_typeEEEZNS1_10merge_implIS3_NS0_12zip_iteratorINS5_IJN6thrust23THRUST_200600_302600_NS6detail15normal_iteratorINSC_10device_ptrIKtEEEESI_EEEEESK_NSA_INS5_IJNSE_INSF_ItEEEESM_EEEEEPS7_SP_SP_NSC_11hip_rocprim7__merge17predicate_wrapperIttNSC_4lessItEEEEEE10hipError_tPvRmT0_T1_T2_T3_T4_T5_mmT6_P12ihipStream_tbEUlT_E_NS1_11comp_targetILNS1_3genE10ELNS1_11target_archE1201ELNS1_3gpuE5ELNS1_3repE0EEENS1_30default_config_static_selectorELNS0_4arch9wavefront6targetE0EEEvS10_.numbered_sgpr, 0
	.set _ZN7rocprim17ROCPRIM_400000_NS6detail17trampoline_kernelINS0_14default_configENS1_21merge_config_selectorINS0_5tupleIJttEEENS0_10empty_typeEEEZNS1_10merge_implIS3_NS0_12zip_iteratorINS5_IJN6thrust23THRUST_200600_302600_NS6detail15normal_iteratorINSC_10device_ptrIKtEEEESI_EEEEESK_NSA_INS5_IJNSE_INSF_ItEEEESM_EEEEEPS7_SP_SP_NSC_11hip_rocprim7__merge17predicate_wrapperIttNSC_4lessItEEEEEE10hipError_tPvRmT0_T1_T2_T3_T4_T5_mmT6_P12ihipStream_tbEUlT_E_NS1_11comp_targetILNS1_3genE10ELNS1_11target_archE1201ELNS1_3gpuE5ELNS1_3repE0EEENS1_30default_config_static_selectorELNS0_4arch9wavefront6targetE0EEEvS10_.num_named_barrier, 0
	.set _ZN7rocprim17ROCPRIM_400000_NS6detail17trampoline_kernelINS0_14default_configENS1_21merge_config_selectorINS0_5tupleIJttEEENS0_10empty_typeEEEZNS1_10merge_implIS3_NS0_12zip_iteratorINS5_IJN6thrust23THRUST_200600_302600_NS6detail15normal_iteratorINSC_10device_ptrIKtEEEESI_EEEEESK_NSA_INS5_IJNSE_INSF_ItEEEESM_EEEEEPS7_SP_SP_NSC_11hip_rocprim7__merge17predicate_wrapperIttNSC_4lessItEEEEEE10hipError_tPvRmT0_T1_T2_T3_T4_T5_mmT6_P12ihipStream_tbEUlT_E_NS1_11comp_targetILNS1_3genE10ELNS1_11target_archE1201ELNS1_3gpuE5ELNS1_3repE0EEENS1_30default_config_static_selectorELNS0_4arch9wavefront6targetE0EEEvS10_.private_seg_size, 0
	.set _ZN7rocprim17ROCPRIM_400000_NS6detail17trampoline_kernelINS0_14default_configENS1_21merge_config_selectorINS0_5tupleIJttEEENS0_10empty_typeEEEZNS1_10merge_implIS3_NS0_12zip_iteratorINS5_IJN6thrust23THRUST_200600_302600_NS6detail15normal_iteratorINSC_10device_ptrIKtEEEESI_EEEEESK_NSA_INS5_IJNSE_INSF_ItEEEESM_EEEEEPS7_SP_SP_NSC_11hip_rocprim7__merge17predicate_wrapperIttNSC_4lessItEEEEEE10hipError_tPvRmT0_T1_T2_T3_T4_T5_mmT6_P12ihipStream_tbEUlT_E_NS1_11comp_targetILNS1_3genE10ELNS1_11target_archE1201ELNS1_3gpuE5ELNS1_3repE0EEENS1_30default_config_static_selectorELNS0_4arch9wavefront6targetE0EEEvS10_.uses_vcc, 0
	.set _ZN7rocprim17ROCPRIM_400000_NS6detail17trampoline_kernelINS0_14default_configENS1_21merge_config_selectorINS0_5tupleIJttEEENS0_10empty_typeEEEZNS1_10merge_implIS3_NS0_12zip_iteratorINS5_IJN6thrust23THRUST_200600_302600_NS6detail15normal_iteratorINSC_10device_ptrIKtEEEESI_EEEEESK_NSA_INS5_IJNSE_INSF_ItEEEESM_EEEEEPS7_SP_SP_NSC_11hip_rocprim7__merge17predicate_wrapperIttNSC_4lessItEEEEEE10hipError_tPvRmT0_T1_T2_T3_T4_T5_mmT6_P12ihipStream_tbEUlT_E_NS1_11comp_targetILNS1_3genE10ELNS1_11target_archE1201ELNS1_3gpuE5ELNS1_3repE0EEENS1_30default_config_static_selectorELNS0_4arch9wavefront6targetE0EEEvS10_.uses_flat_scratch, 0
	.set _ZN7rocprim17ROCPRIM_400000_NS6detail17trampoline_kernelINS0_14default_configENS1_21merge_config_selectorINS0_5tupleIJttEEENS0_10empty_typeEEEZNS1_10merge_implIS3_NS0_12zip_iteratorINS5_IJN6thrust23THRUST_200600_302600_NS6detail15normal_iteratorINSC_10device_ptrIKtEEEESI_EEEEESK_NSA_INS5_IJNSE_INSF_ItEEEESM_EEEEEPS7_SP_SP_NSC_11hip_rocprim7__merge17predicate_wrapperIttNSC_4lessItEEEEEE10hipError_tPvRmT0_T1_T2_T3_T4_T5_mmT6_P12ihipStream_tbEUlT_E_NS1_11comp_targetILNS1_3genE10ELNS1_11target_archE1201ELNS1_3gpuE5ELNS1_3repE0EEENS1_30default_config_static_selectorELNS0_4arch9wavefront6targetE0EEEvS10_.has_dyn_sized_stack, 0
	.set _ZN7rocprim17ROCPRIM_400000_NS6detail17trampoline_kernelINS0_14default_configENS1_21merge_config_selectorINS0_5tupleIJttEEENS0_10empty_typeEEEZNS1_10merge_implIS3_NS0_12zip_iteratorINS5_IJN6thrust23THRUST_200600_302600_NS6detail15normal_iteratorINSC_10device_ptrIKtEEEESI_EEEEESK_NSA_INS5_IJNSE_INSF_ItEEEESM_EEEEEPS7_SP_SP_NSC_11hip_rocprim7__merge17predicate_wrapperIttNSC_4lessItEEEEEE10hipError_tPvRmT0_T1_T2_T3_T4_T5_mmT6_P12ihipStream_tbEUlT_E_NS1_11comp_targetILNS1_3genE10ELNS1_11target_archE1201ELNS1_3gpuE5ELNS1_3repE0EEENS1_30default_config_static_selectorELNS0_4arch9wavefront6targetE0EEEvS10_.has_recursion, 0
	.set _ZN7rocprim17ROCPRIM_400000_NS6detail17trampoline_kernelINS0_14default_configENS1_21merge_config_selectorINS0_5tupleIJttEEENS0_10empty_typeEEEZNS1_10merge_implIS3_NS0_12zip_iteratorINS5_IJN6thrust23THRUST_200600_302600_NS6detail15normal_iteratorINSC_10device_ptrIKtEEEESI_EEEEESK_NSA_INS5_IJNSE_INSF_ItEEEESM_EEEEEPS7_SP_SP_NSC_11hip_rocprim7__merge17predicate_wrapperIttNSC_4lessItEEEEEE10hipError_tPvRmT0_T1_T2_T3_T4_T5_mmT6_P12ihipStream_tbEUlT_E_NS1_11comp_targetILNS1_3genE10ELNS1_11target_archE1201ELNS1_3gpuE5ELNS1_3repE0EEENS1_30default_config_static_selectorELNS0_4arch9wavefront6targetE0EEEvS10_.has_indirect_call, 0
	.section	.AMDGPU.csdata,"",@progbits
; Kernel info:
; codeLenInByte = 0
; TotalNumSgprs: 0
; NumVgprs: 0
; ScratchSize: 0
; MemoryBound: 0
; FloatMode: 240
; IeeeMode: 1
; LDSByteSize: 0 bytes/workgroup (compile time only)
; SGPRBlocks: 0
; VGPRBlocks: 0
; NumSGPRsForWavesPerEU: 1
; NumVGPRsForWavesPerEU: 1
; NamedBarCnt: 0
; Occupancy: 16
; WaveLimiterHint : 0
; COMPUTE_PGM_RSRC2:SCRATCH_EN: 0
; COMPUTE_PGM_RSRC2:USER_SGPR: 2
; COMPUTE_PGM_RSRC2:TRAP_HANDLER: 0
; COMPUTE_PGM_RSRC2:TGID_X_EN: 1
; COMPUTE_PGM_RSRC2:TGID_Y_EN: 0
; COMPUTE_PGM_RSRC2:TGID_Z_EN: 0
; COMPUTE_PGM_RSRC2:TIDIG_COMP_CNT: 0
	.section	.text._ZN7rocprim17ROCPRIM_400000_NS6detail17trampoline_kernelINS0_14default_configENS1_21merge_config_selectorINS0_5tupleIJttEEENS0_10empty_typeEEEZNS1_10merge_implIS3_NS0_12zip_iteratorINS5_IJN6thrust23THRUST_200600_302600_NS6detail15normal_iteratorINSC_10device_ptrIKtEEEESI_EEEEESK_NSA_INS5_IJNSE_INSF_ItEEEESM_EEEEEPS7_SP_SP_NSC_11hip_rocprim7__merge17predicate_wrapperIttNSC_4lessItEEEEEE10hipError_tPvRmT0_T1_T2_T3_T4_T5_mmT6_P12ihipStream_tbEUlT_E_NS1_11comp_targetILNS1_3genE10ELNS1_11target_archE1200ELNS1_3gpuE4ELNS1_3repE0EEENS1_30default_config_static_selectorELNS0_4arch9wavefront6targetE0EEEvS10_,"axG",@progbits,_ZN7rocprim17ROCPRIM_400000_NS6detail17trampoline_kernelINS0_14default_configENS1_21merge_config_selectorINS0_5tupleIJttEEENS0_10empty_typeEEEZNS1_10merge_implIS3_NS0_12zip_iteratorINS5_IJN6thrust23THRUST_200600_302600_NS6detail15normal_iteratorINSC_10device_ptrIKtEEEESI_EEEEESK_NSA_INS5_IJNSE_INSF_ItEEEESM_EEEEEPS7_SP_SP_NSC_11hip_rocprim7__merge17predicate_wrapperIttNSC_4lessItEEEEEE10hipError_tPvRmT0_T1_T2_T3_T4_T5_mmT6_P12ihipStream_tbEUlT_E_NS1_11comp_targetILNS1_3genE10ELNS1_11target_archE1200ELNS1_3gpuE4ELNS1_3repE0EEENS1_30default_config_static_selectorELNS0_4arch9wavefront6targetE0EEEvS10_,comdat
	.protected	_ZN7rocprim17ROCPRIM_400000_NS6detail17trampoline_kernelINS0_14default_configENS1_21merge_config_selectorINS0_5tupleIJttEEENS0_10empty_typeEEEZNS1_10merge_implIS3_NS0_12zip_iteratorINS5_IJN6thrust23THRUST_200600_302600_NS6detail15normal_iteratorINSC_10device_ptrIKtEEEESI_EEEEESK_NSA_INS5_IJNSE_INSF_ItEEEESM_EEEEEPS7_SP_SP_NSC_11hip_rocprim7__merge17predicate_wrapperIttNSC_4lessItEEEEEE10hipError_tPvRmT0_T1_T2_T3_T4_T5_mmT6_P12ihipStream_tbEUlT_E_NS1_11comp_targetILNS1_3genE10ELNS1_11target_archE1200ELNS1_3gpuE4ELNS1_3repE0EEENS1_30default_config_static_selectorELNS0_4arch9wavefront6targetE0EEEvS10_ ; -- Begin function _ZN7rocprim17ROCPRIM_400000_NS6detail17trampoline_kernelINS0_14default_configENS1_21merge_config_selectorINS0_5tupleIJttEEENS0_10empty_typeEEEZNS1_10merge_implIS3_NS0_12zip_iteratorINS5_IJN6thrust23THRUST_200600_302600_NS6detail15normal_iteratorINSC_10device_ptrIKtEEEESI_EEEEESK_NSA_INS5_IJNSE_INSF_ItEEEESM_EEEEEPS7_SP_SP_NSC_11hip_rocprim7__merge17predicate_wrapperIttNSC_4lessItEEEEEE10hipError_tPvRmT0_T1_T2_T3_T4_T5_mmT6_P12ihipStream_tbEUlT_E_NS1_11comp_targetILNS1_3genE10ELNS1_11target_archE1200ELNS1_3gpuE4ELNS1_3repE0EEENS1_30default_config_static_selectorELNS0_4arch9wavefront6targetE0EEEvS10_
	.globl	_ZN7rocprim17ROCPRIM_400000_NS6detail17trampoline_kernelINS0_14default_configENS1_21merge_config_selectorINS0_5tupleIJttEEENS0_10empty_typeEEEZNS1_10merge_implIS3_NS0_12zip_iteratorINS5_IJN6thrust23THRUST_200600_302600_NS6detail15normal_iteratorINSC_10device_ptrIKtEEEESI_EEEEESK_NSA_INS5_IJNSE_INSF_ItEEEESM_EEEEEPS7_SP_SP_NSC_11hip_rocprim7__merge17predicate_wrapperIttNSC_4lessItEEEEEE10hipError_tPvRmT0_T1_T2_T3_T4_T5_mmT6_P12ihipStream_tbEUlT_E_NS1_11comp_targetILNS1_3genE10ELNS1_11target_archE1200ELNS1_3gpuE4ELNS1_3repE0EEENS1_30default_config_static_selectorELNS0_4arch9wavefront6targetE0EEEvS10_
	.p2align	8
	.type	_ZN7rocprim17ROCPRIM_400000_NS6detail17trampoline_kernelINS0_14default_configENS1_21merge_config_selectorINS0_5tupleIJttEEENS0_10empty_typeEEEZNS1_10merge_implIS3_NS0_12zip_iteratorINS5_IJN6thrust23THRUST_200600_302600_NS6detail15normal_iteratorINSC_10device_ptrIKtEEEESI_EEEEESK_NSA_INS5_IJNSE_INSF_ItEEEESM_EEEEEPS7_SP_SP_NSC_11hip_rocprim7__merge17predicate_wrapperIttNSC_4lessItEEEEEE10hipError_tPvRmT0_T1_T2_T3_T4_T5_mmT6_P12ihipStream_tbEUlT_E_NS1_11comp_targetILNS1_3genE10ELNS1_11target_archE1200ELNS1_3gpuE4ELNS1_3repE0EEENS1_30default_config_static_selectorELNS0_4arch9wavefront6targetE0EEEvS10_,@function
_ZN7rocprim17ROCPRIM_400000_NS6detail17trampoline_kernelINS0_14default_configENS1_21merge_config_selectorINS0_5tupleIJttEEENS0_10empty_typeEEEZNS1_10merge_implIS3_NS0_12zip_iteratorINS5_IJN6thrust23THRUST_200600_302600_NS6detail15normal_iteratorINSC_10device_ptrIKtEEEESI_EEEEESK_NSA_INS5_IJNSE_INSF_ItEEEESM_EEEEEPS7_SP_SP_NSC_11hip_rocprim7__merge17predicate_wrapperIttNSC_4lessItEEEEEE10hipError_tPvRmT0_T1_T2_T3_T4_T5_mmT6_P12ihipStream_tbEUlT_E_NS1_11comp_targetILNS1_3genE10ELNS1_11target_archE1200ELNS1_3gpuE4ELNS1_3repE0EEENS1_30default_config_static_selectorELNS0_4arch9wavefront6targetE0EEEvS10_: ; @_ZN7rocprim17ROCPRIM_400000_NS6detail17trampoline_kernelINS0_14default_configENS1_21merge_config_selectorINS0_5tupleIJttEEENS0_10empty_typeEEEZNS1_10merge_implIS3_NS0_12zip_iteratorINS5_IJN6thrust23THRUST_200600_302600_NS6detail15normal_iteratorINSC_10device_ptrIKtEEEESI_EEEEESK_NSA_INS5_IJNSE_INSF_ItEEEESM_EEEEEPS7_SP_SP_NSC_11hip_rocprim7__merge17predicate_wrapperIttNSC_4lessItEEEEEE10hipError_tPvRmT0_T1_T2_T3_T4_T5_mmT6_P12ihipStream_tbEUlT_E_NS1_11comp_targetILNS1_3genE10ELNS1_11target_archE1200ELNS1_3gpuE4ELNS1_3repE0EEENS1_30default_config_static_selectorELNS0_4arch9wavefront6targetE0EEEvS10_
; %bb.0:
	.section	.rodata,"a",@progbits
	.p2align	6, 0x0
	.amdhsa_kernel _ZN7rocprim17ROCPRIM_400000_NS6detail17trampoline_kernelINS0_14default_configENS1_21merge_config_selectorINS0_5tupleIJttEEENS0_10empty_typeEEEZNS1_10merge_implIS3_NS0_12zip_iteratorINS5_IJN6thrust23THRUST_200600_302600_NS6detail15normal_iteratorINSC_10device_ptrIKtEEEESI_EEEEESK_NSA_INS5_IJNSE_INSF_ItEEEESM_EEEEEPS7_SP_SP_NSC_11hip_rocprim7__merge17predicate_wrapperIttNSC_4lessItEEEEEE10hipError_tPvRmT0_T1_T2_T3_T4_T5_mmT6_P12ihipStream_tbEUlT_E_NS1_11comp_targetILNS1_3genE10ELNS1_11target_archE1200ELNS1_3gpuE4ELNS1_3repE0EEENS1_30default_config_static_selectorELNS0_4arch9wavefront6targetE0EEEvS10_
		.amdhsa_group_segment_fixed_size 0
		.amdhsa_private_segment_fixed_size 0
		.amdhsa_kernarg_size 64
		.amdhsa_user_sgpr_count 2
		.amdhsa_user_sgpr_dispatch_ptr 0
		.amdhsa_user_sgpr_queue_ptr 0
		.amdhsa_user_sgpr_kernarg_segment_ptr 1
		.amdhsa_user_sgpr_dispatch_id 0
		.amdhsa_user_sgpr_kernarg_preload_length 0
		.amdhsa_user_sgpr_kernarg_preload_offset 0
		.amdhsa_user_sgpr_private_segment_size 0
		.amdhsa_wavefront_size32 1
		.amdhsa_uses_dynamic_stack 0
		.amdhsa_enable_private_segment 0
		.amdhsa_system_sgpr_workgroup_id_x 1
		.amdhsa_system_sgpr_workgroup_id_y 0
		.amdhsa_system_sgpr_workgroup_id_z 0
		.amdhsa_system_sgpr_workgroup_info 0
		.amdhsa_system_vgpr_workitem_id 0
		.amdhsa_next_free_vgpr 1
		.amdhsa_next_free_sgpr 1
		.amdhsa_named_barrier_count 0
		.amdhsa_reserve_vcc 0
		.amdhsa_float_round_mode_32 0
		.amdhsa_float_round_mode_16_64 0
		.amdhsa_float_denorm_mode_32 3
		.amdhsa_float_denorm_mode_16_64 3
		.amdhsa_fp16_overflow 0
		.amdhsa_memory_ordered 1
		.amdhsa_forward_progress 1
		.amdhsa_inst_pref_size 0
		.amdhsa_round_robin_scheduling 0
		.amdhsa_exception_fp_ieee_invalid_op 0
		.amdhsa_exception_fp_denorm_src 0
		.amdhsa_exception_fp_ieee_div_zero 0
		.amdhsa_exception_fp_ieee_overflow 0
		.amdhsa_exception_fp_ieee_underflow 0
		.amdhsa_exception_fp_ieee_inexact 0
		.amdhsa_exception_int_div_zero 0
	.end_amdhsa_kernel
	.section	.text._ZN7rocprim17ROCPRIM_400000_NS6detail17trampoline_kernelINS0_14default_configENS1_21merge_config_selectorINS0_5tupleIJttEEENS0_10empty_typeEEEZNS1_10merge_implIS3_NS0_12zip_iteratorINS5_IJN6thrust23THRUST_200600_302600_NS6detail15normal_iteratorINSC_10device_ptrIKtEEEESI_EEEEESK_NSA_INS5_IJNSE_INSF_ItEEEESM_EEEEEPS7_SP_SP_NSC_11hip_rocprim7__merge17predicate_wrapperIttNSC_4lessItEEEEEE10hipError_tPvRmT0_T1_T2_T3_T4_T5_mmT6_P12ihipStream_tbEUlT_E_NS1_11comp_targetILNS1_3genE10ELNS1_11target_archE1200ELNS1_3gpuE4ELNS1_3repE0EEENS1_30default_config_static_selectorELNS0_4arch9wavefront6targetE0EEEvS10_,"axG",@progbits,_ZN7rocprim17ROCPRIM_400000_NS6detail17trampoline_kernelINS0_14default_configENS1_21merge_config_selectorINS0_5tupleIJttEEENS0_10empty_typeEEEZNS1_10merge_implIS3_NS0_12zip_iteratorINS5_IJN6thrust23THRUST_200600_302600_NS6detail15normal_iteratorINSC_10device_ptrIKtEEEESI_EEEEESK_NSA_INS5_IJNSE_INSF_ItEEEESM_EEEEEPS7_SP_SP_NSC_11hip_rocprim7__merge17predicate_wrapperIttNSC_4lessItEEEEEE10hipError_tPvRmT0_T1_T2_T3_T4_T5_mmT6_P12ihipStream_tbEUlT_E_NS1_11comp_targetILNS1_3genE10ELNS1_11target_archE1200ELNS1_3gpuE4ELNS1_3repE0EEENS1_30default_config_static_selectorELNS0_4arch9wavefront6targetE0EEEvS10_,comdat
.Lfunc_end176:
	.size	_ZN7rocprim17ROCPRIM_400000_NS6detail17trampoline_kernelINS0_14default_configENS1_21merge_config_selectorINS0_5tupleIJttEEENS0_10empty_typeEEEZNS1_10merge_implIS3_NS0_12zip_iteratorINS5_IJN6thrust23THRUST_200600_302600_NS6detail15normal_iteratorINSC_10device_ptrIKtEEEESI_EEEEESK_NSA_INS5_IJNSE_INSF_ItEEEESM_EEEEEPS7_SP_SP_NSC_11hip_rocprim7__merge17predicate_wrapperIttNSC_4lessItEEEEEE10hipError_tPvRmT0_T1_T2_T3_T4_T5_mmT6_P12ihipStream_tbEUlT_E_NS1_11comp_targetILNS1_3genE10ELNS1_11target_archE1200ELNS1_3gpuE4ELNS1_3repE0EEENS1_30default_config_static_selectorELNS0_4arch9wavefront6targetE0EEEvS10_, .Lfunc_end176-_ZN7rocprim17ROCPRIM_400000_NS6detail17trampoline_kernelINS0_14default_configENS1_21merge_config_selectorINS0_5tupleIJttEEENS0_10empty_typeEEEZNS1_10merge_implIS3_NS0_12zip_iteratorINS5_IJN6thrust23THRUST_200600_302600_NS6detail15normal_iteratorINSC_10device_ptrIKtEEEESI_EEEEESK_NSA_INS5_IJNSE_INSF_ItEEEESM_EEEEEPS7_SP_SP_NSC_11hip_rocprim7__merge17predicate_wrapperIttNSC_4lessItEEEEEE10hipError_tPvRmT0_T1_T2_T3_T4_T5_mmT6_P12ihipStream_tbEUlT_E_NS1_11comp_targetILNS1_3genE10ELNS1_11target_archE1200ELNS1_3gpuE4ELNS1_3repE0EEENS1_30default_config_static_selectorELNS0_4arch9wavefront6targetE0EEEvS10_
                                        ; -- End function
	.set _ZN7rocprim17ROCPRIM_400000_NS6detail17trampoline_kernelINS0_14default_configENS1_21merge_config_selectorINS0_5tupleIJttEEENS0_10empty_typeEEEZNS1_10merge_implIS3_NS0_12zip_iteratorINS5_IJN6thrust23THRUST_200600_302600_NS6detail15normal_iteratorINSC_10device_ptrIKtEEEESI_EEEEESK_NSA_INS5_IJNSE_INSF_ItEEEESM_EEEEEPS7_SP_SP_NSC_11hip_rocprim7__merge17predicate_wrapperIttNSC_4lessItEEEEEE10hipError_tPvRmT0_T1_T2_T3_T4_T5_mmT6_P12ihipStream_tbEUlT_E_NS1_11comp_targetILNS1_3genE10ELNS1_11target_archE1200ELNS1_3gpuE4ELNS1_3repE0EEENS1_30default_config_static_selectorELNS0_4arch9wavefront6targetE0EEEvS10_.num_vgpr, 0
	.set _ZN7rocprim17ROCPRIM_400000_NS6detail17trampoline_kernelINS0_14default_configENS1_21merge_config_selectorINS0_5tupleIJttEEENS0_10empty_typeEEEZNS1_10merge_implIS3_NS0_12zip_iteratorINS5_IJN6thrust23THRUST_200600_302600_NS6detail15normal_iteratorINSC_10device_ptrIKtEEEESI_EEEEESK_NSA_INS5_IJNSE_INSF_ItEEEESM_EEEEEPS7_SP_SP_NSC_11hip_rocprim7__merge17predicate_wrapperIttNSC_4lessItEEEEEE10hipError_tPvRmT0_T1_T2_T3_T4_T5_mmT6_P12ihipStream_tbEUlT_E_NS1_11comp_targetILNS1_3genE10ELNS1_11target_archE1200ELNS1_3gpuE4ELNS1_3repE0EEENS1_30default_config_static_selectorELNS0_4arch9wavefront6targetE0EEEvS10_.num_agpr, 0
	.set _ZN7rocprim17ROCPRIM_400000_NS6detail17trampoline_kernelINS0_14default_configENS1_21merge_config_selectorINS0_5tupleIJttEEENS0_10empty_typeEEEZNS1_10merge_implIS3_NS0_12zip_iteratorINS5_IJN6thrust23THRUST_200600_302600_NS6detail15normal_iteratorINSC_10device_ptrIKtEEEESI_EEEEESK_NSA_INS5_IJNSE_INSF_ItEEEESM_EEEEEPS7_SP_SP_NSC_11hip_rocprim7__merge17predicate_wrapperIttNSC_4lessItEEEEEE10hipError_tPvRmT0_T1_T2_T3_T4_T5_mmT6_P12ihipStream_tbEUlT_E_NS1_11comp_targetILNS1_3genE10ELNS1_11target_archE1200ELNS1_3gpuE4ELNS1_3repE0EEENS1_30default_config_static_selectorELNS0_4arch9wavefront6targetE0EEEvS10_.numbered_sgpr, 0
	.set _ZN7rocprim17ROCPRIM_400000_NS6detail17trampoline_kernelINS0_14default_configENS1_21merge_config_selectorINS0_5tupleIJttEEENS0_10empty_typeEEEZNS1_10merge_implIS3_NS0_12zip_iteratorINS5_IJN6thrust23THRUST_200600_302600_NS6detail15normal_iteratorINSC_10device_ptrIKtEEEESI_EEEEESK_NSA_INS5_IJNSE_INSF_ItEEEESM_EEEEEPS7_SP_SP_NSC_11hip_rocprim7__merge17predicate_wrapperIttNSC_4lessItEEEEEE10hipError_tPvRmT0_T1_T2_T3_T4_T5_mmT6_P12ihipStream_tbEUlT_E_NS1_11comp_targetILNS1_3genE10ELNS1_11target_archE1200ELNS1_3gpuE4ELNS1_3repE0EEENS1_30default_config_static_selectorELNS0_4arch9wavefront6targetE0EEEvS10_.num_named_barrier, 0
	.set _ZN7rocprim17ROCPRIM_400000_NS6detail17trampoline_kernelINS0_14default_configENS1_21merge_config_selectorINS0_5tupleIJttEEENS0_10empty_typeEEEZNS1_10merge_implIS3_NS0_12zip_iteratorINS5_IJN6thrust23THRUST_200600_302600_NS6detail15normal_iteratorINSC_10device_ptrIKtEEEESI_EEEEESK_NSA_INS5_IJNSE_INSF_ItEEEESM_EEEEEPS7_SP_SP_NSC_11hip_rocprim7__merge17predicate_wrapperIttNSC_4lessItEEEEEE10hipError_tPvRmT0_T1_T2_T3_T4_T5_mmT6_P12ihipStream_tbEUlT_E_NS1_11comp_targetILNS1_3genE10ELNS1_11target_archE1200ELNS1_3gpuE4ELNS1_3repE0EEENS1_30default_config_static_selectorELNS0_4arch9wavefront6targetE0EEEvS10_.private_seg_size, 0
	.set _ZN7rocprim17ROCPRIM_400000_NS6detail17trampoline_kernelINS0_14default_configENS1_21merge_config_selectorINS0_5tupleIJttEEENS0_10empty_typeEEEZNS1_10merge_implIS3_NS0_12zip_iteratorINS5_IJN6thrust23THRUST_200600_302600_NS6detail15normal_iteratorINSC_10device_ptrIKtEEEESI_EEEEESK_NSA_INS5_IJNSE_INSF_ItEEEESM_EEEEEPS7_SP_SP_NSC_11hip_rocprim7__merge17predicate_wrapperIttNSC_4lessItEEEEEE10hipError_tPvRmT0_T1_T2_T3_T4_T5_mmT6_P12ihipStream_tbEUlT_E_NS1_11comp_targetILNS1_3genE10ELNS1_11target_archE1200ELNS1_3gpuE4ELNS1_3repE0EEENS1_30default_config_static_selectorELNS0_4arch9wavefront6targetE0EEEvS10_.uses_vcc, 0
	.set _ZN7rocprim17ROCPRIM_400000_NS6detail17trampoline_kernelINS0_14default_configENS1_21merge_config_selectorINS0_5tupleIJttEEENS0_10empty_typeEEEZNS1_10merge_implIS3_NS0_12zip_iteratorINS5_IJN6thrust23THRUST_200600_302600_NS6detail15normal_iteratorINSC_10device_ptrIKtEEEESI_EEEEESK_NSA_INS5_IJNSE_INSF_ItEEEESM_EEEEEPS7_SP_SP_NSC_11hip_rocprim7__merge17predicate_wrapperIttNSC_4lessItEEEEEE10hipError_tPvRmT0_T1_T2_T3_T4_T5_mmT6_P12ihipStream_tbEUlT_E_NS1_11comp_targetILNS1_3genE10ELNS1_11target_archE1200ELNS1_3gpuE4ELNS1_3repE0EEENS1_30default_config_static_selectorELNS0_4arch9wavefront6targetE0EEEvS10_.uses_flat_scratch, 0
	.set _ZN7rocprim17ROCPRIM_400000_NS6detail17trampoline_kernelINS0_14default_configENS1_21merge_config_selectorINS0_5tupleIJttEEENS0_10empty_typeEEEZNS1_10merge_implIS3_NS0_12zip_iteratorINS5_IJN6thrust23THRUST_200600_302600_NS6detail15normal_iteratorINSC_10device_ptrIKtEEEESI_EEEEESK_NSA_INS5_IJNSE_INSF_ItEEEESM_EEEEEPS7_SP_SP_NSC_11hip_rocprim7__merge17predicate_wrapperIttNSC_4lessItEEEEEE10hipError_tPvRmT0_T1_T2_T3_T4_T5_mmT6_P12ihipStream_tbEUlT_E_NS1_11comp_targetILNS1_3genE10ELNS1_11target_archE1200ELNS1_3gpuE4ELNS1_3repE0EEENS1_30default_config_static_selectorELNS0_4arch9wavefront6targetE0EEEvS10_.has_dyn_sized_stack, 0
	.set _ZN7rocprim17ROCPRIM_400000_NS6detail17trampoline_kernelINS0_14default_configENS1_21merge_config_selectorINS0_5tupleIJttEEENS0_10empty_typeEEEZNS1_10merge_implIS3_NS0_12zip_iteratorINS5_IJN6thrust23THRUST_200600_302600_NS6detail15normal_iteratorINSC_10device_ptrIKtEEEESI_EEEEESK_NSA_INS5_IJNSE_INSF_ItEEEESM_EEEEEPS7_SP_SP_NSC_11hip_rocprim7__merge17predicate_wrapperIttNSC_4lessItEEEEEE10hipError_tPvRmT0_T1_T2_T3_T4_T5_mmT6_P12ihipStream_tbEUlT_E_NS1_11comp_targetILNS1_3genE10ELNS1_11target_archE1200ELNS1_3gpuE4ELNS1_3repE0EEENS1_30default_config_static_selectorELNS0_4arch9wavefront6targetE0EEEvS10_.has_recursion, 0
	.set _ZN7rocprim17ROCPRIM_400000_NS6detail17trampoline_kernelINS0_14default_configENS1_21merge_config_selectorINS0_5tupleIJttEEENS0_10empty_typeEEEZNS1_10merge_implIS3_NS0_12zip_iteratorINS5_IJN6thrust23THRUST_200600_302600_NS6detail15normal_iteratorINSC_10device_ptrIKtEEEESI_EEEEESK_NSA_INS5_IJNSE_INSF_ItEEEESM_EEEEEPS7_SP_SP_NSC_11hip_rocprim7__merge17predicate_wrapperIttNSC_4lessItEEEEEE10hipError_tPvRmT0_T1_T2_T3_T4_T5_mmT6_P12ihipStream_tbEUlT_E_NS1_11comp_targetILNS1_3genE10ELNS1_11target_archE1200ELNS1_3gpuE4ELNS1_3repE0EEENS1_30default_config_static_selectorELNS0_4arch9wavefront6targetE0EEEvS10_.has_indirect_call, 0
	.section	.AMDGPU.csdata,"",@progbits
; Kernel info:
; codeLenInByte = 0
; TotalNumSgprs: 0
; NumVgprs: 0
; ScratchSize: 0
; MemoryBound: 0
; FloatMode: 240
; IeeeMode: 1
; LDSByteSize: 0 bytes/workgroup (compile time only)
; SGPRBlocks: 0
; VGPRBlocks: 0
; NumSGPRsForWavesPerEU: 1
; NumVGPRsForWavesPerEU: 1
; NamedBarCnt: 0
; Occupancy: 16
; WaveLimiterHint : 0
; COMPUTE_PGM_RSRC2:SCRATCH_EN: 0
; COMPUTE_PGM_RSRC2:USER_SGPR: 2
; COMPUTE_PGM_RSRC2:TRAP_HANDLER: 0
; COMPUTE_PGM_RSRC2:TGID_X_EN: 1
; COMPUTE_PGM_RSRC2:TGID_Y_EN: 0
; COMPUTE_PGM_RSRC2:TGID_Z_EN: 0
; COMPUTE_PGM_RSRC2:TIDIG_COMP_CNT: 0
	.section	.text._ZN7rocprim17ROCPRIM_400000_NS6detail17trampoline_kernelINS0_14default_configENS1_21merge_config_selectorINS0_5tupleIJttEEENS0_10empty_typeEEEZNS1_10merge_implIS3_NS0_12zip_iteratorINS5_IJN6thrust23THRUST_200600_302600_NS6detail15normal_iteratorINSC_10device_ptrIKtEEEESI_EEEEESK_NSA_INS5_IJNSE_INSF_ItEEEESM_EEEEEPS7_SP_SP_NSC_11hip_rocprim7__merge17predicate_wrapperIttNSC_4lessItEEEEEE10hipError_tPvRmT0_T1_T2_T3_T4_T5_mmT6_P12ihipStream_tbEUlT_E_NS1_11comp_targetILNS1_3genE9ELNS1_11target_archE1100ELNS1_3gpuE3ELNS1_3repE0EEENS1_30default_config_static_selectorELNS0_4arch9wavefront6targetE0EEEvS10_,"axG",@progbits,_ZN7rocprim17ROCPRIM_400000_NS6detail17trampoline_kernelINS0_14default_configENS1_21merge_config_selectorINS0_5tupleIJttEEENS0_10empty_typeEEEZNS1_10merge_implIS3_NS0_12zip_iteratorINS5_IJN6thrust23THRUST_200600_302600_NS6detail15normal_iteratorINSC_10device_ptrIKtEEEESI_EEEEESK_NSA_INS5_IJNSE_INSF_ItEEEESM_EEEEEPS7_SP_SP_NSC_11hip_rocprim7__merge17predicate_wrapperIttNSC_4lessItEEEEEE10hipError_tPvRmT0_T1_T2_T3_T4_T5_mmT6_P12ihipStream_tbEUlT_E_NS1_11comp_targetILNS1_3genE9ELNS1_11target_archE1100ELNS1_3gpuE3ELNS1_3repE0EEENS1_30default_config_static_selectorELNS0_4arch9wavefront6targetE0EEEvS10_,comdat
	.protected	_ZN7rocprim17ROCPRIM_400000_NS6detail17trampoline_kernelINS0_14default_configENS1_21merge_config_selectorINS0_5tupleIJttEEENS0_10empty_typeEEEZNS1_10merge_implIS3_NS0_12zip_iteratorINS5_IJN6thrust23THRUST_200600_302600_NS6detail15normal_iteratorINSC_10device_ptrIKtEEEESI_EEEEESK_NSA_INS5_IJNSE_INSF_ItEEEESM_EEEEEPS7_SP_SP_NSC_11hip_rocprim7__merge17predicate_wrapperIttNSC_4lessItEEEEEE10hipError_tPvRmT0_T1_T2_T3_T4_T5_mmT6_P12ihipStream_tbEUlT_E_NS1_11comp_targetILNS1_3genE9ELNS1_11target_archE1100ELNS1_3gpuE3ELNS1_3repE0EEENS1_30default_config_static_selectorELNS0_4arch9wavefront6targetE0EEEvS10_ ; -- Begin function _ZN7rocprim17ROCPRIM_400000_NS6detail17trampoline_kernelINS0_14default_configENS1_21merge_config_selectorINS0_5tupleIJttEEENS0_10empty_typeEEEZNS1_10merge_implIS3_NS0_12zip_iteratorINS5_IJN6thrust23THRUST_200600_302600_NS6detail15normal_iteratorINSC_10device_ptrIKtEEEESI_EEEEESK_NSA_INS5_IJNSE_INSF_ItEEEESM_EEEEEPS7_SP_SP_NSC_11hip_rocprim7__merge17predicate_wrapperIttNSC_4lessItEEEEEE10hipError_tPvRmT0_T1_T2_T3_T4_T5_mmT6_P12ihipStream_tbEUlT_E_NS1_11comp_targetILNS1_3genE9ELNS1_11target_archE1100ELNS1_3gpuE3ELNS1_3repE0EEENS1_30default_config_static_selectorELNS0_4arch9wavefront6targetE0EEEvS10_
	.globl	_ZN7rocprim17ROCPRIM_400000_NS6detail17trampoline_kernelINS0_14default_configENS1_21merge_config_selectorINS0_5tupleIJttEEENS0_10empty_typeEEEZNS1_10merge_implIS3_NS0_12zip_iteratorINS5_IJN6thrust23THRUST_200600_302600_NS6detail15normal_iteratorINSC_10device_ptrIKtEEEESI_EEEEESK_NSA_INS5_IJNSE_INSF_ItEEEESM_EEEEEPS7_SP_SP_NSC_11hip_rocprim7__merge17predicate_wrapperIttNSC_4lessItEEEEEE10hipError_tPvRmT0_T1_T2_T3_T4_T5_mmT6_P12ihipStream_tbEUlT_E_NS1_11comp_targetILNS1_3genE9ELNS1_11target_archE1100ELNS1_3gpuE3ELNS1_3repE0EEENS1_30default_config_static_selectorELNS0_4arch9wavefront6targetE0EEEvS10_
	.p2align	8
	.type	_ZN7rocprim17ROCPRIM_400000_NS6detail17trampoline_kernelINS0_14default_configENS1_21merge_config_selectorINS0_5tupleIJttEEENS0_10empty_typeEEEZNS1_10merge_implIS3_NS0_12zip_iteratorINS5_IJN6thrust23THRUST_200600_302600_NS6detail15normal_iteratorINSC_10device_ptrIKtEEEESI_EEEEESK_NSA_INS5_IJNSE_INSF_ItEEEESM_EEEEEPS7_SP_SP_NSC_11hip_rocprim7__merge17predicate_wrapperIttNSC_4lessItEEEEEE10hipError_tPvRmT0_T1_T2_T3_T4_T5_mmT6_P12ihipStream_tbEUlT_E_NS1_11comp_targetILNS1_3genE9ELNS1_11target_archE1100ELNS1_3gpuE3ELNS1_3repE0EEENS1_30default_config_static_selectorELNS0_4arch9wavefront6targetE0EEEvS10_,@function
_ZN7rocprim17ROCPRIM_400000_NS6detail17trampoline_kernelINS0_14default_configENS1_21merge_config_selectorINS0_5tupleIJttEEENS0_10empty_typeEEEZNS1_10merge_implIS3_NS0_12zip_iteratorINS5_IJN6thrust23THRUST_200600_302600_NS6detail15normal_iteratorINSC_10device_ptrIKtEEEESI_EEEEESK_NSA_INS5_IJNSE_INSF_ItEEEESM_EEEEEPS7_SP_SP_NSC_11hip_rocprim7__merge17predicate_wrapperIttNSC_4lessItEEEEEE10hipError_tPvRmT0_T1_T2_T3_T4_T5_mmT6_P12ihipStream_tbEUlT_E_NS1_11comp_targetILNS1_3genE9ELNS1_11target_archE1100ELNS1_3gpuE3ELNS1_3repE0EEENS1_30default_config_static_selectorELNS0_4arch9wavefront6targetE0EEEvS10_: ; @_ZN7rocprim17ROCPRIM_400000_NS6detail17trampoline_kernelINS0_14default_configENS1_21merge_config_selectorINS0_5tupleIJttEEENS0_10empty_typeEEEZNS1_10merge_implIS3_NS0_12zip_iteratorINS5_IJN6thrust23THRUST_200600_302600_NS6detail15normal_iteratorINSC_10device_ptrIKtEEEESI_EEEEESK_NSA_INS5_IJNSE_INSF_ItEEEESM_EEEEEPS7_SP_SP_NSC_11hip_rocprim7__merge17predicate_wrapperIttNSC_4lessItEEEEEE10hipError_tPvRmT0_T1_T2_T3_T4_T5_mmT6_P12ihipStream_tbEUlT_E_NS1_11comp_targetILNS1_3genE9ELNS1_11target_archE1100ELNS1_3gpuE3ELNS1_3repE0EEENS1_30default_config_static_selectorELNS0_4arch9wavefront6targetE0EEEvS10_
; %bb.0:
	.section	.rodata,"a",@progbits
	.p2align	6, 0x0
	.amdhsa_kernel _ZN7rocprim17ROCPRIM_400000_NS6detail17trampoline_kernelINS0_14default_configENS1_21merge_config_selectorINS0_5tupleIJttEEENS0_10empty_typeEEEZNS1_10merge_implIS3_NS0_12zip_iteratorINS5_IJN6thrust23THRUST_200600_302600_NS6detail15normal_iteratorINSC_10device_ptrIKtEEEESI_EEEEESK_NSA_INS5_IJNSE_INSF_ItEEEESM_EEEEEPS7_SP_SP_NSC_11hip_rocprim7__merge17predicate_wrapperIttNSC_4lessItEEEEEE10hipError_tPvRmT0_T1_T2_T3_T4_T5_mmT6_P12ihipStream_tbEUlT_E_NS1_11comp_targetILNS1_3genE9ELNS1_11target_archE1100ELNS1_3gpuE3ELNS1_3repE0EEENS1_30default_config_static_selectorELNS0_4arch9wavefront6targetE0EEEvS10_
		.amdhsa_group_segment_fixed_size 0
		.amdhsa_private_segment_fixed_size 0
		.amdhsa_kernarg_size 64
		.amdhsa_user_sgpr_count 2
		.amdhsa_user_sgpr_dispatch_ptr 0
		.amdhsa_user_sgpr_queue_ptr 0
		.amdhsa_user_sgpr_kernarg_segment_ptr 1
		.amdhsa_user_sgpr_dispatch_id 0
		.amdhsa_user_sgpr_kernarg_preload_length 0
		.amdhsa_user_sgpr_kernarg_preload_offset 0
		.amdhsa_user_sgpr_private_segment_size 0
		.amdhsa_wavefront_size32 1
		.amdhsa_uses_dynamic_stack 0
		.amdhsa_enable_private_segment 0
		.amdhsa_system_sgpr_workgroup_id_x 1
		.amdhsa_system_sgpr_workgroup_id_y 0
		.amdhsa_system_sgpr_workgroup_id_z 0
		.amdhsa_system_sgpr_workgroup_info 0
		.amdhsa_system_vgpr_workitem_id 0
		.amdhsa_next_free_vgpr 1
		.amdhsa_next_free_sgpr 1
		.amdhsa_named_barrier_count 0
		.amdhsa_reserve_vcc 0
		.amdhsa_float_round_mode_32 0
		.amdhsa_float_round_mode_16_64 0
		.amdhsa_float_denorm_mode_32 3
		.amdhsa_float_denorm_mode_16_64 3
		.amdhsa_fp16_overflow 0
		.amdhsa_memory_ordered 1
		.amdhsa_forward_progress 1
		.amdhsa_inst_pref_size 0
		.amdhsa_round_robin_scheduling 0
		.amdhsa_exception_fp_ieee_invalid_op 0
		.amdhsa_exception_fp_denorm_src 0
		.amdhsa_exception_fp_ieee_div_zero 0
		.amdhsa_exception_fp_ieee_overflow 0
		.amdhsa_exception_fp_ieee_underflow 0
		.amdhsa_exception_fp_ieee_inexact 0
		.amdhsa_exception_int_div_zero 0
	.end_amdhsa_kernel
	.section	.text._ZN7rocprim17ROCPRIM_400000_NS6detail17trampoline_kernelINS0_14default_configENS1_21merge_config_selectorINS0_5tupleIJttEEENS0_10empty_typeEEEZNS1_10merge_implIS3_NS0_12zip_iteratorINS5_IJN6thrust23THRUST_200600_302600_NS6detail15normal_iteratorINSC_10device_ptrIKtEEEESI_EEEEESK_NSA_INS5_IJNSE_INSF_ItEEEESM_EEEEEPS7_SP_SP_NSC_11hip_rocprim7__merge17predicate_wrapperIttNSC_4lessItEEEEEE10hipError_tPvRmT0_T1_T2_T3_T4_T5_mmT6_P12ihipStream_tbEUlT_E_NS1_11comp_targetILNS1_3genE9ELNS1_11target_archE1100ELNS1_3gpuE3ELNS1_3repE0EEENS1_30default_config_static_selectorELNS0_4arch9wavefront6targetE0EEEvS10_,"axG",@progbits,_ZN7rocprim17ROCPRIM_400000_NS6detail17trampoline_kernelINS0_14default_configENS1_21merge_config_selectorINS0_5tupleIJttEEENS0_10empty_typeEEEZNS1_10merge_implIS3_NS0_12zip_iteratorINS5_IJN6thrust23THRUST_200600_302600_NS6detail15normal_iteratorINSC_10device_ptrIKtEEEESI_EEEEESK_NSA_INS5_IJNSE_INSF_ItEEEESM_EEEEEPS7_SP_SP_NSC_11hip_rocprim7__merge17predicate_wrapperIttNSC_4lessItEEEEEE10hipError_tPvRmT0_T1_T2_T3_T4_T5_mmT6_P12ihipStream_tbEUlT_E_NS1_11comp_targetILNS1_3genE9ELNS1_11target_archE1100ELNS1_3gpuE3ELNS1_3repE0EEENS1_30default_config_static_selectorELNS0_4arch9wavefront6targetE0EEEvS10_,comdat
.Lfunc_end177:
	.size	_ZN7rocprim17ROCPRIM_400000_NS6detail17trampoline_kernelINS0_14default_configENS1_21merge_config_selectorINS0_5tupleIJttEEENS0_10empty_typeEEEZNS1_10merge_implIS3_NS0_12zip_iteratorINS5_IJN6thrust23THRUST_200600_302600_NS6detail15normal_iteratorINSC_10device_ptrIKtEEEESI_EEEEESK_NSA_INS5_IJNSE_INSF_ItEEEESM_EEEEEPS7_SP_SP_NSC_11hip_rocprim7__merge17predicate_wrapperIttNSC_4lessItEEEEEE10hipError_tPvRmT0_T1_T2_T3_T4_T5_mmT6_P12ihipStream_tbEUlT_E_NS1_11comp_targetILNS1_3genE9ELNS1_11target_archE1100ELNS1_3gpuE3ELNS1_3repE0EEENS1_30default_config_static_selectorELNS0_4arch9wavefront6targetE0EEEvS10_, .Lfunc_end177-_ZN7rocprim17ROCPRIM_400000_NS6detail17trampoline_kernelINS0_14default_configENS1_21merge_config_selectorINS0_5tupleIJttEEENS0_10empty_typeEEEZNS1_10merge_implIS3_NS0_12zip_iteratorINS5_IJN6thrust23THRUST_200600_302600_NS6detail15normal_iteratorINSC_10device_ptrIKtEEEESI_EEEEESK_NSA_INS5_IJNSE_INSF_ItEEEESM_EEEEEPS7_SP_SP_NSC_11hip_rocprim7__merge17predicate_wrapperIttNSC_4lessItEEEEEE10hipError_tPvRmT0_T1_T2_T3_T4_T5_mmT6_P12ihipStream_tbEUlT_E_NS1_11comp_targetILNS1_3genE9ELNS1_11target_archE1100ELNS1_3gpuE3ELNS1_3repE0EEENS1_30default_config_static_selectorELNS0_4arch9wavefront6targetE0EEEvS10_
                                        ; -- End function
	.set _ZN7rocprim17ROCPRIM_400000_NS6detail17trampoline_kernelINS0_14default_configENS1_21merge_config_selectorINS0_5tupleIJttEEENS0_10empty_typeEEEZNS1_10merge_implIS3_NS0_12zip_iteratorINS5_IJN6thrust23THRUST_200600_302600_NS6detail15normal_iteratorINSC_10device_ptrIKtEEEESI_EEEEESK_NSA_INS5_IJNSE_INSF_ItEEEESM_EEEEEPS7_SP_SP_NSC_11hip_rocprim7__merge17predicate_wrapperIttNSC_4lessItEEEEEE10hipError_tPvRmT0_T1_T2_T3_T4_T5_mmT6_P12ihipStream_tbEUlT_E_NS1_11comp_targetILNS1_3genE9ELNS1_11target_archE1100ELNS1_3gpuE3ELNS1_3repE0EEENS1_30default_config_static_selectorELNS0_4arch9wavefront6targetE0EEEvS10_.num_vgpr, 0
	.set _ZN7rocprim17ROCPRIM_400000_NS6detail17trampoline_kernelINS0_14default_configENS1_21merge_config_selectorINS0_5tupleIJttEEENS0_10empty_typeEEEZNS1_10merge_implIS3_NS0_12zip_iteratorINS5_IJN6thrust23THRUST_200600_302600_NS6detail15normal_iteratorINSC_10device_ptrIKtEEEESI_EEEEESK_NSA_INS5_IJNSE_INSF_ItEEEESM_EEEEEPS7_SP_SP_NSC_11hip_rocprim7__merge17predicate_wrapperIttNSC_4lessItEEEEEE10hipError_tPvRmT0_T1_T2_T3_T4_T5_mmT6_P12ihipStream_tbEUlT_E_NS1_11comp_targetILNS1_3genE9ELNS1_11target_archE1100ELNS1_3gpuE3ELNS1_3repE0EEENS1_30default_config_static_selectorELNS0_4arch9wavefront6targetE0EEEvS10_.num_agpr, 0
	.set _ZN7rocprim17ROCPRIM_400000_NS6detail17trampoline_kernelINS0_14default_configENS1_21merge_config_selectorINS0_5tupleIJttEEENS0_10empty_typeEEEZNS1_10merge_implIS3_NS0_12zip_iteratorINS5_IJN6thrust23THRUST_200600_302600_NS6detail15normal_iteratorINSC_10device_ptrIKtEEEESI_EEEEESK_NSA_INS5_IJNSE_INSF_ItEEEESM_EEEEEPS7_SP_SP_NSC_11hip_rocprim7__merge17predicate_wrapperIttNSC_4lessItEEEEEE10hipError_tPvRmT0_T1_T2_T3_T4_T5_mmT6_P12ihipStream_tbEUlT_E_NS1_11comp_targetILNS1_3genE9ELNS1_11target_archE1100ELNS1_3gpuE3ELNS1_3repE0EEENS1_30default_config_static_selectorELNS0_4arch9wavefront6targetE0EEEvS10_.numbered_sgpr, 0
	.set _ZN7rocprim17ROCPRIM_400000_NS6detail17trampoline_kernelINS0_14default_configENS1_21merge_config_selectorINS0_5tupleIJttEEENS0_10empty_typeEEEZNS1_10merge_implIS3_NS0_12zip_iteratorINS5_IJN6thrust23THRUST_200600_302600_NS6detail15normal_iteratorINSC_10device_ptrIKtEEEESI_EEEEESK_NSA_INS5_IJNSE_INSF_ItEEEESM_EEEEEPS7_SP_SP_NSC_11hip_rocprim7__merge17predicate_wrapperIttNSC_4lessItEEEEEE10hipError_tPvRmT0_T1_T2_T3_T4_T5_mmT6_P12ihipStream_tbEUlT_E_NS1_11comp_targetILNS1_3genE9ELNS1_11target_archE1100ELNS1_3gpuE3ELNS1_3repE0EEENS1_30default_config_static_selectorELNS0_4arch9wavefront6targetE0EEEvS10_.num_named_barrier, 0
	.set _ZN7rocprim17ROCPRIM_400000_NS6detail17trampoline_kernelINS0_14default_configENS1_21merge_config_selectorINS0_5tupleIJttEEENS0_10empty_typeEEEZNS1_10merge_implIS3_NS0_12zip_iteratorINS5_IJN6thrust23THRUST_200600_302600_NS6detail15normal_iteratorINSC_10device_ptrIKtEEEESI_EEEEESK_NSA_INS5_IJNSE_INSF_ItEEEESM_EEEEEPS7_SP_SP_NSC_11hip_rocprim7__merge17predicate_wrapperIttNSC_4lessItEEEEEE10hipError_tPvRmT0_T1_T2_T3_T4_T5_mmT6_P12ihipStream_tbEUlT_E_NS1_11comp_targetILNS1_3genE9ELNS1_11target_archE1100ELNS1_3gpuE3ELNS1_3repE0EEENS1_30default_config_static_selectorELNS0_4arch9wavefront6targetE0EEEvS10_.private_seg_size, 0
	.set _ZN7rocprim17ROCPRIM_400000_NS6detail17trampoline_kernelINS0_14default_configENS1_21merge_config_selectorINS0_5tupleIJttEEENS0_10empty_typeEEEZNS1_10merge_implIS3_NS0_12zip_iteratorINS5_IJN6thrust23THRUST_200600_302600_NS6detail15normal_iteratorINSC_10device_ptrIKtEEEESI_EEEEESK_NSA_INS5_IJNSE_INSF_ItEEEESM_EEEEEPS7_SP_SP_NSC_11hip_rocprim7__merge17predicate_wrapperIttNSC_4lessItEEEEEE10hipError_tPvRmT0_T1_T2_T3_T4_T5_mmT6_P12ihipStream_tbEUlT_E_NS1_11comp_targetILNS1_3genE9ELNS1_11target_archE1100ELNS1_3gpuE3ELNS1_3repE0EEENS1_30default_config_static_selectorELNS0_4arch9wavefront6targetE0EEEvS10_.uses_vcc, 0
	.set _ZN7rocprim17ROCPRIM_400000_NS6detail17trampoline_kernelINS0_14default_configENS1_21merge_config_selectorINS0_5tupleIJttEEENS0_10empty_typeEEEZNS1_10merge_implIS3_NS0_12zip_iteratorINS5_IJN6thrust23THRUST_200600_302600_NS6detail15normal_iteratorINSC_10device_ptrIKtEEEESI_EEEEESK_NSA_INS5_IJNSE_INSF_ItEEEESM_EEEEEPS7_SP_SP_NSC_11hip_rocprim7__merge17predicate_wrapperIttNSC_4lessItEEEEEE10hipError_tPvRmT0_T1_T2_T3_T4_T5_mmT6_P12ihipStream_tbEUlT_E_NS1_11comp_targetILNS1_3genE9ELNS1_11target_archE1100ELNS1_3gpuE3ELNS1_3repE0EEENS1_30default_config_static_selectorELNS0_4arch9wavefront6targetE0EEEvS10_.uses_flat_scratch, 0
	.set _ZN7rocprim17ROCPRIM_400000_NS6detail17trampoline_kernelINS0_14default_configENS1_21merge_config_selectorINS0_5tupleIJttEEENS0_10empty_typeEEEZNS1_10merge_implIS3_NS0_12zip_iteratorINS5_IJN6thrust23THRUST_200600_302600_NS6detail15normal_iteratorINSC_10device_ptrIKtEEEESI_EEEEESK_NSA_INS5_IJNSE_INSF_ItEEEESM_EEEEEPS7_SP_SP_NSC_11hip_rocprim7__merge17predicate_wrapperIttNSC_4lessItEEEEEE10hipError_tPvRmT0_T1_T2_T3_T4_T5_mmT6_P12ihipStream_tbEUlT_E_NS1_11comp_targetILNS1_3genE9ELNS1_11target_archE1100ELNS1_3gpuE3ELNS1_3repE0EEENS1_30default_config_static_selectorELNS0_4arch9wavefront6targetE0EEEvS10_.has_dyn_sized_stack, 0
	.set _ZN7rocprim17ROCPRIM_400000_NS6detail17trampoline_kernelINS0_14default_configENS1_21merge_config_selectorINS0_5tupleIJttEEENS0_10empty_typeEEEZNS1_10merge_implIS3_NS0_12zip_iteratorINS5_IJN6thrust23THRUST_200600_302600_NS6detail15normal_iteratorINSC_10device_ptrIKtEEEESI_EEEEESK_NSA_INS5_IJNSE_INSF_ItEEEESM_EEEEEPS7_SP_SP_NSC_11hip_rocprim7__merge17predicate_wrapperIttNSC_4lessItEEEEEE10hipError_tPvRmT0_T1_T2_T3_T4_T5_mmT6_P12ihipStream_tbEUlT_E_NS1_11comp_targetILNS1_3genE9ELNS1_11target_archE1100ELNS1_3gpuE3ELNS1_3repE0EEENS1_30default_config_static_selectorELNS0_4arch9wavefront6targetE0EEEvS10_.has_recursion, 0
	.set _ZN7rocprim17ROCPRIM_400000_NS6detail17trampoline_kernelINS0_14default_configENS1_21merge_config_selectorINS0_5tupleIJttEEENS0_10empty_typeEEEZNS1_10merge_implIS3_NS0_12zip_iteratorINS5_IJN6thrust23THRUST_200600_302600_NS6detail15normal_iteratorINSC_10device_ptrIKtEEEESI_EEEEESK_NSA_INS5_IJNSE_INSF_ItEEEESM_EEEEEPS7_SP_SP_NSC_11hip_rocprim7__merge17predicate_wrapperIttNSC_4lessItEEEEEE10hipError_tPvRmT0_T1_T2_T3_T4_T5_mmT6_P12ihipStream_tbEUlT_E_NS1_11comp_targetILNS1_3genE9ELNS1_11target_archE1100ELNS1_3gpuE3ELNS1_3repE0EEENS1_30default_config_static_selectorELNS0_4arch9wavefront6targetE0EEEvS10_.has_indirect_call, 0
	.section	.AMDGPU.csdata,"",@progbits
; Kernel info:
; codeLenInByte = 0
; TotalNumSgprs: 0
; NumVgprs: 0
; ScratchSize: 0
; MemoryBound: 0
; FloatMode: 240
; IeeeMode: 1
; LDSByteSize: 0 bytes/workgroup (compile time only)
; SGPRBlocks: 0
; VGPRBlocks: 0
; NumSGPRsForWavesPerEU: 1
; NumVGPRsForWavesPerEU: 1
; NamedBarCnt: 0
; Occupancy: 16
; WaveLimiterHint : 0
; COMPUTE_PGM_RSRC2:SCRATCH_EN: 0
; COMPUTE_PGM_RSRC2:USER_SGPR: 2
; COMPUTE_PGM_RSRC2:TRAP_HANDLER: 0
; COMPUTE_PGM_RSRC2:TGID_X_EN: 1
; COMPUTE_PGM_RSRC2:TGID_Y_EN: 0
; COMPUTE_PGM_RSRC2:TGID_Z_EN: 0
; COMPUTE_PGM_RSRC2:TIDIG_COMP_CNT: 0
	.section	.text._ZN7rocprim17ROCPRIM_400000_NS6detail17trampoline_kernelINS0_14default_configENS1_21merge_config_selectorINS0_5tupleIJttEEENS0_10empty_typeEEEZNS1_10merge_implIS3_NS0_12zip_iteratorINS5_IJN6thrust23THRUST_200600_302600_NS6detail15normal_iteratorINSC_10device_ptrIKtEEEESI_EEEEESK_NSA_INS5_IJNSE_INSF_ItEEEESM_EEEEEPS7_SP_SP_NSC_11hip_rocprim7__merge17predicate_wrapperIttNSC_4lessItEEEEEE10hipError_tPvRmT0_T1_T2_T3_T4_T5_mmT6_P12ihipStream_tbEUlT_E_NS1_11comp_targetILNS1_3genE8ELNS1_11target_archE1030ELNS1_3gpuE2ELNS1_3repE0EEENS1_30default_config_static_selectorELNS0_4arch9wavefront6targetE0EEEvS10_,"axG",@progbits,_ZN7rocprim17ROCPRIM_400000_NS6detail17trampoline_kernelINS0_14default_configENS1_21merge_config_selectorINS0_5tupleIJttEEENS0_10empty_typeEEEZNS1_10merge_implIS3_NS0_12zip_iteratorINS5_IJN6thrust23THRUST_200600_302600_NS6detail15normal_iteratorINSC_10device_ptrIKtEEEESI_EEEEESK_NSA_INS5_IJNSE_INSF_ItEEEESM_EEEEEPS7_SP_SP_NSC_11hip_rocprim7__merge17predicate_wrapperIttNSC_4lessItEEEEEE10hipError_tPvRmT0_T1_T2_T3_T4_T5_mmT6_P12ihipStream_tbEUlT_E_NS1_11comp_targetILNS1_3genE8ELNS1_11target_archE1030ELNS1_3gpuE2ELNS1_3repE0EEENS1_30default_config_static_selectorELNS0_4arch9wavefront6targetE0EEEvS10_,comdat
	.protected	_ZN7rocprim17ROCPRIM_400000_NS6detail17trampoline_kernelINS0_14default_configENS1_21merge_config_selectorINS0_5tupleIJttEEENS0_10empty_typeEEEZNS1_10merge_implIS3_NS0_12zip_iteratorINS5_IJN6thrust23THRUST_200600_302600_NS6detail15normal_iteratorINSC_10device_ptrIKtEEEESI_EEEEESK_NSA_INS5_IJNSE_INSF_ItEEEESM_EEEEEPS7_SP_SP_NSC_11hip_rocprim7__merge17predicate_wrapperIttNSC_4lessItEEEEEE10hipError_tPvRmT0_T1_T2_T3_T4_T5_mmT6_P12ihipStream_tbEUlT_E_NS1_11comp_targetILNS1_3genE8ELNS1_11target_archE1030ELNS1_3gpuE2ELNS1_3repE0EEENS1_30default_config_static_selectorELNS0_4arch9wavefront6targetE0EEEvS10_ ; -- Begin function _ZN7rocprim17ROCPRIM_400000_NS6detail17trampoline_kernelINS0_14default_configENS1_21merge_config_selectorINS0_5tupleIJttEEENS0_10empty_typeEEEZNS1_10merge_implIS3_NS0_12zip_iteratorINS5_IJN6thrust23THRUST_200600_302600_NS6detail15normal_iteratorINSC_10device_ptrIKtEEEESI_EEEEESK_NSA_INS5_IJNSE_INSF_ItEEEESM_EEEEEPS7_SP_SP_NSC_11hip_rocprim7__merge17predicate_wrapperIttNSC_4lessItEEEEEE10hipError_tPvRmT0_T1_T2_T3_T4_T5_mmT6_P12ihipStream_tbEUlT_E_NS1_11comp_targetILNS1_3genE8ELNS1_11target_archE1030ELNS1_3gpuE2ELNS1_3repE0EEENS1_30default_config_static_selectorELNS0_4arch9wavefront6targetE0EEEvS10_
	.globl	_ZN7rocprim17ROCPRIM_400000_NS6detail17trampoline_kernelINS0_14default_configENS1_21merge_config_selectorINS0_5tupleIJttEEENS0_10empty_typeEEEZNS1_10merge_implIS3_NS0_12zip_iteratorINS5_IJN6thrust23THRUST_200600_302600_NS6detail15normal_iteratorINSC_10device_ptrIKtEEEESI_EEEEESK_NSA_INS5_IJNSE_INSF_ItEEEESM_EEEEEPS7_SP_SP_NSC_11hip_rocprim7__merge17predicate_wrapperIttNSC_4lessItEEEEEE10hipError_tPvRmT0_T1_T2_T3_T4_T5_mmT6_P12ihipStream_tbEUlT_E_NS1_11comp_targetILNS1_3genE8ELNS1_11target_archE1030ELNS1_3gpuE2ELNS1_3repE0EEENS1_30default_config_static_selectorELNS0_4arch9wavefront6targetE0EEEvS10_
	.p2align	8
	.type	_ZN7rocprim17ROCPRIM_400000_NS6detail17trampoline_kernelINS0_14default_configENS1_21merge_config_selectorINS0_5tupleIJttEEENS0_10empty_typeEEEZNS1_10merge_implIS3_NS0_12zip_iteratorINS5_IJN6thrust23THRUST_200600_302600_NS6detail15normal_iteratorINSC_10device_ptrIKtEEEESI_EEEEESK_NSA_INS5_IJNSE_INSF_ItEEEESM_EEEEEPS7_SP_SP_NSC_11hip_rocprim7__merge17predicate_wrapperIttNSC_4lessItEEEEEE10hipError_tPvRmT0_T1_T2_T3_T4_T5_mmT6_P12ihipStream_tbEUlT_E_NS1_11comp_targetILNS1_3genE8ELNS1_11target_archE1030ELNS1_3gpuE2ELNS1_3repE0EEENS1_30default_config_static_selectorELNS0_4arch9wavefront6targetE0EEEvS10_,@function
_ZN7rocprim17ROCPRIM_400000_NS6detail17trampoline_kernelINS0_14default_configENS1_21merge_config_selectorINS0_5tupleIJttEEENS0_10empty_typeEEEZNS1_10merge_implIS3_NS0_12zip_iteratorINS5_IJN6thrust23THRUST_200600_302600_NS6detail15normal_iteratorINSC_10device_ptrIKtEEEESI_EEEEESK_NSA_INS5_IJNSE_INSF_ItEEEESM_EEEEEPS7_SP_SP_NSC_11hip_rocprim7__merge17predicate_wrapperIttNSC_4lessItEEEEEE10hipError_tPvRmT0_T1_T2_T3_T4_T5_mmT6_P12ihipStream_tbEUlT_E_NS1_11comp_targetILNS1_3genE8ELNS1_11target_archE1030ELNS1_3gpuE2ELNS1_3repE0EEENS1_30default_config_static_selectorELNS0_4arch9wavefront6targetE0EEEvS10_: ; @_ZN7rocprim17ROCPRIM_400000_NS6detail17trampoline_kernelINS0_14default_configENS1_21merge_config_selectorINS0_5tupleIJttEEENS0_10empty_typeEEEZNS1_10merge_implIS3_NS0_12zip_iteratorINS5_IJN6thrust23THRUST_200600_302600_NS6detail15normal_iteratorINSC_10device_ptrIKtEEEESI_EEEEESK_NSA_INS5_IJNSE_INSF_ItEEEESM_EEEEEPS7_SP_SP_NSC_11hip_rocprim7__merge17predicate_wrapperIttNSC_4lessItEEEEEE10hipError_tPvRmT0_T1_T2_T3_T4_T5_mmT6_P12ihipStream_tbEUlT_E_NS1_11comp_targetILNS1_3genE8ELNS1_11target_archE1030ELNS1_3gpuE2ELNS1_3repE0EEENS1_30default_config_static_selectorELNS0_4arch9wavefront6targetE0EEEvS10_
; %bb.0:
	.section	.rodata,"a",@progbits
	.p2align	6, 0x0
	.amdhsa_kernel _ZN7rocprim17ROCPRIM_400000_NS6detail17trampoline_kernelINS0_14default_configENS1_21merge_config_selectorINS0_5tupleIJttEEENS0_10empty_typeEEEZNS1_10merge_implIS3_NS0_12zip_iteratorINS5_IJN6thrust23THRUST_200600_302600_NS6detail15normal_iteratorINSC_10device_ptrIKtEEEESI_EEEEESK_NSA_INS5_IJNSE_INSF_ItEEEESM_EEEEEPS7_SP_SP_NSC_11hip_rocprim7__merge17predicate_wrapperIttNSC_4lessItEEEEEE10hipError_tPvRmT0_T1_T2_T3_T4_T5_mmT6_P12ihipStream_tbEUlT_E_NS1_11comp_targetILNS1_3genE8ELNS1_11target_archE1030ELNS1_3gpuE2ELNS1_3repE0EEENS1_30default_config_static_selectorELNS0_4arch9wavefront6targetE0EEEvS10_
		.amdhsa_group_segment_fixed_size 0
		.amdhsa_private_segment_fixed_size 0
		.amdhsa_kernarg_size 64
		.amdhsa_user_sgpr_count 2
		.amdhsa_user_sgpr_dispatch_ptr 0
		.amdhsa_user_sgpr_queue_ptr 0
		.amdhsa_user_sgpr_kernarg_segment_ptr 1
		.amdhsa_user_sgpr_dispatch_id 0
		.amdhsa_user_sgpr_kernarg_preload_length 0
		.amdhsa_user_sgpr_kernarg_preload_offset 0
		.amdhsa_user_sgpr_private_segment_size 0
		.amdhsa_wavefront_size32 1
		.amdhsa_uses_dynamic_stack 0
		.amdhsa_enable_private_segment 0
		.amdhsa_system_sgpr_workgroup_id_x 1
		.amdhsa_system_sgpr_workgroup_id_y 0
		.amdhsa_system_sgpr_workgroup_id_z 0
		.amdhsa_system_sgpr_workgroup_info 0
		.amdhsa_system_vgpr_workitem_id 0
		.amdhsa_next_free_vgpr 1
		.amdhsa_next_free_sgpr 1
		.amdhsa_named_barrier_count 0
		.amdhsa_reserve_vcc 0
		.amdhsa_float_round_mode_32 0
		.amdhsa_float_round_mode_16_64 0
		.amdhsa_float_denorm_mode_32 3
		.amdhsa_float_denorm_mode_16_64 3
		.amdhsa_fp16_overflow 0
		.amdhsa_memory_ordered 1
		.amdhsa_forward_progress 1
		.amdhsa_inst_pref_size 0
		.amdhsa_round_robin_scheduling 0
		.amdhsa_exception_fp_ieee_invalid_op 0
		.amdhsa_exception_fp_denorm_src 0
		.amdhsa_exception_fp_ieee_div_zero 0
		.amdhsa_exception_fp_ieee_overflow 0
		.amdhsa_exception_fp_ieee_underflow 0
		.amdhsa_exception_fp_ieee_inexact 0
		.amdhsa_exception_int_div_zero 0
	.end_amdhsa_kernel
	.section	.text._ZN7rocprim17ROCPRIM_400000_NS6detail17trampoline_kernelINS0_14default_configENS1_21merge_config_selectorINS0_5tupleIJttEEENS0_10empty_typeEEEZNS1_10merge_implIS3_NS0_12zip_iteratorINS5_IJN6thrust23THRUST_200600_302600_NS6detail15normal_iteratorINSC_10device_ptrIKtEEEESI_EEEEESK_NSA_INS5_IJNSE_INSF_ItEEEESM_EEEEEPS7_SP_SP_NSC_11hip_rocprim7__merge17predicate_wrapperIttNSC_4lessItEEEEEE10hipError_tPvRmT0_T1_T2_T3_T4_T5_mmT6_P12ihipStream_tbEUlT_E_NS1_11comp_targetILNS1_3genE8ELNS1_11target_archE1030ELNS1_3gpuE2ELNS1_3repE0EEENS1_30default_config_static_selectorELNS0_4arch9wavefront6targetE0EEEvS10_,"axG",@progbits,_ZN7rocprim17ROCPRIM_400000_NS6detail17trampoline_kernelINS0_14default_configENS1_21merge_config_selectorINS0_5tupleIJttEEENS0_10empty_typeEEEZNS1_10merge_implIS3_NS0_12zip_iteratorINS5_IJN6thrust23THRUST_200600_302600_NS6detail15normal_iteratorINSC_10device_ptrIKtEEEESI_EEEEESK_NSA_INS5_IJNSE_INSF_ItEEEESM_EEEEEPS7_SP_SP_NSC_11hip_rocprim7__merge17predicate_wrapperIttNSC_4lessItEEEEEE10hipError_tPvRmT0_T1_T2_T3_T4_T5_mmT6_P12ihipStream_tbEUlT_E_NS1_11comp_targetILNS1_3genE8ELNS1_11target_archE1030ELNS1_3gpuE2ELNS1_3repE0EEENS1_30default_config_static_selectorELNS0_4arch9wavefront6targetE0EEEvS10_,comdat
.Lfunc_end178:
	.size	_ZN7rocprim17ROCPRIM_400000_NS6detail17trampoline_kernelINS0_14default_configENS1_21merge_config_selectorINS0_5tupleIJttEEENS0_10empty_typeEEEZNS1_10merge_implIS3_NS0_12zip_iteratorINS5_IJN6thrust23THRUST_200600_302600_NS6detail15normal_iteratorINSC_10device_ptrIKtEEEESI_EEEEESK_NSA_INS5_IJNSE_INSF_ItEEEESM_EEEEEPS7_SP_SP_NSC_11hip_rocprim7__merge17predicate_wrapperIttNSC_4lessItEEEEEE10hipError_tPvRmT0_T1_T2_T3_T4_T5_mmT6_P12ihipStream_tbEUlT_E_NS1_11comp_targetILNS1_3genE8ELNS1_11target_archE1030ELNS1_3gpuE2ELNS1_3repE0EEENS1_30default_config_static_selectorELNS0_4arch9wavefront6targetE0EEEvS10_, .Lfunc_end178-_ZN7rocprim17ROCPRIM_400000_NS6detail17trampoline_kernelINS0_14default_configENS1_21merge_config_selectorINS0_5tupleIJttEEENS0_10empty_typeEEEZNS1_10merge_implIS3_NS0_12zip_iteratorINS5_IJN6thrust23THRUST_200600_302600_NS6detail15normal_iteratorINSC_10device_ptrIKtEEEESI_EEEEESK_NSA_INS5_IJNSE_INSF_ItEEEESM_EEEEEPS7_SP_SP_NSC_11hip_rocprim7__merge17predicate_wrapperIttNSC_4lessItEEEEEE10hipError_tPvRmT0_T1_T2_T3_T4_T5_mmT6_P12ihipStream_tbEUlT_E_NS1_11comp_targetILNS1_3genE8ELNS1_11target_archE1030ELNS1_3gpuE2ELNS1_3repE0EEENS1_30default_config_static_selectorELNS0_4arch9wavefront6targetE0EEEvS10_
                                        ; -- End function
	.set _ZN7rocprim17ROCPRIM_400000_NS6detail17trampoline_kernelINS0_14default_configENS1_21merge_config_selectorINS0_5tupleIJttEEENS0_10empty_typeEEEZNS1_10merge_implIS3_NS0_12zip_iteratorINS5_IJN6thrust23THRUST_200600_302600_NS6detail15normal_iteratorINSC_10device_ptrIKtEEEESI_EEEEESK_NSA_INS5_IJNSE_INSF_ItEEEESM_EEEEEPS7_SP_SP_NSC_11hip_rocprim7__merge17predicate_wrapperIttNSC_4lessItEEEEEE10hipError_tPvRmT0_T1_T2_T3_T4_T5_mmT6_P12ihipStream_tbEUlT_E_NS1_11comp_targetILNS1_3genE8ELNS1_11target_archE1030ELNS1_3gpuE2ELNS1_3repE0EEENS1_30default_config_static_selectorELNS0_4arch9wavefront6targetE0EEEvS10_.num_vgpr, 0
	.set _ZN7rocprim17ROCPRIM_400000_NS6detail17trampoline_kernelINS0_14default_configENS1_21merge_config_selectorINS0_5tupleIJttEEENS0_10empty_typeEEEZNS1_10merge_implIS3_NS0_12zip_iteratorINS5_IJN6thrust23THRUST_200600_302600_NS6detail15normal_iteratorINSC_10device_ptrIKtEEEESI_EEEEESK_NSA_INS5_IJNSE_INSF_ItEEEESM_EEEEEPS7_SP_SP_NSC_11hip_rocprim7__merge17predicate_wrapperIttNSC_4lessItEEEEEE10hipError_tPvRmT0_T1_T2_T3_T4_T5_mmT6_P12ihipStream_tbEUlT_E_NS1_11comp_targetILNS1_3genE8ELNS1_11target_archE1030ELNS1_3gpuE2ELNS1_3repE0EEENS1_30default_config_static_selectorELNS0_4arch9wavefront6targetE0EEEvS10_.num_agpr, 0
	.set _ZN7rocprim17ROCPRIM_400000_NS6detail17trampoline_kernelINS0_14default_configENS1_21merge_config_selectorINS0_5tupleIJttEEENS0_10empty_typeEEEZNS1_10merge_implIS3_NS0_12zip_iteratorINS5_IJN6thrust23THRUST_200600_302600_NS6detail15normal_iteratorINSC_10device_ptrIKtEEEESI_EEEEESK_NSA_INS5_IJNSE_INSF_ItEEEESM_EEEEEPS7_SP_SP_NSC_11hip_rocprim7__merge17predicate_wrapperIttNSC_4lessItEEEEEE10hipError_tPvRmT0_T1_T2_T3_T4_T5_mmT6_P12ihipStream_tbEUlT_E_NS1_11comp_targetILNS1_3genE8ELNS1_11target_archE1030ELNS1_3gpuE2ELNS1_3repE0EEENS1_30default_config_static_selectorELNS0_4arch9wavefront6targetE0EEEvS10_.numbered_sgpr, 0
	.set _ZN7rocprim17ROCPRIM_400000_NS6detail17trampoline_kernelINS0_14default_configENS1_21merge_config_selectorINS0_5tupleIJttEEENS0_10empty_typeEEEZNS1_10merge_implIS3_NS0_12zip_iteratorINS5_IJN6thrust23THRUST_200600_302600_NS6detail15normal_iteratorINSC_10device_ptrIKtEEEESI_EEEEESK_NSA_INS5_IJNSE_INSF_ItEEEESM_EEEEEPS7_SP_SP_NSC_11hip_rocprim7__merge17predicate_wrapperIttNSC_4lessItEEEEEE10hipError_tPvRmT0_T1_T2_T3_T4_T5_mmT6_P12ihipStream_tbEUlT_E_NS1_11comp_targetILNS1_3genE8ELNS1_11target_archE1030ELNS1_3gpuE2ELNS1_3repE0EEENS1_30default_config_static_selectorELNS0_4arch9wavefront6targetE0EEEvS10_.num_named_barrier, 0
	.set _ZN7rocprim17ROCPRIM_400000_NS6detail17trampoline_kernelINS0_14default_configENS1_21merge_config_selectorINS0_5tupleIJttEEENS0_10empty_typeEEEZNS1_10merge_implIS3_NS0_12zip_iteratorINS5_IJN6thrust23THRUST_200600_302600_NS6detail15normal_iteratorINSC_10device_ptrIKtEEEESI_EEEEESK_NSA_INS5_IJNSE_INSF_ItEEEESM_EEEEEPS7_SP_SP_NSC_11hip_rocprim7__merge17predicate_wrapperIttNSC_4lessItEEEEEE10hipError_tPvRmT0_T1_T2_T3_T4_T5_mmT6_P12ihipStream_tbEUlT_E_NS1_11comp_targetILNS1_3genE8ELNS1_11target_archE1030ELNS1_3gpuE2ELNS1_3repE0EEENS1_30default_config_static_selectorELNS0_4arch9wavefront6targetE0EEEvS10_.private_seg_size, 0
	.set _ZN7rocprim17ROCPRIM_400000_NS6detail17trampoline_kernelINS0_14default_configENS1_21merge_config_selectorINS0_5tupleIJttEEENS0_10empty_typeEEEZNS1_10merge_implIS3_NS0_12zip_iteratorINS5_IJN6thrust23THRUST_200600_302600_NS6detail15normal_iteratorINSC_10device_ptrIKtEEEESI_EEEEESK_NSA_INS5_IJNSE_INSF_ItEEEESM_EEEEEPS7_SP_SP_NSC_11hip_rocprim7__merge17predicate_wrapperIttNSC_4lessItEEEEEE10hipError_tPvRmT0_T1_T2_T3_T4_T5_mmT6_P12ihipStream_tbEUlT_E_NS1_11comp_targetILNS1_3genE8ELNS1_11target_archE1030ELNS1_3gpuE2ELNS1_3repE0EEENS1_30default_config_static_selectorELNS0_4arch9wavefront6targetE0EEEvS10_.uses_vcc, 0
	.set _ZN7rocprim17ROCPRIM_400000_NS6detail17trampoline_kernelINS0_14default_configENS1_21merge_config_selectorINS0_5tupleIJttEEENS0_10empty_typeEEEZNS1_10merge_implIS3_NS0_12zip_iteratorINS5_IJN6thrust23THRUST_200600_302600_NS6detail15normal_iteratorINSC_10device_ptrIKtEEEESI_EEEEESK_NSA_INS5_IJNSE_INSF_ItEEEESM_EEEEEPS7_SP_SP_NSC_11hip_rocprim7__merge17predicate_wrapperIttNSC_4lessItEEEEEE10hipError_tPvRmT0_T1_T2_T3_T4_T5_mmT6_P12ihipStream_tbEUlT_E_NS1_11comp_targetILNS1_3genE8ELNS1_11target_archE1030ELNS1_3gpuE2ELNS1_3repE0EEENS1_30default_config_static_selectorELNS0_4arch9wavefront6targetE0EEEvS10_.uses_flat_scratch, 0
	.set _ZN7rocprim17ROCPRIM_400000_NS6detail17trampoline_kernelINS0_14default_configENS1_21merge_config_selectorINS0_5tupleIJttEEENS0_10empty_typeEEEZNS1_10merge_implIS3_NS0_12zip_iteratorINS5_IJN6thrust23THRUST_200600_302600_NS6detail15normal_iteratorINSC_10device_ptrIKtEEEESI_EEEEESK_NSA_INS5_IJNSE_INSF_ItEEEESM_EEEEEPS7_SP_SP_NSC_11hip_rocprim7__merge17predicate_wrapperIttNSC_4lessItEEEEEE10hipError_tPvRmT0_T1_T2_T3_T4_T5_mmT6_P12ihipStream_tbEUlT_E_NS1_11comp_targetILNS1_3genE8ELNS1_11target_archE1030ELNS1_3gpuE2ELNS1_3repE0EEENS1_30default_config_static_selectorELNS0_4arch9wavefront6targetE0EEEvS10_.has_dyn_sized_stack, 0
	.set _ZN7rocprim17ROCPRIM_400000_NS6detail17trampoline_kernelINS0_14default_configENS1_21merge_config_selectorINS0_5tupleIJttEEENS0_10empty_typeEEEZNS1_10merge_implIS3_NS0_12zip_iteratorINS5_IJN6thrust23THRUST_200600_302600_NS6detail15normal_iteratorINSC_10device_ptrIKtEEEESI_EEEEESK_NSA_INS5_IJNSE_INSF_ItEEEESM_EEEEEPS7_SP_SP_NSC_11hip_rocprim7__merge17predicate_wrapperIttNSC_4lessItEEEEEE10hipError_tPvRmT0_T1_T2_T3_T4_T5_mmT6_P12ihipStream_tbEUlT_E_NS1_11comp_targetILNS1_3genE8ELNS1_11target_archE1030ELNS1_3gpuE2ELNS1_3repE0EEENS1_30default_config_static_selectorELNS0_4arch9wavefront6targetE0EEEvS10_.has_recursion, 0
	.set _ZN7rocprim17ROCPRIM_400000_NS6detail17trampoline_kernelINS0_14default_configENS1_21merge_config_selectorINS0_5tupleIJttEEENS0_10empty_typeEEEZNS1_10merge_implIS3_NS0_12zip_iteratorINS5_IJN6thrust23THRUST_200600_302600_NS6detail15normal_iteratorINSC_10device_ptrIKtEEEESI_EEEEESK_NSA_INS5_IJNSE_INSF_ItEEEESM_EEEEEPS7_SP_SP_NSC_11hip_rocprim7__merge17predicate_wrapperIttNSC_4lessItEEEEEE10hipError_tPvRmT0_T1_T2_T3_T4_T5_mmT6_P12ihipStream_tbEUlT_E_NS1_11comp_targetILNS1_3genE8ELNS1_11target_archE1030ELNS1_3gpuE2ELNS1_3repE0EEENS1_30default_config_static_selectorELNS0_4arch9wavefront6targetE0EEEvS10_.has_indirect_call, 0
	.section	.AMDGPU.csdata,"",@progbits
; Kernel info:
; codeLenInByte = 0
; TotalNumSgprs: 0
; NumVgprs: 0
; ScratchSize: 0
; MemoryBound: 0
; FloatMode: 240
; IeeeMode: 1
; LDSByteSize: 0 bytes/workgroup (compile time only)
; SGPRBlocks: 0
; VGPRBlocks: 0
; NumSGPRsForWavesPerEU: 1
; NumVGPRsForWavesPerEU: 1
; NamedBarCnt: 0
; Occupancy: 16
; WaveLimiterHint : 0
; COMPUTE_PGM_RSRC2:SCRATCH_EN: 0
; COMPUTE_PGM_RSRC2:USER_SGPR: 2
; COMPUTE_PGM_RSRC2:TRAP_HANDLER: 0
; COMPUTE_PGM_RSRC2:TGID_X_EN: 1
; COMPUTE_PGM_RSRC2:TGID_Y_EN: 0
; COMPUTE_PGM_RSRC2:TGID_Z_EN: 0
; COMPUTE_PGM_RSRC2:TIDIG_COMP_CNT: 0
	.section	.text._ZN7rocprim17ROCPRIM_400000_NS6detail17trampoline_kernelINS0_14default_configENS1_21merge_config_selectorINS0_5tupleIJttEEENS0_10empty_typeEEEZNS1_10merge_implIS3_NS0_12zip_iteratorINS5_IJN6thrust23THRUST_200600_302600_NS6detail15normal_iteratorINSC_10device_ptrIKtEEEESI_EEEEESK_NSA_INS5_IJNSE_INSF_ItEEEESM_EEEEEPS7_SP_SP_NSC_11hip_rocprim7__merge17predicate_wrapperIttNSC_4lessItEEEEEE10hipError_tPvRmT0_T1_T2_T3_T4_T5_mmT6_P12ihipStream_tbEUlT_E0_NS1_11comp_targetILNS1_3genE0ELNS1_11target_archE4294967295ELNS1_3gpuE0ELNS1_3repE0EEENS1_30default_config_static_selectorELNS0_4arch9wavefront6targetE0EEEvS10_,"axG",@progbits,_ZN7rocprim17ROCPRIM_400000_NS6detail17trampoline_kernelINS0_14default_configENS1_21merge_config_selectorINS0_5tupleIJttEEENS0_10empty_typeEEEZNS1_10merge_implIS3_NS0_12zip_iteratorINS5_IJN6thrust23THRUST_200600_302600_NS6detail15normal_iteratorINSC_10device_ptrIKtEEEESI_EEEEESK_NSA_INS5_IJNSE_INSF_ItEEEESM_EEEEEPS7_SP_SP_NSC_11hip_rocprim7__merge17predicate_wrapperIttNSC_4lessItEEEEEE10hipError_tPvRmT0_T1_T2_T3_T4_T5_mmT6_P12ihipStream_tbEUlT_E0_NS1_11comp_targetILNS1_3genE0ELNS1_11target_archE4294967295ELNS1_3gpuE0ELNS1_3repE0EEENS1_30default_config_static_selectorELNS0_4arch9wavefront6targetE0EEEvS10_,comdat
	.protected	_ZN7rocprim17ROCPRIM_400000_NS6detail17trampoline_kernelINS0_14default_configENS1_21merge_config_selectorINS0_5tupleIJttEEENS0_10empty_typeEEEZNS1_10merge_implIS3_NS0_12zip_iteratorINS5_IJN6thrust23THRUST_200600_302600_NS6detail15normal_iteratorINSC_10device_ptrIKtEEEESI_EEEEESK_NSA_INS5_IJNSE_INSF_ItEEEESM_EEEEEPS7_SP_SP_NSC_11hip_rocprim7__merge17predicate_wrapperIttNSC_4lessItEEEEEE10hipError_tPvRmT0_T1_T2_T3_T4_T5_mmT6_P12ihipStream_tbEUlT_E0_NS1_11comp_targetILNS1_3genE0ELNS1_11target_archE4294967295ELNS1_3gpuE0ELNS1_3repE0EEENS1_30default_config_static_selectorELNS0_4arch9wavefront6targetE0EEEvS10_ ; -- Begin function _ZN7rocprim17ROCPRIM_400000_NS6detail17trampoline_kernelINS0_14default_configENS1_21merge_config_selectorINS0_5tupleIJttEEENS0_10empty_typeEEEZNS1_10merge_implIS3_NS0_12zip_iteratorINS5_IJN6thrust23THRUST_200600_302600_NS6detail15normal_iteratorINSC_10device_ptrIKtEEEESI_EEEEESK_NSA_INS5_IJNSE_INSF_ItEEEESM_EEEEEPS7_SP_SP_NSC_11hip_rocprim7__merge17predicate_wrapperIttNSC_4lessItEEEEEE10hipError_tPvRmT0_T1_T2_T3_T4_T5_mmT6_P12ihipStream_tbEUlT_E0_NS1_11comp_targetILNS1_3genE0ELNS1_11target_archE4294967295ELNS1_3gpuE0ELNS1_3repE0EEENS1_30default_config_static_selectorELNS0_4arch9wavefront6targetE0EEEvS10_
	.globl	_ZN7rocprim17ROCPRIM_400000_NS6detail17trampoline_kernelINS0_14default_configENS1_21merge_config_selectorINS0_5tupleIJttEEENS0_10empty_typeEEEZNS1_10merge_implIS3_NS0_12zip_iteratorINS5_IJN6thrust23THRUST_200600_302600_NS6detail15normal_iteratorINSC_10device_ptrIKtEEEESI_EEEEESK_NSA_INS5_IJNSE_INSF_ItEEEESM_EEEEEPS7_SP_SP_NSC_11hip_rocprim7__merge17predicate_wrapperIttNSC_4lessItEEEEEE10hipError_tPvRmT0_T1_T2_T3_T4_T5_mmT6_P12ihipStream_tbEUlT_E0_NS1_11comp_targetILNS1_3genE0ELNS1_11target_archE4294967295ELNS1_3gpuE0ELNS1_3repE0EEENS1_30default_config_static_selectorELNS0_4arch9wavefront6targetE0EEEvS10_
	.p2align	8
	.type	_ZN7rocprim17ROCPRIM_400000_NS6detail17trampoline_kernelINS0_14default_configENS1_21merge_config_selectorINS0_5tupleIJttEEENS0_10empty_typeEEEZNS1_10merge_implIS3_NS0_12zip_iteratorINS5_IJN6thrust23THRUST_200600_302600_NS6detail15normal_iteratorINSC_10device_ptrIKtEEEESI_EEEEESK_NSA_INS5_IJNSE_INSF_ItEEEESM_EEEEEPS7_SP_SP_NSC_11hip_rocprim7__merge17predicate_wrapperIttNSC_4lessItEEEEEE10hipError_tPvRmT0_T1_T2_T3_T4_T5_mmT6_P12ihipStream_tbEUlT_E0_NS1_11comp_targetILNS1_3genE0ELNS1_11target_archE4294967295ELNS1_3gpuE0ELNS1_3repE0EEENS1_30default_config_static_selectorELNS0_4arch9wavefront6targetE0EEEvS10_,@function
_ZN7rocprim17ROCPRIM_400000_NS6detail17trampoline_kernelINS0_14default_configENS1_21merge_config_selectorINS0_5tupleIJttEEENS0_10empty_typeEEEZNS1_10merge_implIS3_NS0_12zip_iteratorINS5_IJN6thrust23THRUST_200600_302600_NS6detail15normal_iteratorINSC_10device_ptrIKtEEEESI_EEEEESK_NSA_INS5_IJNSE_INSF_ItEEEESM_EEEEEPS7_SP_SP_NSC_11hip_rocprim7__merge17predicate_wrapperIttNSC_4lessItEEEEEE10hipError_tPvRmT0_T1_T2_T3_T4_T5_mmT6_P12ihipStream_tbEUlT_E0_NS1_11comp_targetILNS1_3genE0ELNS1_11target_archE4294967295ELNS1_3gpuE0ELNS1_3repE0EEENS1_30default_config_static_selectorELNS0_4arch9wavefront6targetE0EEEvS10_: ; @_ZN7rocprim17ROCPRIM_400000_NS6detail17trampoline_kernelINS0_14default_configENS1_21merge_config_selectorINS0_5tupleIJttEEENS0_10empty_typeEEEZNS1_10merge_implIS3_NS0_12zip_iteratorINS5_IJN6thrust23THRUST_200600_302600_NS6detail15normal_iteratorINSC_10device_ptrIKtEEEESI_EEEEESK_NSA_INS5_IJNSE_INSF_ItEEEESM_EEEEEPS7_SP_SP_NSC_11hip_rocprim7__merge17predicate_wrapperIttNSC_4lessItEEEEEE10hipError_tPvRmT0_T1_T2_T3_T4_T5_mmT6_P12ihipStream_tbEUlT_E0_NS1_11comp_targetILNS1_3genE0ELNS1_11target_archE4294967295ELNS1_3gpuE0ELNS1_3repE0EEENS1_30default_config_static_selectorELNS0_4arch9wavefront6targetE0EEEvS10_
; %bb.0:
	s_clause 0x1
	s_load_b128 s[12:15], s[0:1], 0x58
	s_load_b256 s[4:11], s[0:1], 0x8
	s_bfe_u32 s2, ttmp6, 0x4000c
	s_and_b32 s3, ttmp6, 15
	s_add_co_i32 s2, s2, 1
	s_wait_kmcnt 0x0
	s_getreg_b32 s13, hwreg(HW_REG_IB_STS2, 6, 4)
	s_mul_i32 s2, ttmp9, s2
	s_mov_b32 s19, 0
	s_add_co_i32 s3, s3, s2
	s_cmp_eq_u32 s13, 0
	v_mov_b32_e32 v1, 0
	s_cselect_b32 s2, ttmp9, s3
	s_add_co_i32 s22, s14, s12
	s_add_co_i32 s12, s2, 1
	;; [unrolled: 1-line block ×3, first 2 shown]
	s_delay_alu instid0(SALU_CYCLE_1) | instskip(NEXT) | instid1(SALU_CYCLE_1)
	s_mul_hi_u32 s3, s3, 0xcccccccd
	s_lshr_b32 s3, s3, 11
	s_delay_alu instid0(SALU_CYCLE_1)
	s_min_u32 s16, s2, s3
	s_min_u32 s3, s12, s3
	s_clause 0x1
	s_load_b32 s18, s[4:5], s16 offset:0x0 scale_offset
	s_load_b32 s17, s[4:5], s3 offset:0x0 scale_offset
	s_load_b128 s[12:15], s[0:1], 0x28
	s_wait_xcnt 0x0
	s_mul_i32 s16, s2, 0xa00
	s_mov_b32 s3, s19
	s_add_co_i32 s2, s16, 0xa00
	s_delay_alu instid0(SALU_CYCLE_1)
	s_min_u32 s23, s22, s2
	s_wait_kmcnt 0x0
	s_sub_co_i32 s2, s16, s18
	s_lshl_b64 s[20:21], s[18:19], 1
	s_lshl_b64 s[24:25], s[2:3], 1
	s_add_co_i32 s2, s2, s17
	s_sub_co_i32 s18, s17, s18
	s_sub_co_i32 s2, s23, s2
	s_add_nc_u64 s[4:5], s[10:11], s[24:25]
	s_add_nc_u64 s[10:11], s[12:13], s[24:25]
	s_add_nc_u64 s[12:13], s[2:3], s[18:19]
	s_mov_b32 s3, exec_lo
	v_cmpx_le_u32_e64 s18, v0
	s_xor_b32 s3, exec_lo, s3
	s_cbranch_execz .LBB179_4
; %bb.1:
	s_mov_b32 s17, exec_lo
	v_cmpx_gt_u64_e64 s[12:13], v[0:1]
	s_cbranch_execz .LBB179_3
; %bb.2:
	v_subrev_nc_u32_e32 v2, s18, v0
	s_clause 0x1
	global_load_u16 v3, v2, s[4:5] scale_offset
	global_load_u16 v4, v2, s[10:11] scale_offset
	s_wait_xcnt 0x0
	v_lshlrev_b32_e32 v2, 2, v0
	s_wait_loadcnt 0x0
	v_perm_b32 v3, v4, v3, 0x5040100
	ds_store_b32 v2, v3
.LBB179_3:
	s_or_b32 exec_lo, exec_lo, s17
.LBB179_4:
	s_or_saveexec_b32 s3, s3
	v_lshlrev_b32_e32 v20, 2, v0
	s_add_nc_u64 s[6:7], s[6:7], s[20:21]
	s_add_nc_u64 s[8:9], s[8:9], s[20:21]
	s_xor_b32 exec_lo, exec_lo, s3
	s_cbranch_execz .LBB179_6
; %bb.5:
	s_clause 0x1
	global_load_u16 v2, v0, s[6:7] scale_offset
	global_load_u16 v3, v0, s[8:9] scale_offset
	s_wait_loadcnt 0x0
	v_perm_b32 v2, v3, v2, 0x5040100
	ds_store_b32 v20, v2
.LBB179_6:
	s_or_b32 exec_lo, exec_lo, s3
	v_or_b32_e32 v2, 0x100, v0
	v_mov_b32_e32 v3, 0
	s_mov_b32 s3, exec_lo
	s_delay_alu instid0(VALU_DEP_2)
	v_cmpx_le_u32_e64 s18, v2
	s_xor_b32 s3, exec_lo, s3
	s_cbranch_execz .LBB179_10
; %bb.7:
	s_mov_b32 s17, exec_lo
	v_cmpx_gt_u64_e64 s[12:13], v[2:3]
	s_cbranch_execz .LBB179_9
; %bb.8:
	v_sub_nc_u64_e64 v[4:5], v[0:1], s[18:19]
	s_delay_alu instid0(VALU_DEP_1) | instskip(NEXT) | instid1(VALU_DEP_1)
	v_lshlrev_b64_e32 v[4:5], 1, v[4:5]
	v_add_nc_u64_e32 v[6:7], s[4:5], v[4:5]
	v_add_nc_u64_e32 v[4:5], s[10:11], v[4:5]
	global_load_u16 v3, v[6:7], off offset:512
	global_load_u16 v8, v[4:5], off offset:512
	s_wait_loadcnt 0x0
	v_perm_b32 v3, v8, v3, 0x5040100
	ds_store_b32 v20, v3 offset:1024
.LBB179_9:
	s_or_b32 exec_lo, exec_lo, s17
.LBB179_10:
	s_and_not1_saveexec_b32 s3, s3
	s_cbranch_execz .LBB179_12
; %bb.11:
	s_clause 0x1
	global_load_u16 v3, v0, s[6:7] offset:512 scale_offset
	global_load_u16 v4, v0, s[8:9] offset:512 scale_offset
	s_wait_loadcnt 0x0
	v_perm_b32 v3, v4, v3, 0x5040100
	ds_store_b32 v20, v3 offset:1024
.LBB179_12:
	s_or_b32 exec_lo, exec_lo, s3
	v_or_b32_e32 v4, 0x200, v0
	v_mov_b32_e32 v5, 0
	s_mov_b32 s3, exec_lo
	s_delay_alu instid0(VALU_DEP_2)
	v_cmpx_le_u32_e64 s18, v4
	s_xor_b32 s3, exec_lo, s3
	s_cbranch_execz .LBB179_16
; %bb.13:
	s_mov_b32 s17, exec_lo
	v_cmpx_gt_u64_e64 s[12:13], v[4:5]
	s_cbranch_execz .LBB179_15
; %bb.14:
	v_sub_nc_u64_e64 v[6:7], v[0:1], s[18:19]
	s_delay_alu instid0(VALU_DEP_1) | instskip(NEXT) | instid1(VALU_DEP_1)
	v_lshlrev_b64_e32 v[6:7], 1, v[6:7]
	v_add_nc_u64_e32 v[8:9], s[4:5], v[6:7]
	v_add_nc_u64_e32 v[6:7], s[10:11], v[6:7]
	global_load_u16 v3, v[8:9], off offset:1024
	global_load_u16 v5, v[6:7], off offset:1024
	s_wait_loadcnt 0x0
	v_perm_b32 v3, v5, v3, 0x5040100
	ds_store_b32 v20, v3 offset:2048
.LBB179_15:
	s_or_b32 exec_lo, exec_lo, s17
.LBB179_16:
	s_and_not1_saveexec_b32 s3, s3
	s_cbranch_execz .LBB179_18
; %bb.17:
	s_clause 0x1
	global_load_u16 v3, v0, s[6:7] offset:1024 scale_offset
	global_load_u16 v5, v0, s[8:9] offset:1024 scale_offset
	s_wait_loadcnt 0x0
	v_perm_b32 v3, v5, v3, 0x5040100
	ds_store_b32 v20, v3 offset:2048
.LBB179_18:
	;; [unrolled: 36-line block ×8, first 2 shown]
	s_or_b32 exec_lo, exec_lo, s3
	v_or_b32_e32 v18, 0x900, v0
	v_mov_b32_e32 v19, 0
	s_mov_b32 s3, exec_lo
	s_delay_alu instid0(VALU_DEP_2)
	v_cmpx_le_u32_e64 s18, v18
	s_xor_b32 s3, exec_lo, s3
	s_cbranch_execz .LBB179_58
; %bb.55:
	v_cmp_gt_u64_e32 vcc_lo, s[12:13], v[18:19]
	s_and_saveexec_b32 s12, vcc_lo
	s_cbranch_execz .LBB179_57
; %bb.56:
	v_sub_nc_u64_e64 v[22:23], v[0:1], s[18:19]
	s_delay_alu instid0(VALU_DEP_1) | instskip(NEXT) | instid1(VALU_DEP_1)
	v_lshlrev_b64_e32 v[22:23], 1, v[22:23]
	v_add_nc_u64_e32 v[24:25], s[4:5], v[22:23]
	v_add_nc_u64_e32 v[22:23], s[10:11], v[22:23]
	global_load_u16 v1, v[24:25], off offset:4608
	global_load_u16 v3, v[22:23], off offset:4608
	s_wait_loadcnt 0x0
	v_perm_b32 v1, v3, v1, 0x5040100
	ds_store_b32 v20, v1 offset:9216
.LBB179_57:
	s_or_b32 exec_lo, exec_lo, s12
                                        ; implicit-def: $vgpr20
.LBB179_58:
	s_or_saveexec_b32 s3, s3
	s_load_b64 s[10:11], s[0:1], 0x38
	s_xor_b32 exec_lo, exec_lo, s3
	s_cbranch_execz .LBB179_60
; %bb.59:
	s_clause 0x1
	global_load_u16 v1, v0, s[6:7] offset:4608 scale_offset
	global_load_u16 v3, v0, s[8:9] offset:4608 scale_offset
	s_wait_loadcnt 0x0
	v_perm_b32 v1, v3, v1, 0x5040100
	ds_store_b32 v20, v1 offset:9216
.LBB179_60:
	s_or_b32 exec_lo, exec_lo, s3
	v_mul_u32_u24_e32 v3, 10, v0
	s_wait_xcnt 0x0
	s_mov_b32 s0, exec_lo
	s_wait_dscnt 0x0
	s_barrier_signal -1
	s_barrier_wait -1
	v_sub_nc_u32_e64 v11, v3, s2 clamp
	v_min_u32_e32 v5, s18, v3
	v_lshlrev_b32_e32 v1, 2, v3
	s_delay_alu instid0(VALU_DEP_2)
	v_cmpx_lt_u32_e64 v11, v5
	s_cbranch_execz .LBB179_64
; %bb.61:
	s_delay_alu instid0(VALU_DEP_2)
	v_lshl_add_u32 v7, s18, 2, v1
	s_mov_b32 s1, 0
.LBB179_62:                             ; =>This Inner Loop Header: Depth=1
	v_add_nc_u32_e32 v9, v5, v11
	s_delay_alu instid0(VALU_DEP_1) | instskip(NEXT) | instid1(VALU_DEP_1)
	v_lshrrev_b32_e32 v9, 1, v9
	v_not_b32_e32 v13, v9
	v_dual_lshlrev_b32 v15, 2, v9 :: v_dual_add_nc_u32 v17, 1, v9
	s_delay_alu instid0(VALU_DEP_2)
	v_lshl_add_u32 v13, v13, 2, v7
	ds_load_b32 v15, v15
	ds_load_b32 v13, v13
	s_wait_dscnt 0x0
	v_cmp_lt_u16_e32 vcc_lo, v13, v15
	v_cndmask_b32_e32 v11, v17, v11, vcc_lo
	v_cndmask_b32_e32 v5, v5, v9, vcc_lo
	s_delay_alu instid0(VALU_DEP_1) | instskip(SKIP_1) | instid1(SALU_CYCLE_1)
	v_cmp_ge_u32_e32 vcc_lo, v11, v5
	s_or_b32 s1, vcc_lo, s1
	s_and_not1_b32 exec_lo, exec_lo, s1
	s_cbranch_execnz .LBB179_62
; %bb.63:
	s_or_b32 exec_lo, exec_lo, s1
.LBB179_64:
	s_delay_alu instid0(SALU_CYCLE_1) | instskip(SKIP_4) | instid1(VALU_DEP_3)
	s_or_b32 exec_lo, exec_lo, s0
	v_dual_mov_b32 v20, 0 :: v_dual_add_nc_u32 v3, s18, v3
	v_mov_b32_e32 v21, 0
	s_add_co_i32 s12, s2, s18
	v_cmp_ge_u32_e32 vcc_lo, s18, v11
	v_dual_mov_b32 v22, 0 :: v_dual_sub_nc_u32 v13, v3, v11
	v_dual_mov_b32 v23, 0 :: v_dual_mov_b32 v24, 0
	v_mov_b32_e32 v25, 0
	s_delay_alu instid0(VALU_DEP_3) | instskip(SKIP_3) | instid1(SALU_CYCLE_1)
	v_cmp_ge_u32_e64 s0, s12, v13
	v_dual_mov_b32 v26, 0 :: v_dual_mov_b32 v27, 0
	v_dual_mov_b32 v28, 0 :: v_dual_mov_b32 v29, 0
	s_or_b32 s0, vcc_lo, s0
	s_and_saveexec_b32 s9, s0
	s_cbranch_execz .LBB179_70
; %bb.65:
	v_cmp_gt_u32_e32 vcc_lo, s18, v11
	v_dual_mov_b32 v5, 0 :: v_dual_mov_b32 v7, 0
	v_mov_b32_e32 v3, 0
	s_and_saveexec_b32 s0, vcc_lo
	s_cbranch_execz .LBB179_67
; %bb.66:
	v_lshlrev_b32_e32 v3, 2, v11
	ds_load_b32 v7, v3
	s_wait_dscnt 0x0
	v_lshrrev_b32_e32 v3, 16, v7
.LBB179_67:
	s_or_b32 exec_lo, exec_lo, s0
	v_cmp_le_u32_e64 s0, s12, v13
	v_mov_b32_e32 v9, 0
	s_mov_b32 s2, exec_lo
	v_cmpx_gt_u32_e64 s12, v13
	s_cbranch_execz .LBB179_69
; %bb.68:
	v_lshlrev_b32_e32 v5, 2, v13
	ds_load_b32 v5, v5
	s_wait_dscnt 0x0
	v_lshrrev_b32_e32 v9, 16, v5
.LBB179_69:
	s_or_b32 exec_lo, exec_lo, s2
	v_cmp_ge_u16_e64 s1, v5, v7
	s_delay_alu instid0(VALU_DEP_2) | instskip(SKIP_1) | instid1(SALU_CYCLE_1)
	v_dual_lshlrev_b32 v38, 16, v3 :: v_dual_lshlrev_b32 v39, 16, v9
	s_and_b32 s1, vcc_lo, s1
	s_or_b32 vcc_lo, s0, s1
	s_delay_alu instid0(SALU_CYCLE_1) | instskip(NEXT) | instid1(VALU_DEP_1)
	v_dual_mov_b32 v15, s18 :: v_dual_cndmask_b32 v17, v13, v11, vcc_lo
	v_dual_cndmask_b32 v19, s12, v15, vcc_lo :: v_dual_add_nc_u32 v17, 1, v17
	s_delay_alu instid0(VALU_DEP_1) | instskip(SKIP_1) | instid1(VALU_DEP_2)
	v_add_min_u32_e64 v19, v19, -1, v17
	v_cndmask_b32_e32 v11, v11, v17, vcc_lo
	v_dual_cndmask_b32 v13, v17, v13, vcc_lo :: v_dual_lshlrev_b32 v19, 2, v19
	s_delay_alu instid0(VALU_DEP_2) | instskip(NEXT) | instid1(VALU_DEP_2)
	v_cmp_gt_u32_e64 s0, s18, v11
	v_cmp_le_u32_e64 s2, s12, v13
	ds_load_b32 v19, v19
	s_wait_dscnt 0x0
	v_cndmask_b32_e32 v20, v19, v5, vcc_lo
	v_cndmask_b32_e32 v21, v7, v19, vcc_lo
	v_and_b32_e32 v5, 0xffff, v5
	v_and_b32_e32 v7, 0xffff, v7
	s_delay_alu instid0(VALU_DEP_3) | instskip(NEXT) | instid1(VALU_DEP_3)
	v_cmp_ge_u16_e64 s1, v20, v21
	v_or_b32_e32 v5, v39, v5
	s_and_b32 s0, s0, s1
	s_delay_alu instid0(SALU_CYCLE_1) | instskip(NEXT) | instid1(SALU_CYCLE_1)
	s_or_b32 s0, s2, s0
	v_cndmask_b32_e64 v17, v13, v11, s0
	s_delay_alu instid0(VALU_DEP_1) | instskip(NEXT) | instid1(VALU_DEP_1)
	v_dual_cndmask_b32 v22, s12, v15, s0 :: v_dual_add_nc_u32 v17, 1, v17
	v_add_min_u32_e64 v22, v22, -1, v17
	v_cndmask_b32_e64 v11, v11, v17, s0
	s_delay_alu instid0(VALU_DEP_2) | instskip(NEXT) | instid1(VALU_DEP_2)
	v_dual_cndmask_b32 v13, v17, v13, s0 :: v_dual_lshlrev_b32 v22, 2, v22
	v_cmp_gt_u32_e64 s1, s18, v11
	s_delay_alu instid0(VALU_DEP_2) | instskip(SKIP_4) | instid1(VALU_DEP_2)
	v_cmp_le_u32_e64 s3, s12, v13
	ds_load_b32 v22, v22
	s_wait_dscnt 0x0
	v_dual_cndmask_b32 v23, v22, v20, s0 :: v_dual_cndmask_b32 v24, v21, v22, s0
	v_lshrrev_b32_e32 v22, 16, v22
	v_cmp_ge_u16_e64 s2, v23, v24
	s_and_b32 s1, s1, s2
	s_delay_alu instid0(SALU_CYCLE_1) | instskip(NEXT) | instid1(SALU_CYCLE_1)
	s_or_b32 s1, s3, s1
	v_cndmask_b32_e64 v17, v13, v11, s1
	s_delay_alu instid0(VALU_DEP_1) | instskip(NEXT) | instid1(VALU_DEP_1)
	v_dual_cndmask_b32 v25, s12, v15, s1 :: v_dual_add_nc_u32 v17, 1, v17
	v_add_min_u32_e64 v25, v25, -1, v17
	s_delay_alu instid0(VALU_DEP_1)
	v_lshlrev_b32_e32 v25, 2, v25
	ds_load_b32 v25, v25
	s_wait_dscnt 0x0
	v_dual_cndmask_b32 v11, v11, v17, s1 :: v_dual_cndmask_b32 v26, v25, v23, s1
	v_cndmask_b32_e64 v13, v17, v13, s1
	v_cndmask_b32_e64 v27, v24, v25, s1
	s_delay_alu instid0(VALU_DEP_3) | instskip(NEXT) | instid1(VALU_DEP_3)
	v_cmp_gt_u32_e64 s2, s18, v11
	v_cmp_le_u32_e64 s4, s12, v13
	s_delay_alu instid0(VALU_DEP_3) | instskip(SKIP_1) | instid1(SALU_CYCLE_1)
	v_cmp_ge_u16_e64 s3, v26, v27
	s_and_b32 s2, s2, s3
	s_or_b32 s2, s4, s2
	s_delay_alu instid0(SALU_CYCLE_1) | instskip(NEXT) | instid1(VALU_DEP_1)
	v_cndmask_b32_e64 v17, v13, v11, s2
	v_dual_cndmask_b32 v28, s12, v15, s2 :: v_dual_add_nc_u32 v17, 1, v17
	s_delay_alu instid0(VALU_DEP_1) | instskip(NEXT) | instid1(VALU_DEP_1)
	v_add_min_u32_e64 v28, v28, -1, v17
	v_dual_cndmask_b32 v11, v11, v17, s2 :: v_dual_lshlrev_b32 v28, 2, v28
	s_delay_alu instid0(VALU_DEP_1) | instskip(SKIP_4) | instid1(VALU_DEP_2)
	v_cmp_gt_u32_e64 s3, s18, v11
	ds_load_b32 v28, v28
	s_wait_dscnt 0x0
	v_dual_cndmask_b32 v29, v28, v26, s2 :: v_dual_cndmask_b32 v30, v27, v28, s2
	v_cndmask_b32_e64 v13, v17, v13, s2
	v_cmp_ge_u16_e64 s4, v29, v30
	s_delay_alu instid0(VALU_DEP_2) | instskip(SKIP_1) | instid1(SALU_CYCLE_1)
	v_cmp_le_u32_e64 s5, s12, v13
	s_and_b32 s3, s3, s4
	s_or_b32 s3, s5, s3
	s_delay_alu instid0(SALU_CYCLE_1) | instskip(NEXT) | instid1(VALU_DEP_1)
	v_cndmask_b32_e64 v17, v13, v11, s3
	v_dual_cndmask_b32 v31, s12, v15, s3 :: v_dual_add_nc_u32 v17, 1, v17
	s_delay_alu instid0(VALU_DEP_1) | instskip(SKIP_1) | instid1(VALU_DEP_2)
	v_add_min_u32_e64 v31, v31, -1, v17
	v_cndmask_b32_e64 v11, v11, v17, s3
	v_dual_cndmask_b32 v13, v17, v13, s3 :: v_dual_lshlrev_b32 v31, 2, v31
	s_delay_alu instid0(VALU_DEP_2) | instskip(NEXT) | instid1(VALU_DEP_2)
	v_cmp_gt_u32_e64 s4, s18, v11
	v_cmp_le_u32_e64 s6, s12, v13
	ds_load_b32 v31, v31
	s_wait_dscnt 0x0
	v_dual_cndmask_b32 v32, v31, v29, s3 :: v_dual_cndmask_b32 v33, v30, v31, s3
	s_delay_alu instid0(VALU_DEP_1) | instskip(SKIP_1) | instid1(SALU_CYCLE_1)
	v_cmp_ge_u16_e64 s5, v32, v33
	s_and_b32 s4, s4, s5
	s_or_b32 s4, s6, s4
	s_delay_alu instid0(SALU_CYCLE_1) | instskip(NEXT) | instid1(VALU_DEP_1)
	v_cndmask_b32_e64 v17, v13, v11, s4
	v_dual_cndmask_b32 v34, s12, v15, s4 :: v_dual_add_nc_u32 v17, 1, v17
	s_delay_alu instid0(VALU_DEP_1) | instskip(NEXT) | instid1(VALU_DEP_1)
	v_add_min_u32_e64 v34, v34, -1, v17
	v_dual_cndmask_b32 v13, v17, v13, s4 :: v_dual_lshlrev_b32 v34, 2, v34
	s_delay_alu instid0(VALU_DEP_1) | instskip(SKIP_4) | instid1(VALU_DEP_2)
	v_cmp_le_u32_e64 s7, s12, v13
	ds_load_b32 v34, v34
	s_wait_dscnt 0x0
	v_dual_cndmask_b32 v11, v11, v17, s4 :: v_dual_cndmask_b32 v35, v34, v32, s4
	v_cndmask_b32_e64 v36, v33, v34, s4
	v_cmp_gt_u32_e64 s5, s18, v11
	s_delay_alu instid0(VALU_DEP_2) | instskip(SKIP_1) | instid1(SALU_CYCLE_1)
	v_cmp_ge_u16_e64 s6, v35, v36
	s_and_b32 s5, s5, s6
	s_or_b32 s5, s7, s5
	s_delay_alu instid0(SALU_CYCLE_1) | instskip(NEXT) | instid1(VALU_DEP_1)
	v_cndmask_b32_e64 v17, v13, v11, s5
	v_dual_cndmask_b32 v37, s12, v15, s5 :: v_dual_add_nc_u32 v17, 1, v17
	v_or_b32_e32 v7, v38, v7
	s_delay_alu instid0(VALU_DEP_2) | instskip(NEXT) | instid1(VALU_DEP_3)
	v_dual_lshrrev_b32 v19, 16, v19 :: v_dual_cndmask_b32 v13, v17, v13, s5
	v_add_min_u32_e64 v37, v37, -1, v17
	v_cndmask_b32_e64 v11, v11, v17, s5
	v_and_b32_e32 v17, 0xffff, v21
	s_delay_alu instid0(VALU_DEP_4) | instskip(NEXT) | instid1(VALU_DEP_4)
	v_cmp_le_u32_e64 s8, s12, v13
	v_lshlrev_b32_e32 v37, 2, v37
	s_delay_alu instid0(VALU_DEP_4) | instskip(SKIP_3) | instid1(VALU_DEP_1)
	v_cmp_gt_u32_e64 s6, s18, v11
	ds_load_b32 v37, v37
	s_wait_dscnt 0x0
	v_dual_cndmask_b32 v38, v37, v35, s5 :: v_dual_cndmask_b32 v40, v36, v37, s5
	v_cmp_ge_u16_e64 s7, v38, v40
	s_and_b32 s6, s6, s7
	s_delay_alu instid0(SALU_CYCLE_1) | instskip(SKIP_4) | instid1(VALU_DEP_4)
	s_or_b32 s6, s8, s6
	v_cndmask_b32_e32 v9, v19, v9, vcc_lo
	v_cndmask_b32_e32 v3, v3, v19, vcc_lo
	v_and_b32_e32 v19, 0xffff, v20
	v_cndmask_b32_e64 v20, v13, v11, s6
	v_dual_cndmask_b32 v41, s12, v15, s6 :: v_dual_lshlrev_b32 v39, 16, v9
	s_delay_alu instid0(VALU_DEP_4) | instskip(NEXT) | instid1(VALU_DEP_3)
	v_dual_lshlrev_b32 v21, 16, v3 :: v_dual_cndmask_b32 v3, v3, v22, s0
	v_dual_add_nc_u32 v42, 1, v20 :: v_dual_cndmask_b32 v20, v5, v7, vcc_lo
	v_cndmask_b32_e64 v9, v22, v9, s0
	s_delay_alu instid0(VALU_DEP_3) | instskip(SKIP_1) | instid1(VALU_DEP_4)
	v_or_b32_e32 v5, v21, v17
	v_dual_lshrrev_b32 v21, 16, v25 :: v_dual_bitop2_b32 v7, v39, v19 bitop3:0x54
	v_add_min_u32_e64 v17, v41, -1, v42
	v_and_b32_e32 v22, 0xffff, v23
	v_lshlrev_b32_e32 v23, 16, v3
	v_and_b32_e32 v19, 0xffff, v24
	v_dual_lshlrev_b32 v24, 16, v9 :: v_dual_cndmask_b32 v9, v21, v9, s1
	v_lshlrev_b32_e32 v17, 2, v17
	v_cndmask_b32_e64 v3, v3, v21, s1
	v_and_b32_e32 v21, 0xffff, v27
	v_and_b32_e32 v25, 0xffff, v26
	v_dual_lshrrev_b32 v23, 16, v28 :: v_dual_bitop2_b32 v19, v23, v19 bitop3:0x54
	ds_load_b32 v17, v17
	v_dual_lshlrev_b32 v26, 16, v3 :: v_dual_bitop2_b32 v22, v24, v22 bitop3:0x54
	v_dual_lshlrev_b32 v27, 16, v9 :: v_dual_cndmask_b32 v3, v3, v23, s2
	s_delay_alu instid0(VALU_DEP_2) | instskip(NEXT) | instid1(VALU_DEP_3)
	v_dual_cndmask_b32 v11, v11, v42, s6 :: v_dual_cndmask_b32 v22, v22, v19, s1
	v_or_b32_e32 v24, v26, v21
	s_delay_alu instid0(VALU_DEP_3) | instskip(SKIP_3) | instid1(VALU_DEP_4)
	v_or_b32_e32 v25, v27, v25
	v_cndmask_b32_e64 v21, v7, v5, s0
	v_dual_cndmask_b32 v5, v23, v9, s2 :: v_dual_lshlrev_b32 v19, 16, v3
	v_and_b32_e32 v7, 0xffff, v30
	v_dual_cndmask_b32 v23, v25, v24, s2 :: v_dual_cndmask_b32 v13, v42, v13, s6
	s_delay_alu instid0(VALU_DEP_3) | instskip(SKIP_1) | instid1(VALU_DEP_4)
	v_lshlrev_b32_e32 v24, 16, v5
	v_cmp_gt_u32_e32 vcc_lo, s18, v11
	v_or_b32_e32 v7, v19, v7
	v_and_b32_e32 v9, 0xffff, v29
	v_cmp_le_u32_e64 s1, s12, v13
	s_wait_dscnt 0x0
	v_dual_cndmask_b32 v27, v17, v38, s6 :: v_dual_cndmask_b32 v28, v40, v17, s6
	s_delay_alu instid0(VALU_DEP_3) | instskip(SKIP_2) | instid1(VALU_DEP_4)
	v_dual_lshrrev_b32 v19, 16, v31 :: v_dual_bitop2_b32 v9, v24, v9 bitop3:0x54
	v_lshrrev_b32_e32 v26, 16, v34
	v_and_b32_e32 v25, 0xffff, v32
	v_cmp_ge_u16_e64 s0, v27, v28
	s_delay_alu instid0(VALU_DEP_4) | instskip(SKIP_2) | instid1(SALU_CYCLE_1)
	v_cndmask_b32_e64 v3, v3, v19, s3
	v_and_b32_e32 v31, 0xffff, v35
	s_and_b32 s0, vcc_lo, s0
	s_or_b32 vcc_lo, s1, s0
	s_delay_alu instid0(SALU_CYCLE_1) | instskip(SKIP_3) | instid1(VALU_DEP_4)
	v_dual_cndmask_b32 v5, v19, v5, s3 :: v_dual_cndmask_b32 v24, v13, v11, vcc_lo
	v_lshlrev_b32_e32 v29, 16, v3
	v_cndmask_b32_e32 v15, s12, v15, vcc_lo
	v_and_b32_e32 v19, 0xffff, v33
	v_dual_add_nc_u32 v30, 1, v24 :: v_dual_lshlrev_b32 v24, 16, v5
	s_delay_alu instid0(VALU_DEP_2) | instskip(SKIP_1) | instid1(VALU_DEP_3)
	v_dual_cndmask_b32 v3, v3, v26, s4 :: v_dual_bitop2_b32 v19, v29, v19 bitop3:0x54
	v_cndmask_b32_e64 v5, v26, v5, s4
	v_add_min_u32_e64 v15, v15, -1, v30
	v_and_b32_e32 v26, 0xffff, v36
	s_delay_alu instid0(VALU_DEP_4) | instskip(NEXT) | instid1(VALU_DEP_4)
	v_dual_lshlrev_b32 v29, 16, v3 :: v_dual_bitop2_b32 v25, v24, v25 bitop3:0x54
	v_dual_cndmask_b32 v24, v9, v7, s3 :: v_dual_lshlrev_b32 v32, 16, v5
	s_delay_alu instid0(VALU_DEP_2) | instskip(NEXT) | instid1(VALU_DEP_3)
	v_dual_lshlrev_b32 v15, 2, v15 :: v_dual_bitop2_b32 v26, v29, v26 bitop3:0x54
	v_dual_lshrrev_b32 v29, 16, v37 :: v_dual_cndmask_b32 v25, v25, v19, s4
	v_lshrrev_b32_e32 v7, 16, v17
	ds_load_b32 v15, v15
	v_dual_cndmask_b32 v3, v3, v29, s5 :: v_dual_bitop2_b32 v31, v32, v31 bitop3:0x54
	v_cndmask_b32_e64 v5, v29, v5, s5
	v_and_b32_e32 v9, 0xffff, v40
	v_and_b32_e32 v17, 0xffff, v38
	s_delay_alu instid0(VALU_DEP_4) | instskip(SKIP_4) | instid1(VALU_DEP_3)
	v_cndmask_b32_e64 v26, v31, v26, s5
	v_cndmask_b32_e64 v19, v3, v7, s6
	v_dual_lshlrev_b32 v3, 16, v3 :: v_dual_cndmask_b32 v7, v7, v5, s6
	v_lshlrev_b32_e32 v5, 16, v5
	v_and_b32_e32 v29, 0xffff, v28
	v_dual_lshlrev_b32 v31, 16, v19 :: v_dual_bitop2_b32 v3, v3, v9 bitop3:0x54
	v_and_b32_e32 v32, 0xffff, v27
	s_delay_alu instid0(VALU_DEP_4) | instskip(NEXT) | instid1(VALU_DEP_3)
	v_dual_lshlrev_b32 v33, 16, v7 :: v_dual_bitop2_b32 v5, v5, v17 bitop3:0x54
	v_or_b32_e32 v9, v31, v29
	v_dual_cndmask_b32 v13, v30, v13, vcc_lo :: v_dual_cndmask_b32 v11, v11, v30, vcc_lo
	s_wait_dscnt 0x0
	s_delay_alu instid0(VALU_DEP_3) | instskip(SKIP_3) | instid1(VALU_DEP_4)
	v_dual_lshrrev_b32 v17, 16, v15 :: v_dual_bitop2_b32 v29, v33, v32 bitop3:0x54
	v_cndmask_b32_e32 v28, v28, v15, vcc_lo
	v_cndmask_b32_e32 v15, v15, v27, vcc_lo
	v_cmp_gt_u32_e64 s0, s18, v11
	v_dual_cndmask_b32 v19, v19, v17, vcc_lo :: v_dual_cndmask_b32 v7, v17, v7, vcc_lo
	s_delay_alu instid0(VALU_DEP_4) | instskip(NEXT) | instid1(VALU_DEP_4)
	v_and_b32_e32 v17, 0xffff, v28
	v_cmp_ge_u16_e64 s1, v15, v28
	v_cndmask_b32_e32 v28, v29, v9, vcc_lo
	v_and_b32_e32 v27, 0xffff, v15
	v_lshlrev_b32_e32 v19, 16, v19
	v_lshlrev_b32_e32 v7, 16, v7
	v_cmp_le_u32_e64 s2, s12, v13
	s_and_b32 s0, s0, s1
	v_or_b32_e32 v11, v19, v17
	v_or_b32_e32 v7, v7, v27
	s_or_b32 vcc_lo, s2, s0
	v_cndmask_b32_e64 v27, v5, v3, s6
	s_delay_alu instid0(VALU_DEP_2)
	v_cndmask_b32_e32 v29, v7, v11, vcc_lo
.LBB179_70:
	s_or_b32 exec_lo, exec_lo, s9
	v_mul_i32_i24_e32 v3, 0xffffffdc, v0
	s_mov_b32 s17, 0
	s_sub_co_i32 s4, s22, s16
	s_lshl_b64 s[2:3], s[16:17], 1
	s_cmp_gt_u32 s4, 0x9ff
	v_add_nc_u32_e32 v3, v1, v3
	s_add_nc_u64 s[0:1], s[14:15], s[2:3]
	s_wait_kmcnt 0x0
	s_add_nc_u64 s[2:3], s[10:11], s[2:3]
	s_barrier_signal -1
	s_barrier_wait -1
	ds_store_2addr_b64 v1, v[20:21], v[22:23] offset1:1
	ds_store_2addr_b64 v1, v[24:25], v[26:27] offset0:2 offset1:3
	ds_store_b64 v1, v[28:29] offset:32
	s_wait_dscnt 0x0
	s_cbranch_scc0 .LBB179_72
; %bb.71:
	s_barrier_signal -1
	s_barrier_wait -1
	ds_load_2addr_stride64_b32 v[22:23], v3 offset1:4
	ds_load_2addr_stride64_b32 v[24:25], v3 offset0:8 offset1:12
	ds_load_2addr_stride64_b32 v[26:27], v3 offset0:16 offset1:20
	;; [unrolled: 1-line block ×4, first 2 shown]
	s_mov_b32 s17, -1
	s_wait_dscnt 0x4
	s_clause 0x3
	global_store_b16 v0, v22, s[0:1] scale_offset
	global_store_d16_hi_b16 v0, v22, s[2:3] scale_offset
	global_store_b16 v0, v23, s[0:1] offset:512 scale_offset
	global_store_d16_hi_b16 v0, v23, s[2:3] offset:512 scale_offset
	s_wait_dscnt 0x3
	s_clause 0x3
	global_store_b16 v0, v24, s[0:1] offset:1024 scale_offset
	global_store_d16_hi_b16 v0, v24, s[2:3] offset:1024 scale_offset
	global_store_b16 v0, v25, s[0:1] offset:1536 scale_offset
	global_store_d16_hi_b16 v0, v25, s[2:3] offset:1536 scale_offset
	s_wait_dscnt 0x2
	s_clause 0x3
	global_store_b16 v0, v26, s[0:1] offset:2048 scale_offset
	global_store_d16_hi_b16 v0, v26, s[2:3] offset:2048 scale_offset
	;; [unrolled: 6-line block ×4, first 2 shown]
	s_cbranch_execz .LBB179_73
	s_branch .LBB179_84
.LBB179_72:
                                        ; implicit-def: $vgpr21
.LBB179_73:
	s_barrier_signal -1
	s_barrier_wait -1
	s_wait_storecnt 0x0
	ds_load_2addr_stride64_b32 v[32:33], v3 offset0:4 offset1:8
	ds_load_2addr_stride64_b32 v[30:31], v3 offset0:12 offset1:16
	s_wait_xcnt 0x2
	ds_load_2addr_stride64_b32 v[28:29], v3 offset0:20 offset1:24
	ds_load_2addr_stride64_b32 v[22:23], v3 offset0:28 offset1:32
	ds_load_b32 v21, v3 offset:9216
	v_dual_mov_b32 v27, 0 :: v_dual_lshlrev_b32 v26, 1, v0
	s_mov_b32 s5, exec_lo
	s_delay_alu instid0(VALU_DEP_1)
	v_add_nc_u64_e32 v[24:25], s[0:1], v[26:27]
	v_add_nc_u64_e32 v[26:27], s[2:3], v[26:27]
	s_wait_xcnt 0x0
	v_cmpx_gt_u32_e64 s4, v0
	s_cbranch_execnz .LBB179_87
; %bb.74:
	s_or_b32 exec_lo, exec_lo, s5
	s_delay_alu instid0(SALU_CYCLE_1)
	s_mov_b32 s5, exec_lo
	v_cmpx_gt_u32_e64 s4, v2
	s_cbranch_execnz .LBB179_88
.LBB179_75:
	s_or_b32 exec_lo, exec_lo, s5
	s_delay_alu instid0(SALU_CYCLE_1)
	s_mov_b32 s5, exec_lo
	v_cmpx_gt_u32_e64 s4, v4
	s_cbranch_execnz .LBB179_89
.LBB179_76:
	s_or_b32 exec_lo, exec_lo, s5
	s_delay_alu instid0(SALU_CYCLE_1)
	s_mov_b32 s5, exec_lo
	v_cmpx_gt_u32_e64 s4, v6
	s_cbranch_execnz .LBB179_90
.LBB179_77:
	s_or_b32 exec_lo, exec_lo, s5
	s_delay_alu instid0(SALU_CYCLE_1)
	s_mov_b32 s5, exec_lo
	v_cmpx_gt_u32_e64 s4, v8
	s_cbranch_execnz .LBB179_91
.LBB179_78:
	s_or_b32 exec_lo, exec_lo, s5
	s_delay_alu instid0(SALU_CYCLE_1)
	s_mov_b32 s5, exec_lo
	v_cmpx_gt_u32_e64 s4, v10
	s_cbranch_execnz .LBB179_92
.LBB179_79:
	s_or_b32 exec_lo, exec_lo, s5
	s_delay_alu instid0(SALU_CYCLE_1)
	s_mov_b32 s5, exec_lo
	v_cmpx_gt_u32_e64 s4, v12
	s_cbranch_execnz .LBB179_93
.LBB179_80:
	s_or_b32 exec_lo, exec_lo, s5
	s_delay_alu instid0(SALU_CYCLE_1)
	s_mov_b32 s5, exec_lo
	v_cmpx_gt_u32_e64 s4, v14
	s_cbranch_execnz .LBB179_94
.LBB179_81:
	s_or_b32 exec_lo, exec_lo, s5
	s_delay_alu instid0(SALU_CYCLE_1)
	s_mov_b32 s5, exec_lo
	v_cmpx_gt_u32_e64 s4, v16
	s_cbranch_execz .LBB179_83
.LBB179_82:
	s_wait_dscnt 0x1
	global_store_b16 v[24:25], v23, off offset:4096
	global_store_d16_hi_b16 v[26:27], v23, off offset:4096
.LBB179_83:
	s_wait_xcnt 0x0
	s_or_b32 exec_lo, exec_lo, s5
	v_cmp_gt_u32_e64 s17, s4, v18
.LBB179_84:
	s_wait_xcnt 0x0
	s_delay_alu instid0(VALU_DEP_1)
	s_and_saveexec_b32 s4, s17
	s_cbranch_execnz .LBB179_86
; %bb.85:
	s_endpgm
.LBB179_86:
	s_wait_dscnt 0x0
	s_clause 0x1
	global_store_b16 v0, v21, s[0:1] offset:4608 scale_offset
	global_store_d16_hi_b16 v0, v21, s[2:3] offset:4608 scale_offset
	s_endpgm
.LBB179_87:
	ds_load_b32 v1, v3
	s_wait_dscnt 0x0
	global_store_b16 v[24:25], v1, off
	global_store_d16_hi_b16 v[26:27], v1, off
	s_wait_xcnt 0x0
	s_or_b32 exec_lo, exec_lo, s5
	s_delay_alu instid0(SALU_CYCLE_1)
	s_mov_b32 s5, exec_lo
	v_cmpx_gt_u32_e64 s4, v2
	s_cbranch_execz .LBB179_75
.LBB179_88:
	s_wait_dscnt 0x4
	global_store_b16 v[24:25], v32, off offset:512
	global_store_d16_hi_b16 v[26:27], v32, off offset:512
	s_wait_xcnt 0x0
	s_or_b32 exec_lo, exec_lo, s5
	s_delay_alu instid0(SALU_CYCLE_1)
	s_mov_b32 s5, exec_lo
	v_cmpx_gt_u32_e64 s4, v4
	s_cbranch_execz .LBB179_76
.LBB179_89:
	s_wait_dscnt 0x4
	global_store_b16 v[24:25], v33, off offset:1024
	global_store_d16_hi_b16 v[26:27], v33, off offset:1024
	s_wait_xcnt 0x0
	s_or_b32 exec_lo, exec_lo, s5
	s_delay_alu instid0(SALU_CYCLE_1)
	s_mov_b32 s5, exec_lo
	v_cmpx_gt_u32_e64 s4, v6
	s_cbranch_execz .LBB179_77
.LBB179_90:
	s_wait_dscnt 0x3
	global_store_b16 v[24:25], v30, off offset:1536
	global_store_d16_hi_b16 v[26:27], v30, off offset:1536
	s_wait_xcnt 0x0
	s_or_b32 exec_lo, exec_lo, s5
	s_delay_alu instid0(SALU_CYCLE_1)
	s_mov_b32 s5, exec_lo
	v_cmpx_gt_u32_e64 s4, v8
	s_cbranch_execz .LBB179_78
.LBB179_91:
	s_wait_dscnt 0x3
	global_store_b16 v[24:25], v31, off offset:2048
	global_store_d16_hi_b16 v[26:27], v31, off offset:2048
	s_wait_xcnt 0x0
	s_or_b32 exec_lo, exec_lo, s5
	s_delay_alu instid0(SALU_CYCLE_1)
	s_mov_b32 s5, exec_lo
	v_cmpx_gt_u32_e64 s4, v10
	s_cbranch_execz .LBB179_79
.LBB179_92:
	s_wait_dscnt 0x2
	global_store_b16 v[24:25], v28, off offset:2560
	global_store_d16_hi_b16 v[26:27], v28, off offset:2560
	s_wait_xcnt 0x0
	s_or_b32 exec_lo, exec_lo, s5
	s_delay_alu instid0(SALU_CYCLE_1)
	s_mov_b32 s5, exec_lo
	v_cmpx_gt_u32_e64 s4, v12
	s_cbranch_execz .LBB179_80
.LBB179_93:
	s_wait_dscnt 0x2
	global_store_b16 v[24:25], v29, off offset:3072
	global_store_d16_hi_b16 v[26:27], v29, off offset:3072
	s_wait_xcnt 0x0
	s_or_b32 exec_lo, exec_lo, s5
	s_delay_alu instid0(SALU_CYCLE_1)
	s_mov_b32 s5, exec_lo
	v_cmpx_gt_u32_e64 s4, v14
	s_cbranch_execz .LBB179_81
.LBB179_94:
	s_wait_dscnt 0x1
	global_store_b16 v[24:25], v22, off offset:3584
	global_store_d16_hi_b16 v[26:27], v22, off offset:3584
	s_wait_xcnt 0x0
	s_or_b32 exec_lo, exec_lo, s5
	s_delay_alu instid0(SALU_CYCLE_1)
	s_mov_b32 s5, exec_lo
	v_cmpx_gt_u32_e64 s4, v16
	s_cbranch_execnz .LBB179_82
	s_branch .LBB179_83
	.section	.rodata,"a",@progbits
	.p2align	6, 0x0
	.amdhsa_kernel _ZN7rocprim17ROCPRIM_400000_NS6detail17trampoline_kernelINS0_14default_configENS1_21merge_config_selectorINS0_5tupleIJttEEENS0_10empty_typeEEEZNS1_10merge_implIS3_NS0_12zip_iteratorINS5_IJN6thrust23THRUST_200600_302600_NS6detail15normal_iteratorINSC_10device_ptrIKtEEEESI_EEEEESK_NSA_INS5_IJNSE_INSF_ItEEEESM_EEEEEPS7_SP_SP_NSC_11hip_rocprim7__merge17predicate_wrapperIttNSC_4lessItEEEEEE10hipError_tPvRmT0_T1_T2_T3_T4_T5_mmT6_P12ihipStream_tbEUlT_E0_NS1_11comp_targetILNS1_3genE0ELNS1_11target_archE4294967295ELNS1_3gpuE0ELNS1_3repE0EEENS1_30default_config_static_selectorELNS0_4arch9wavefront6targetE0EEEvS10_
		.amdhsa_group_segment_fixed_size 10256
		.amdhsa_private_segment_fixed_size 0
		.amdhsa_kernarg_size 112
		.amdhsa_user_sgpr_count 2
		.amdhsa_user_sgpr_dispatch_ptr 0
		.amdhsa_user_sgpr_queue_ptr 0
		.amdhsa_user_sgpr_kernarg_segment_ptr 1
		.amdhsa_user_sgpr_dispatch_id 0
		.amdhsa_user_sgpr_kernarg_preload_length 0
		.amdhsa_user_sgpr_kernarg_preload_offset 0
		.amdhsa_user_sgpr_private_segment_size 0
		.amdhsa_wavefront_size32 1
		.amdhsa_uses_dynamic_stack 0
		.amdhsa_enable_private_segment 0
		.amdhsa_system_sgpr_workgroup_id_x 1
		.amdhsa_system_sgpr_workgroup_id_y 0
		.amdhsa_system_sgpr_workgroup_id_z 0
		.amdhsa_system_sgpr_workgroup_info 0
		.amdhsa_system_vgpr_workitem_id 0
		.amdhsa_next_free_vgpr 43
		.amdhsa_next_free_sgpr 26
		.amdhsa_named_barrier_count 0
		.amdhsa_reserve_vcc 1
		.amdhsa_float_round_mode_32 0
		.amdhsa_float_round_mode_16_64 0
		.amdhsa_float_denorm_mode_32 3
		.amdhsa_float_denorm_mode_16_64 3
		.amdhsa_fp16_overflow 0
		.amdhsa_memory_ordered 1
		.amdhsa_forward_progress 1
		.amdhsa_inst_pref_size 43
		.amdhsa_round_robin_scheduling 0
		.amdhsa_exception_fp_ieee_invalid_op 0
		.amdhsa_exception_fp_denorm_src 0
		.amdhsa_exception_fp_ieee_div_zero 0
		.amdhsa_exception_fp_ieee_overflow 0
		.amdhsa_exception_fp_ieee_underflow 0
		.amdhsa_exception_fp_ieee_inexact 0
		.amdhsa_exception_int_div_zero 0
	.end_amdhsa_kernel
	.section	.text._ZN7rocprim17ROCPRIM_400000_NS6detail17trampoline_kernelINS0_14default_configENS1_21merge_config_selectorINS0_5tupleIJttEEENS0_10empty_typeEEEZNS1_10merge_implIS3_NS0_12zip_iteratorINS5_IJN6thrust23THRUST_200600_302600_NS6detail15normal_iteratorINSC_10device_ptrIKtEEEESI_EEEEESK_NSA_INS5_IJNSE_INSF_ItEEEESM_EEEEEPS7_SP_SP_NSC_11hip_rocprim7__merge17predicate_wrapperIttNSC_4lessItEEEEEE10hipError_tPvRmT0_T1_T2_T3_T4_T5_mmT6_P12ihipStream_tbEUlT_E0_NS1_11comp_targetILNS1_3genE0ELNS1_11target_archE4294967295ELNS1_3gpuE0ELNS1_3repE0EEENS1_30default_config_static_selectorELNS0_4arch9wavefront6targetE0EEEvS10_,"axG",@progbits,_ZN7rocprim17ROCPRIM_400000_NS6detail17trampoline_kernelINS0_14default_configENS1_21merge_config_selectorINS0_5tupleIJttEEENS0_10empty_typeEEEZNS1_10merge_implIS3_NS0_12zip_iteratorINS5_IJN6thrust23THRUST_200600_302600_NS6detail15normal_iteratorINSC_10device_ptrIKtEEEESI_EEEEESK_NSA_INS5_IJNSE_INSF_ItEEEESM_EEEEEPS7_SP_SP_NSC_11hip_rocprim7__merge17predicate_wrapperIttNSC_4lessItEEEEEE10hipError_tPvRmT0_T1_T2_T3_T4_T5_mmT6_P12ihipStream_tbEUlT_E0_NS1_11comp_targetILNS1_3genE0ELNS1_11target_archE4294967295ELNS1_3gpuE0ELNS1_3repE0EEENS1_30default_config_static_selectorELNS0_4arch9wavefront6targetE0EEEvS10_,comdat
.Lfunc_end179:
	.size	_ZN7rocprim17ROCPRIM_400000_NS6detail17trampoline_kernelINS0_14default_configENS1_21merge_config_selectorINS0_5tupleIJttEEENS0_10empty_typeEEEZNS1_10merge_implIS3_NS0_12zip_iteratorINS5_IJN6thrust23THRUST_200600_302600_NS6detail15normal_iteratorINSC_10device_ptrIKtEEEESI_EEEEESK_NSA_INS5_IJNSE_INSF_ItEEEESM_EEEEEPS7_SP_SP_NSC_11hip_rocprim7__merge17predicate_wrapperIttNSC_4lessItEEEEEE10hipError_tPvRmT0_T1_T2_T3_T4_T5_mmT6_P12ihipStream_tbEUlT_E0_NS1_11comp_targetILNS1_3genE0ELNS1_11target_archE4294967295ELNS1_3gpuE0ELNS1_3repE0EEENS1_30default_config_static_selectorELNS0_4arch9wavefront6targetE0EEEvS10_, .Lfunc_end179-_ZN7rocprim17ROCPRIM_400000_NS6detail17trampoline_kernelINS0_14default_configENS1_21merge_config_selectorINS0_5tupleIJttEEENS0_10empty_typeEEEZNS1_10merge_implIS3_NS0_12zip_iteratorINS5_IJN6thrust23THRUST_200600_302600_NS6detail15normal_iteratorINSC_10device_ptrIKtEEEESI_EEEEESK_NSA_INS5_IJNSE_INSF_ItEEEESM_EEEEEPS7_SP_SP_NSC_11hip_rocprim7__merge17predicate_wrapperIttNSC_4lessItEEEEEE10hipError_tPvRmT0_T1_T2_T3_T4_T5_mmT6_P12ihipStream_tbEUlT_E0_NS1_11comp_targetILNS1_3genE0ELNS1_11target_archE4294967295ELNS1_3gpuE0ELNS1_3repE0EEENS1_30default_config_static_selectorELNS0_4arch9wavefront6targetE0EEEvS10_
                                        ; -- End function
	.set _ZN7rocprim17ROCPRIM_400000_NS6detail17trampoline_kernelINS0_14default_configENS1_21merge_config_selectorINS0_5tupleIJttEEENS0_10empty_typeEEEZNS1_10merge_implIS3_NS0_12zip_iteratorINS5_IJN6thrust23THRUST_200600_302600_NS6detail15normal_iteratorINSC_10device_ptrIKtEEEESI_EEEEESK_NSA_INS5_IJNSE_INSF_ItEEEESM_EEEEEPS7_SP_SP_NSC_11hip_rocprim7__merge17predicate_wrapperIttNSC_4lessItEEEEEE10hipError_tPvRmT0_T1_T2_T3_T4_T5_mmT6_P12ihipStream_tbEUlT_E0_NS1_11comp_targetILNS1_3genE0ELNS1_11target_archE4294967295ELNS1_3gpuE0ELNS1_3repE0EEENS1_30default_config_static_selectorELNS0_4arch9wavefront6targetE0EEEvS10_.num_vgpr, 43
	.set _ZN7rocprim17ROCPRIM_400000_NS6detail17trampoline_kernelINS0_14default_configENS1_21merge_config_selectorINS0_5tupleIJttEEENS0_10empty_typeEEEZNS1_10merge_implIS3_NS0_12zip_iteratorINS5_IJN6thrust23THRUST_200600_302600_NS6detail15normal_iteratorINSC_10device_ptrIKtEEEESI_EEEEESK_NSA_INS5_IJNSE_INSF_ItEEEESM_EEEEEPS7_SP_SP_NSC_11hip_rocprim7__merge17predicate_wrapperIttNSC_4lessItEEEEEE10hipError_tPvRmT0_T1_T2_T3_T4_T5_mmT6_P12ihipStream_tbEUlT_E0_NS1_11comp_targetILNS1_3genE0ELNS1_11target_archE4294967295ELNS1_3gpuE0ELNS1_3repE0EEENS1_30default_config_static_selectorELNS0_4arch9wavefront6targetE0EEEvS10_.num_agpr, 0
	.set _ZN7rocprim17ROCPRIM_400000_NS6detail17trampoline_kernelINS0_14default_configENS1_21merge_config_selectorINS0_5tupleIJttEEENS0_10empty_typeEEEZNS1_10merge_implIS3_NS0_12zip_iteratorINS5_IJN6thrust23THRUST_200600_302600_NS6detail15normal_iteratorINSC_10device_ptrIKtEEEESI_EEEEESK_NSA_INS5_IJNSE_INSF_ItEEEESM_EEEEEPS7_SP_SP_NSC_11hip_rocprim7__merge17predicate_wrapperIttNSC_4lessItEEEEEE10hipError_tPvRmT0_T1_T2_T3_T4_T5_mmT6_P12ihipStream_tbEUlT_E0_NS1_11comp_targetILNS1_3genE0ELNS1_11target_archE4294967295ELNS1_3gpuE0ELNS1_3repE0EEENS1_30default_config_static_selectorELNS0_4arch9wavefront6targetE0EEEvS10_.numbered_sgpr, 26
	.set _ZN7rocprim17ROCPRIM_400000_NS6detail17trampoline_kernelINS0_14default_configENS1_21merge_config_selectorINS0_5tupleIJttEEENS0_10empty_typeEEEZNS1_10merge_implIS3_NS0_12zip_iteratorINS5_IJN6thrust23THRUST_200600_302600_NS6detail15normal_iteratorINSC_10device_ptrIKtEEEESI_EEEEESK_NSA_INS5_IJNSE_INSF_ItEEEESM_EEEEEPS7_SP_SP_NSC_11hip_rocprim7__merge17predicate_wrapperIttNSC_4lessItEEEEEE10hipError_tPvRmT0_T1_T2_T3_T4_T5_mmT6_P12ihipStream_tbEUlT_E0_NS1_11comp_targetILNS1_3genE0ELNS1_11target_archE4294967295ELNS1_3gpuE0ELNS1_3repE0EEENS1_30default_config_static_selectorELNS0_4arch9wavefront6targetE0EEEvS10_.num_named_barrier, 0
	.set _ZN7rocprim17ROCPRIM_400000_NS6detail17trampoline_kernelINS0_14default_configENS1_21merge_config_selectorINS0_5tupleIJttEEENS0_10empty_typeEEEZNS1_10merge_implIS3_NS0_12zip_iteratorINS5_IJN6thrust23THRUST_200600_302600_NS6detail15normal_iteratorINSC_10device_ptrIKtEEEESI_EEEEESK_NSA_INS5_IJNSE_INSF_ItEEEESM_EEEEEPS7_SP_SP_NSC_11hip_rocprim7__merge17predicate_wrapperIttNSC_4lessItEEEEEE10hipError_tPvRmT0_T1_T2_T3_T4_T5_mmT6_P12ihipStream_tbEUlT_E0_NS1_11comp_targetILNS1_3genE0ELNS1_11target_archE4294967295ELNS1_3gpuE0ELNS1_3repE0EEENS1_30default_config_static_selectorELNS0_4arch9wavefront6targetE0EEEvS10_.private_seg_size, 0
	.set _ZN7rocprim17ROCPRIM_400000_NS6detail17trampoline_kernelINS0_14default_configENS1_21merge_config_selectorINS0_5tupleIJttEEENS0_10empty_typeEEEZNS1_10merge_implIS3_NS0_12zip_iteratorINS5_IJN6thrust23THRUST_200600_302600_NS6detail15normal_iteratorINSC_10device_ptrIKtEEEESI_EEEEESK_NSA_INS5_IJNSE_INSF_ItEEEESM_EEEEEPS7_SP_SP_NSC_11hip_rocprim7__merge17predicate_wrapperIttNSC_4lessItEEEEEE10hipError_tPvRmT0_T1_T2_T3_T4_T5_mmT6_P12ihipStream_tbEUlT_E0_NS1_11comp_targetILNS1_3genE0ELNS1_11target_archE4294967295ELNS1_3gpuE0ELNS1_3repE0EEENS1_30default_config_static_selectorELNS0_4arch9wavefront6targetE0EEEvS10_.uses_vcc, 1
	.set _ZN7rocprim17ROCPRIM_400000_NS6detail17trampoline_kernelINS0_14default_configENS1_21merge_config_selectorINS0_5tupleIJttEEENS0_10empty_typeEEEZNS1_10merge_implIS3_NS0_12zip_iteratorINS5_IJN6thrust23THRUST_200600_302600_NS6detail15normal_iteratorINSC_10device_ptrIKtEEEESI_EEEEESK_NSA_INS5_IJNSE_INSF_ItEEEESM_EEEEEPS7_SP_SP_NSC_11hip_rocprim7__merge17predicate_wrapperIttNSC_4lessItEEEEEE10hipError_tPvRmT0_T1_T2_T3_T4_T5_mmT6_P12ihipStream_tbEUlT_E0_NS1_11comp_targetILNS1_3genE0ELNS1_11target_archE4294967295ELNS1_3gpuE0ELNS1_3repE0EEENS1_30default_config_static_selectorELNS0_4arch9wavefront6targetE0EEEvS10_.uses_flat_scratch, 0
	.set _ZN7rocprim17ROCPRIM_400000_NS6detail17trampoline_kernelINS0_14default_configENS1_21merge_config_selectorINS0_5tupleIJttEEENS0_10empty_typeEEEZNS1_10merge_implIS3_NS0_12zip_iteratorINS5_IJN6thrust23THRUST_200600_302600_NS6detail15normal_iteratorINSC_10device_ptrIKtEEEESI_EEEEESK_NSA_INS5_IJNSE_INSF_ItEEEESM_EEEEEPS7_SP_SP_NSC_11hip_rocprim7__merge17predicate_wrapperIttNSC_4lessItEEEEEE10hipError_tPvRmT0_T1_T2_T3_T4_T5_mmT6_P12ihipStream_tbEUlT_E0_NS1_11comp_targetILNS1_3genE0ELNS1_11target_archE4294967295ELNS1_3gpuE0ELNS1_3repE0EEENS1_30default_config_static_selectorELNS0_4arch9wavefront6targetE0EEEvS10_.has_dyn_sized_stack, 0
	.set _ZN7rocprim17ROCPRIM_400000_NS6detail17trampoline_kernelINS0_14default_configENS1_21merge_config_selectorINS0_5tupleIJttEEENS0_10empty_typeEEEZNS1_10merge_implIS3_NS0_12zip_iteratorINS5_IJN6thrust23THRUST_200600_302600_NS6detail15normal_iteratorINSC_10device_ptrIKtEEEESI_EEEEESK_NSA_INS5_IJNSE_INSF_ItEEEESM_EEEEEPS7_SP_SP_NSC_11hip_rocprim7__merge17predicate_wrapperIttNSC_4lessItEEEEEE10hipError_tPvRmT0_T1_T2_T3_T4_T5_mmT6_P12ihipStream_tbEUlT_E0_NS1_11comp_targetILNS1_3genE0ELNS1_11target_archE4294967295ELNS1_3gpuE0ELNS1_3repE0EEENS1_30default_config_static_selectorELNS0_4arch9wavefront6targetE0EEEvS10_.has_recursion, 0
	.set _ZN7rocprim17ROCPRIM_400000_NS6detail17trampoline_kernelINS0_14default_configENS1_21merge_config_selectorINS0_5tupleIJttEEENS0_10empty_typeEEEZNS1_10merge_implIS3_NS0_12zip_iteratorINS5_IJN6thrust23THRUST_200600_302600_NS6detail15normal_iteratorINSC_10device_ptrIKtEEEESI_EEEEESK_NSA_INS5_IJNSE_INSF_ItEEEESM_EEEEEPS7_SP_SP_NSC_11hip_rocprim7__merge17predicate_wrapperIttNSC_4lessItEEEEEE10hipError_tPvRmT0_T1_T2_T3_T4_T5_mmT6_P12ihipStream_tbEUlT_E0_NS1_11comp_targetILNS1_3genE0ELNS1_11target_archE4294967295ELNS1_3gpuE0ELNS1_3repE0EEENS1_30default_config_static_selectorELNS0_4arch9wavefront6targetE0EEEvS10_.has_indirect_call, 0
	.section	.AMDGPU.csdata,"",@progbits
; Kernel info:
; codeLenInByte = 5456
; TotalNumSgprs: 28
; NumVgprs: 43
; ScratchSize: 0
; MemoryBound: 0
; FloatMode: 240
; IeeeMode: 1
; LDSByteSize: 10256 bytes/workgroup (compile time only)
; SGPRBlocks: 0
; VGPRBlocks: 2
; NumSGPRsForWavesPerEU: 28
; NumVGPRsForWavesPerEU: 43
; NamedBarCnt: 0
; Occupancy: 16
; WaveLimiterHint : 1
; COMPUTE_PGM_RSRC2:SCRATCH_EN: 0
; COMPUTE_PGM_RSRC2:USER_SGPR: 2
; COMPUTE_PGM_RSRC2:TRAP_HANDLER: 0
; COMPUTE_PGM_RSRC2:TGID_X_EN: 1
; COMPUTE_PGM_RSRC2:TGID_Y_EN: 0
; COMPUTE_PGM_RSRC2:TGID_Z_EN: 0
; COMPUTE_PGM_RSRC2:TIDIG_COMP_CNT: 0
	.section	.text._ZN7rocprim17ROCPRIM_400000_NS6detail17trampoline_kernelINS0_14default_configENS1_21merge_config_selectorINS0_5tupleIJttEEENS0_10empty_typeEEEZNS1_10merge_implIS3_NS0_12zip_iteratorINS5_IJN6thrust23THRUST_200600_302600_NS6detail15normal_iteratorINSC_10device_ptrIKtEEEESI_EEEEESK_NSA_INS5_IJNSE_INSF_ItEEEESM_EEEEEPS7_SP_SP_NSC_11hip_rocprim7__merge17predicate_wrapperIttNSC_4lessItEEEEEE10hipError_tPvRmT0_T1_T2_T3_T4_T5_mmT6_P12ihipStream_tbEUlT_E0_NS1_11comp_targetILNS1_3genE5ELNS1_11target_archE942ELNS1_3gpuE9ELNS1_3repE0EEENS1_30default_config_static_selectorELNS0_4arch9wavefront6targetE0EEEvS10_,"axG",@progbits,_ZN7rocprim17ROCPRIM_400000_NS6detail17trampoline_kernelINS0_14default_configENS1_21merge_config_selectorINS0_5tupleIJttEEENS0_10empty_typeEEEZNS1_10merge_implIS3_NS0_12zip_iteratorINS5_IJN6thrust23THRUST_200600_302600_NS6detail15normal_iteratorINSC_10device_ptrIKtEEEESI_EEEEESK_NSA_INS5_IJNSE_INSF_ItEEEESM_EEEEEPS7_SP_SP_NSC_11hip_rocprim7__merge17predicate_wrapperIttNSC_4lessItEEEEEE10hipError_tPvRmT0_T1_T2_T3_T4_T5_mmT6_P12ihipStream_tbEUlT_E0_NS1_11comp_targetILNS1_3genE5ELNS1_11target_archE942ELNS1_3gpuE9ELNS1_3repE0EEENS1_30default_config_static_selectorELNS0_4arch9wavefront6targetE0EEEvS10_,comdat
	.protected	_ZN7rocprim17ROCPRIM_400000_NS6detail17trampoline_kernelINS0_14default_configENS1_21merge_config_selectorINS0_5tupleIJttEEENS0_10empty_typeEEEZNS1_10merge_implIS3_NS0_12zip_iteratorINS5_IJN6thrust23THRUST_200600_302600_NS6detail15normal_iteratorINSC_10device_ptrIKtEEEESI_EEEEESK_NSA_INS5_IJNSE_INSF_ItEEEESM_EEEEEPS7_SP_SP_NSC_11hip_rocprim7__merge17predicate_wrapperIttNSC_4lessItEEEEEE10hipError_tPvRmT0_T1_T2_T3_T4_T5_mmT6_P12ihipStream_tbEUlT_E0_NS1_11comp_targetILNS1_3genE5ELNS1_11target_archE942ELNS1_3gpuE9ELNS1_3repE0EEENS1_30default_config_static_selectorELNS0_4arch9wavefront6targetE0EEEvS10_ ; -- Begin function _ZN7rocprim17ROCPRIM_400000_NS6detail17trampoline_kernelINS0_14default_configENS1_21merge_config_selectorINS0_5tupleIJttEEENS0_10empty_typeEEEZNS1_10merge_implIS3_NS0_12zip_iteratorINS5_IJN6thrust23THRUST_200600_302600_NS6detail15normal_iteratorINSC_10device_ptrIKtEEEESI_EEEEESK_NSA_INS5_IJNSE_INSF_ItEEEESM_EEEEEPS7_SP_SP_NSC_11hip_rocprim7__merge17predicate_wrapperIttNSC_4lessItEEEEEE10hipError_tPvRmT0_T1_T2_T3_T4_T5_mmT6_P12ihipStream_tbEUlT_E0_NS1_11comp_targetILNS1_3genE5ELNS1_11target_archE942ELNS1_3gpuE9ELNS1_3repE0EEENS1_30default_config_static_selectorELNS0_4arch9wavefront6targetE0EEEvS10_
	.globl	_ZN7rocprim17ROCPRIM_400000_NS6detail17trampoline_kernelINS0_14default_configENS1_21merge_config_selectorINS0_5tupleIJttEEENS0_10empty_typeEEEZNS1_10merge_implIS3_NS0_12zip_iteratorINS5_IJN6thrust23THRUST_200600_302600_NS6detail15normal_iteratorINSC_10device_ptrIKtEEEESI_EEEEESK_NSA_INS5_IJNSE_INSF_ItEEEESM_EEEEEPS7_SP_SP_NSC_11hip_rocprim7__merge17predicate_wrapperIttNSC_4lessItEEEEEE10hipError_tPvRmT0_T1_T2_T3_T4_T5_mmT6_P12ihipStream_tbEUlT_E0_NS1_11comp_targetILNS1_3genE5ELNS1_11target_archE942ELNS1_3gpuE9ELNS1_3repE0EEENS1_30default_config_static_selectorELNS0_4arch9wavefront6targetE0EEEvS10_
	.p2align	8
	.type	_ZN7rocprim17ROCPRIM_400000_NS6detail17trampoline_kernelINS0_14default_configENS1_21merge_config_selectorINS0_5tupleIJttEEENS0_10empty_typeEEEZNS1_10merge_implIS3_NS0_12zip_iteratorINS5_IJN6thrust23THRUST_200600_302600_NS6detail15normal_iteratorINSC_10device_ptrIKtEEEESI_EEEEESK_NSA_INS5_IJNSE_INSF_ItEEEESM_EEEEEPS7_SP_SP_NSC_11hip_rocprim7__merge17predicate_wrapperIttNSC_4lessItEEEEEE10hipError_tPvRmT0_T1_T2_T3_T4_T5_mmT6_P12ihipStream_tbEUlT_E0_NS1_11comp_targetILNS1_3genE5ELNS1_11target_archE942ELNS1_3gpuE9ELNS1_3repE0EEENS1_30default_config_static_selectorELNS0_4arch9wavefront6targetE0EEEvS10_,@function
_ZN7rocprim17ROCPRIM_400000_NS6detail17trampoline_kernelINS0_14default_configENS1_21merge_config_selectorINS0_5tupleIJttEEENS0_10empty_typeEEEZNS1_10merge_implIS3_NS0_12zip_iteratorINS5_IJN6thrust23THRUST_200600_302600_NS6detail15normal_iteratorINSC_10device_ptrIKtEEEESI_EEEEESK_NSA_INS5_IJNSE_INSF_ItEEEESM_EEEEEPS7_SP_SP_NSC_11hip_rocprim7__merge17predicate_wrapperIttNSC_4lessItEEEEEE10hipError_tPvRmT0_T1_T2_T3_T4_T5_mmT6_P12ihipStream_tbEUlT_E0_NS1_11comp_targetILNS1_3genE5ELNS1_11target_archE942ELNS1_3gpuE9ELNS1_3repE0EEENS1_30default_config_static_selectorELNS0_4arch9wavefront6targetE0EEEvS10_: ; @_ZN7rocprim17ROCPRIM_400000_NS6detail17trampoline_kernelINS0_14default_configENS1_21merge_config_selectorINS0_5tupleIJttEEENS0_10empty_typeEEEZNS1_10merge_implIS3_NS0_12zip_iteratorINS5_IJN6thrust23THRUST_200600_302600_NS6detail15normal_iteratorINSC_10device_ptrIKtEEEESI_EEEEESK_NSA_INS5_IJNSE_INSF_ItEEEESM_EEEEEPS7_SP_SP_NSC_11hip_rocprim7__merge17predicate_wrapperIttNSC_4lessItEEEEEE10hipError_tPvRmT0_T1_T2_T3_T4_T5_mmT6_P12ihipStream_tbEUlT_E0_NS1_11comp_targetILNS1_3genE5ELNS1_11target_archE942ELNS1_3gpuE9ELNS1_3repE0EEENS1_30default_config_static_selectorELNS0_4arch9wavefront6targetE0EEEvS10_
; %bb.0:
	.section	.rodata,"a",@progbits
	.p2align	6, 0x0
	.amdhsa_kernel _ZN7rocprim17ROCPRIM_400000_NS6detail17trampoline_kernelINS0_14default_configENS1_21merge_config_selectorINS0_5tupleIJttEEENS0_10empty_typeEEEZNS1_10merge_implIS3_NS0_12zip_iteratorINS5_IJN6thrust23THRUST_200600_302600_NS6detail15normal_iteratorINSC_10device_ptrIKtEEEESI_EEEEESK_NSA_INS5_IJNSE_INSF_ItEEEESM_EEEEEPS7_SP_SP_NSC_11hip_rocprim7__merge17predicate_wrapperIttNSC_4lessItEEEEEE10hipError_tPvRmT0_T1_T2_T3_T4_T5_mmT6_P12ihipStream_tbEUlT_E0_NS1_11comp_targetILNS1_3genE5ELNS1_11target_archE942ELNS1_3gpuE9ELNS1_3repE0EEENS1_30default_config_static_selectorELNS0_4arch9wavefront6targetE0EEEvS10_
		.amdhsa_group_segment_fixed_size 0
		.amdhsa_private_segment_fixed_size 0
		.amdhsa_kernarg_size 112
		.amdhsa_user_sgpr_count 2
		.amdhsa_user_sgpr_dispatch_ptr 0
		.amdhsa_user_sgpr_queue_ptr 0
		.amdhsa_user_sgpr_kernarg_segment_ptr 1
		.amdhsa_user_sgpr_dispatch_id 0
		.amdhsa_user_sgpr_kernarg_preload_length 0
		.amdhsa_user_sgpr_kernarg_preload_offset 0
		.amdhsa_user_sgpr_private_segment_size 0
		.amdhsa_wavefront_size32 1
		.amdhsa_uses_dynamic_stack 0
		.amdhsa_enable_private_segment 0
		.amdhsa_system_sgpr_workgroup_id_x 1
		.amdhsa_system_sgpr_workgroup_id_y 0
		.amdhsa_system_sgpr_workgroup_id_z 0
		.amdhsa_system_sgpr_workgroup_info 0
		.amdhsa_system_vgpr_workitem_id 0
		.amdhsa_next_free_vgpr 1
		.amdhsa_next_free_sgpr 1
		.amdhsa_named_barrier_count 0
		.amdhsa_reserve_vcc 0
		.amdhsa_float_round_mode_32 0
		.amdhsa_float_round_mode_16_64 0
		.amdhsa_float_denorm_mode_32 3
		.amdhsa_float_denorm_mode_16_64 3
		.amdhsa_fp16_overflow 0
		.amdhsa_memory_ordered 1
		.amdhsa_forward_progress 1
		.amdhsa_inst_pref_size 0
		.amdhsa_round_robin_scheduling 0
		.amdhsa_exception_fp_ieee_invalid_op 0
		.amdhsa_exception_fp_denorm_src 0
		.amdhsa_exception_fp_ieee_div_zero 0
		.amdhsa_exception_fp_ieee_overflow 0
		.amdhsa_exception_fp_ieee_underflow 0
		.amdhsa_exception_fp_ieee_inexact 0
		.amdhsa_exception_int_div_zero 0
	.end_amdhsa_kernel
	.section	.text._ZN7rocprim17ROCPRIM_400000_NS6detail17trampoline_kernelINS0_14default_configENS1_21merge_config_selectorINS0_5tupleIJttEEENS0_10empty_typeEEEZNS1_10merge_implIS3_NS0_12zip_iteratorINS5_IJN6thrust23THRUST_200600_302600_NS6detail15normal_iteratorINSC_10device_ptrIKtEEEESI_EEEEESK_NSA_INS5_IJNSE_INSF_ItEEEESM_EEEEEPS7_SP_SP_NSC_11hip_rocprim7__merge17predicate_wrapperIttNSC_4lessItEEEEEE10hipError_tPvRmT0_T1_T2_T3_T4_T5_mmT6_P12ihipStream_tbEUlT_E0_NS1_11comp_targetILNS1_3genE5ELNS1_11target_archE942ELNS1_3gpuE9ELNS1_3repE0EEENS1_30default_config_static_selectorELNS0_4arch9wavefront6targetE0EEEvS10_,"axG",@progbits,_ZN7rocprim17ROCPRIM_400000_NS6detail17trampoline_kernelINS0_14default_configENS1_21merge_config_selectorINS0_5tupleIJttEEENS0_10empty_typeEEEZNS1_10merge_implIS3_NS0_12zip_iteratorINS5_IJN6thrust23THRUST_200600_302600_NS6detail15normal_iteratorINSC_10device_ptrIKtEEEESI_EEEEESK_NSA_INS5_IJNSE_INSF_ItEEEESM_EEEEEPS7_SP_SP_NSC_11hip_rocprim7__merge17predicate_wrapperIttNSC_4lessItEEEEEE10hipError_tPvRmT0_T1_T2_T3_T4_T5_mmT6_P12ihipStream_tbEUlT_E0_NS1_11comp_targetILNS1_3genE5ELNS1_11target_archE942ELNS1_3gpuE9ELNS1_3repE0EEENS1_30default_config_static_selectorELNS0_4arch9wavefront6targetE0EEEvS10_,comdat
.Lfunc_end180:
	.size	_ZN7rocprim17ROCPRIM_400000_NS6detail17trampoline_kernelINS0_14default_configENS1_21merge_config_selectorINS0_5tupleIJttEEENS0_10empty_typeEEEZNS1_10merge_implIS3_NS0_12zip_iteratorINS5_IJN6thrust23THRUST_200600_302600_NS6detail15normal_iteratorINSC_10device_ptrIKtEEEESI_EEEEESK_NSA_INS5_IJNSE_INSF_ItEEEESM_EEEEEPS7_SP_SP_NSC_11hip_rocprim7__merge17predicate_wrapperIttNSC_4lessItEEEEEE10hipError_tPvRmT0_T1_T2_T3_T4_T5_mmT6_P12ihipStream_tbEUlT_E0_NS1_11comp_targetILNS1_3genE5ELNS1_11target_archE942ELNS1_3gpuE9ELNS1_3repE0EEENS1_30default_config_static_selectorELNS0_4arch9wavefront6targetE0EEEvS10_, .Lfunc_end180-_ZN7rocprim17ROCPRIM_400000_NS6detail17trampoline_kernelINS0_14default_configENS1_21merge_config_selectorINS0_5tupleIJttEEENS0_10empty_typeEEEZNS1_10merge_implIS3_NS0_12zip_iteratorINS5_IJN6thrust23THRUST_200600_302600_NS6detail15normal_iteratorINSC_10device_ptrIKtEEEESI_EEEEESK_NSA_INS5_IJNSE_INSF_ItEEEESM_EEEEEPS7_SP_SP_NSC_11hip_rocprim7__merge17predicate_wrapperIttNSC_4lessItEEEEEE10hipError_tPvRmT0_T1_T2_T3_T4_T5_mmT6_P12ihipStream_tbEUlT_E0_NS1_11comp_targetILNS1_3genE5ELNS1_11target_archE942ELNS1_3gpuE9ELNS1_3repE0EEENS1_30default_config_static_selectorELNS0_4arch9wavefront6targetE0EEEvS10_
                                        ; -- End function
	.set _ZN7rocprim17ROCPRIM_400000_NS6detail17trampoline_kernelINS0_14default_configENS1_21merge_config_selectorINS0_5tupleIJttEEENS0_10empty_typeEEEZNS1_10merge_implIS3_NS0_12zip_iteratorINS5_IJN6thrust23THRUST_200600_302600_NS6detail15normal_iteratorINSC_10device_ptrIKtEEEESI_EEEEESK_NSA_INS5_IJNSE_INSF_ItEEEESM_EEEEEPS7_SP_SP_NSC_11hip_rocprim7__merge17predicate_wrapperIttNSC_4lessItEEEEEE10hipError_tPvRmT0_T1_T2_T3_T4_T5_mmT6_P12ihipStream_tbEUlT_E0_NS1_11comp_targetILNS1_3genE5ELNS1_11target_archE942ELNS1_3gpuE9ELNS1_3repE0EEENS1_30default_config_static_selectorELNS0_4arch9wavefront6targetE0EEEvS10_.num_vgpr, 0
	.set _ZN7rocprim17ROCPRIM_400000_NS6detail17trampoline_kernelINS0_14default_configENS1_21merge_config_selectorINS0_5tupleIJttEEENS0_10empty_typeEEEZNS1_10merge_implIS3_NS0_12zip_iteratorINS5_IJN6thrust23THRUST_200600_302600_NS6detail15normal_iteratorINSC_10device_ptrIKtEEEESI_EEEEESK_NSA_INS5_IJNSE_INSF_ItEEEESM_EEEEEPS7_SP_SP_NSC_11hip_rocprim7__merge17predicate_wrapperIttNSC_4lessItEEEEEE10hipError_tPvRmT0_T1_T2_T3_T4_T5_mmT6_P12ihipStream_tbEUlT_E0_NS1_11comp_targetILNS1_3genE5ELNS1_11target_archE942ELNS1_3gpuE9ELNS1_3repE0EEENS1_30default_config_static_selectorELNS0_4arch9wavefront6targetE0EEEvS10_.num_agpr, 0
	.set _ZN7rocprim17ROCPRIM_400000_NS6detail17trampoline_kernelINS0_14default_configENS1_21merge_config_selectorINS0_5tupleIJttEEENS0_10empty_typeEEEZNS1_10merge_implIS3_NS0_12zip_iteratorINS5_IJN6thrust23THRUST_200600_302600_NS6detail15normal_iteratorINSC_10device_ptrIKtEEEESI_EEEEESK_NSA_INS5_IJNSE_INSF_ItEEEESM_EEEEEPS7_SP_SP_NSC_11hip_rocprim7__merge17predicate_wrapperIttNSC_4lessItEEEEEE10hipError_tPvRmT0_T1_T2_T3_T4_T5_mmT6_P12ihipStream_tbEUlT_E0_NS1_11comp_targetILNS1_3genE5ELNS1_11target_archE942ELNS1_3gpuE9ELNS1_3repE0EEENS1_30default_config_static_selectorELNS0_4arch9wavefront6targetE0EEEvS10_.numbered_sgpr, 0
	.set _ZN7rocprim17ROCPRIM_400000_NS6detail17trampoline_kernelINS0_14default_configENS1_21merge_config_selectorINS0_5tupleIJttEEENS0_10empty_typeEEEZNS1_10merge_implIS3_NS0_12zip_iteratorINS5_IJN6thrust23THRUST_200600_302600_NS6detail15normal_iteratorINSC_10device_ptrIKtEEEESI_EEEEESK_NSA_INS5_IJNSE_INSF_ItEEEESM_EEEEEPS7_SP_SP_NSC_11hip_rocprim7__merge17predicate_wrapperIttNSC_4lessItEEEEEE10hipError_tPvRmT0_T1_T2_T3_T4_T5_mmT6_P12ihipStream_tbEUlT_E0_NS1_11comp_targetILNS1_3genE5ELNS1_11target_archE942ELNS1_3gpuE9ELNS1_3repE0EEENS1_30default_config_static_selectorELNS0_4arch9wavefront6targetE0EEEvS10_.num_named_barrier, 0
	.set _ZN7rocprim17ROCPRIM_400000_NS6detail17trampoline_kernelINS0_14default_configENS1_21merge_config_selectorINS0_5tupleIJttEEENS0_10empty_typeEEEZNS1_10merge_implIS3_NS0_12zip_iteratorINS5_IJN6thrust23THRUST_200600_302600_NS6detail15normal_iteratorINSC_10device_ptrIKtEEEESI_EEEEESK_NSA_INS5_IJNSE_INSF_ItEEEESM_EEEEEPS7_SP_SP_NSC_11hip_rocprim7__merge17predicate_wrapperIttNSC_4lessItEEEEEE10hipError_tPvRmT0_T1_T2_T3_T4_T5_mmT6_P12ihipStream_tbEUlT_E0_NS1_11comp_targetILNS1_3genE5ELNS1_11target_archE942ELNS1_3gpuE9ELNS1_3repE0EEENS1_30default_config_static_selectorELNS0_4arch9wavefront6targetE0EEEvS10_.private_seg_size, 0
	.set _ZN7rocprim17ROCPRIM_400000_NS6detail17trampoline_kernelINS0_14default_configENS1_21merge_config_selectorINS0_5tupleIJttEEENS0_10empty_typeEEEZNS1_10merge_implIS3_NS0_12zip_iteratorINS5_IJN6thrust23THRUST_200600_302600_NS6detail15normal_iteratorINSC_10device_ptrIKtEEEESI_EEEEESK_NSA_INS5_IJNSE_INSF_ItEEEESM_EEEEEPS7_SP_SP_NSC_11hip_rocprim7__merge17predicate_wrapperIttNSC_4lessItEEEEEE10hipError_tPvRmT0_T1_T2_T3_T4_T5_mmT6_P12ihipStream_tbEUlT_E0_NS1_11comp_targetILNS1_3genE5ELNS1_11target_archE942ELNS1_3gpuE9ELNS1_3repE0EEENS1_30default_config_static_selectorELNS0_4arch9wavefront6targetE0EEEvS10_.uses_vcc, 0
	.set _ZN7rocprim17ROCPRIM_400000_NS6detail17trampoline_kernelINS0_14default_configENS1_21merge_config_selectorINS0_5tupleIJttEEENS0_10empty_typeEEEZNS1_10merge_implIS3_NS0_12zip_iteratorINS5_IJN6thrust23THRUST_200600_302600_NS6detail15normal_iteratorINSC_10device_ptrIKtEEEESI_EEEEESK_NSA_INS5_IJNSE_INSF_ItEEEESM_EEEEEPS7_SP_SP_NSC_11hip_rocprim7__merge17predicate_wrapperIttNSC_4lessItEEEEEE10hipError_tPvRmT0_T1_T2_T3_T4_T5_mmT6_P12ihipStream_tbEUlT_E0_NS1_11comp_targetILNS1_3genE5ELNS1_11target_archE942ELNS1_3gpuE9ELNS1_3repE0EEENS1_30default_config_static_selectorELNS0_4arch9wavefront6targetE0EEEvS10_.uses_flat_scratch, 0
	.set _ZN7rocprim17ROCPRIM_400000_NS6detail17trampoline_kernelINS0_14default_configENS1_21merge_config_selectorINS0_5tupleIJttEEENS0_10empty_typeEEEZNS1_10merge_implIS3_NS0_12zip_iteratorINS5_IJN6thrust23THRUST_200600_302600_NS6detail15normal_iteratorINSC_10device_ptrIKtEEEESI_EEEEESK_NSA_INS5_IJNSE_INSF_ItEEEESM_EEEEEPS7_SP_SP_NSC_11hip_rocprim7__merge17predicate_wrapperIttNSC_4lessItEEEEEE10hipError_tPvRmT0_T1_T2_T3_T4_T5_mmT6_P12ihipStream_tbEUlT_E0_NS1_11comp_targetILNS1_3genE5ELNS1_11target_archE942ELNS1_3gpuE9ELNS1_3repE0EEENS1_30default_config_static_selectorELNS0_4arch9wavefront6targetE0EEEvS10_.has_dyn_sized_stack, 0
	.set _ZN7rocprim17ROCPRIM_400000_NS6detail17trampoline_kernelINS0_14default_configENS1_21merge_config_selectorINS0_5tupleIJttEEENS0_10empty_typeEEEZNS1_10merge_implIS3_NS0_12zip_iteratorINS5_IJN6thrust23THRUST_200600_302600_NS6detail15normal_iteratorINSC_10device_ptrIKtEEEESI_EEEEESK_NSA_INS5_IJNSE_INSF_ItEEEESM_EEEEEPS7_SP_SP_NSC_11hip_rocprim7__merge17predicate_wrapperIttNSC_4lessItEEEEEE10hipError_tPvRmT0_T1_T2_T3_T4_T5_mmT6_P12ihipStream_tbEUlT_E0_NS1_11comp_targetILNS1_3genE5ELNS1_11target_archE942ELNS1_3gpuE9ELNS1_3repE0EEENS1_30default_config_static_selectorELNS0_4arch9wavefront6targetE0EEEvS10_.has_recursion, 0
	.set _ZN7rocprim17ROCPRIM_400000_NS6detail17trampoline_kernelINS0_14default_configENS1_21merge_config_selectorINS0_5tupleIJttEEENS0_10empty_typeEEEZNS1_10merge_implIS3_NS0_12zip_iteratorINS5_IJN6thrust23THRUST_200600_302600_NS6detail15normal_iteratorINSC_10device_ptrIKtEEEESI_EEEEESK_NSA_INS5_IJNSE_INSF_ItEEEESM_EEEEEPS7_SP_SP_NSC_11hip_rocprim7__merge17predicate_wrapperIttNSC_4lessItEEEEEE10hipError_tPvRmT0_T1_T2_T3_T4_T5_mmT6_P12ihipStream_tbEUlT_E0_NS1_11comp_targetILNS1_3genE5ELNS1_11target_archE942ELNS1_3gpuE9ELNS1_3repE0EEENS1_30default_config_static_selectorELNS0_4arch9wavefront6targetE0EEEvS10_.has_indirect_call, 0
	.section	.AMDGPU.csdata,"",@progbits
; Kernel info:
; codeLenInByte = 0
; TotalNumSgprs: 0
; NumVgprs: 0
; ScratchSize: 0
; MemoryBound: 0
; FloatMode: 240
; IeeeMode: 1
; LDSByteSize: 0 bytes/workgroup (compile time only)
; SGPRBlocks: 0
; VGPRBlocks: 0
; NumSGPRsForWavesPerEU: 1
; NumVGPRsForWavesPerEU: 1
; NamedBarCnt: 0
; Occupancy: 16
; WaveLimiterHint : 0
; COMPUTE_PGM_RSRC2:SCRATCH_EN: 0
; COMPUTE_PGM_RSRC2:USER_SGPR: 2
; COMPUTE_PGM_RSRC2:TRAP_HANDLER: 0
; COMPUTE_PGM_RSRC2:TGID_X_EN: 1
; COMPUTE_PGM_RSRC2:TGID_Y_EN: 0
; COMPUTE_PGM_RSRC2:TGID_Z_EN: 0
; COMPUTE_PGM_RSRC2:TIDIG_COMP_CNT: 0
	.section	.text._ZN7rocprim17ROCPRIM_400000_NS6detail17trampoline_kernelINS0_14default_configENS1_21merge_config_selectorINS0_5tupleIJttEEENS0_10empty_typeEEEZNS1_10merge_implIS3_NS0_12zip_iteratorINS5_IJN6thrust23THRUST_200600_302600_NS6detail15normal_iteratorINSC_10device_ptrIKtEEEESI_EEEEESK_NSA_INS5_IJNSE_INSF_ItEEEESM_EEEEEPS7_SP_SP_NSC_11hip_rocprim7__merge17predicate_wrapperIttNSC_4lessItEEEEEE10hipError_tPvRmT0_T1_T2_T3_T4_T5_mmT6_P12ihipStream_tbEUlT_E0_NS1_11comp_targetILNS1_3genE4ELNS1_11target_archE910ELNS1_3gpuE8ELNS1_3repE0EEENS1_30default_config_static_selectorELNS0_4arch9wavefront6targetE0EEEvS10_,"axG",@progbits,_ZN7rocprim17ROCPRIM_400000_NS6detail17trampoline_kernelINS0_14default_configENS1_21merge_config_selectorINS0_5tupleIJttEEENS0_10empty_typeEEEZNS1_10merge_implIS3_NS0_12zip_iteratorINS5_IJN6thrust23THRUST_200600_302600_NS6detail15normal_iteratorINSC_10device_ptrIKtEEEESI_EEEEESK_NSA_INS5_IJNSE_INSF_ItEEEESM_EEEEEPS7_SP_SP_NSC_11hip_rocprim7__merge17predicate_wrapperIttNSC_4lessItEEEEEE10hipError_tPvRmT0_T1_T2_T3_T4_T5_mmT6_P12ihipStream_tbEUlT_E0_NS1_11comp_targetILNS1_3genE4ELNS1_11target_archE910ELNS1_3gpuE8ELNS1_3repE0EEENS1_30default_config_static_selectorELNS0_4arch9wavefront6targetE0EEEvS10_,comdat
	.protected	_ZN7rocprim17ROCPRIM_400000_NS6detail17trampoline_kernelINS0_14default_configENS1_21merge_config_selectorINS0_5tupleIJttEEENS0_10empty_typeEEEZNS1_10merge_implIS3_NS0_12zip_iteratorINS5_IJN6thrust23THRUST_200600_302600_NS6detail15normal_iteratorINSC_10device_ptrIKtEEEESI_EEEEESK_NSA_INS5_IJNSE_INSF_ItEEEESM_EEEEEPS7_SP_SP_NSC_11hip_rocprim7__merge17predicate_wrapperIttNSC_4lessItEEEEEE10hipError_tPvRmT0_T1_T2_T3_T4_T5_mmT6_P12ihipStream_tbEUlT_E0_NS1_11comp_targetILNS1_3genE4ELNS1_11target_archE910ELNS1_3gpuE8ELNS1_3repE0EEENS1_30default_config_static_selectorELNS0_4arch9wavefront6targetE0EEEvS10_ ; -- Begin function _ZN7rocprim17ROCPRIM_400000_NS6detail17trampoline_kernelINS0_14default_configENS1_21merge_config_selectorINS0_5tupleIJttEEENS0_10empty_typeEEEZNS1_10merge_implIS3_NS0_12zip_iteratorINS5_IJN6thrust23THRUST_200600_302600_NS6detail15normal_iteratorINSC_10device_ptrIKtEEEESI_EEEEESK_NSA_INS5_IJNSE_INSF_ItEEEESM_EEEEEPS7_SP_SP_NSC_11hip_rocprim7__merge17predicate_wrapperIttNSC_4lessItEEEEEE10hipError_tPvRmT0_T1_T2_T3_T4_T5_mmT6_P12ihipStream_tbEUlT_E0_NS1_11comp_targetILNS1_3genE4ELNS1_11target_archE910ELNS1_3gpuE8ELNS1_3repE0EEENS1_30default_config_static_selectorELNS0_4arch9wavefront6targetE0EEEvS10_
	.globl	_ZN7rocprim17ROCPRIM_400000_NS6detail17trampoline_kernelINS0_14default_configENS1_21merge_config_selectorINS0_5tupleIJttEEENS0_10empty_typeEEEZNS1_10merge_implIS3_NS0_12zip_iteratorINS5_IJN6thrust23THRUST_200600_302600_NS6detail15normal_iteratorINSC_10device_ptrIKtEEEESI_EEEEESK_NSA_INS5_IJNSE_INSF_ItEEEESM_EEEEEPS7_SP_SP_NSC_11hip_rocprim7__merge17predicate_wrapperIttNSC_4lessItEEEEEE10hipError_tPvRmT0_T1_T2_T3_T4_T5_mmT6_P12ihipStream_tbEUlT_E0_NS1_11comp_targetILNS1_3genE4ELNS1_11target_archE910ELNS1_3gpuE8ELNS1_3repE0EEENS1_30default_config_static_selectorELNS0_4arch9wavefront6targetE0EEEvS10_
	.p2align	8
	.type	_ZN7rocprim17ROCPRIM_400000_NS6detail17trampoline_kernelINS0_14default_configENS1_21merge_config_selectorINS0_5tupleIJttEEENS0_10empty_typeEEEZNS1_10merge_implIS3_NS0_12zip_iteratorINS5_IJN6thrust23THRUST_200600_302600_NS6detail15normal_iteratorINSC_10device_ptrIKtEEEESI_EEEEESK_NSA_INS5_IJNSE_INSF_ItEEEESM_EEEEEPS7_SP_SP_NSC_11hip_rocprim7__merge17predicate_wrapperIttNSC_4lessItEEEEEE10hipError_tPvRmT0_T1_T2_T3_T4_T5_mmT6_P12ihipStream_tbEUlT_E0_NS1_11comp_targetILNS1_3genE4ELNS1_11target_archE910ELNS1_3gpuE8ELNS1_3repE0EEENS1_30default_config_static_selectorELNS0_4arch9wavefront6targetE0EEEvS10_,@function
_ZN7rocprim17ROCPRIM_400000_NS6detail17trampoline_kernelINS0_14default_configENS1_21merge_config_selectorINS0_5tupleIJttEEENS0_10empty_typeEEEZNS1_10merge_implIS3_NS0_12zip_iteratorINS5_IJN6thrust23THRUST_200600_302600_NS6detail15normal_iteratorINSC_10device_ptrIKtEEEESI_EEEEESK_NSA_INS5_IJNSE_INSF_ItEEEESM_EEEEEPS7_SP_SP_NSC_11hip_rocprim7__merge17predicate_wrapperIttNSC_4lessItEEEEEE10hipError_tPvRmT0_T1_T2_T3_T4_T5_mmT6_P12ihipStream_tbEUlT_E0_NS1_11comp_targetILNS1_3genE4ELNS1_11target_archE910ELNS1_3gpuE8ELNS1_3repE0EEENS1_30default_config_static_selectorELNS0_4arch9wavefront6targetE0EEEvS10_: ; @_ZN7rocprim17ROCPRIM_400000_NS6detail17trampoline_kernelINS0_14default_configENS1_21merge_config_selectorINS0_5tupleIJttEEENS0_10empty_typeEEEZNS1_10merge_implIS3_NS0_12zip_iteratorINS5_IJN6thrust23THRUST_200600_302600_NS6detail15normal_iteratorINSC_10device_ptrIKtEEEESI_EEEEESK_NSA_INS5_IJNSE_INSF_ItEEEESM_EEEEEPS7_SP_SP_NSC_11hip_rocprim7__merge17predicate_wrapperIttNSC_4lessItEEEEEE10hipError_tPvRmT0_T1_T2_T3_T4_T5_mmT6_P12ihipStream_tbEUlT_E0_NS1_11comp_targetILNS1_3genE4ELNS1_11target_archE910ELNS1_3gpuE8ELNS1_3repE0EEENS1_30default_config_static_selectorELNS0_4arch9wavefront6targetE0EEEvS10_
; %bb.0:
	.section	.rodata,"a",@progbits
	.p2align	6, 0x0
	.amdhsa_kernel _ZN7rocprim17ROCPRIM_400000_NS6detail17trampoline_kernelINS0_14default_configENS1_21merge_config_selectorINS0_5tupleIJttEEENS0_10empty_typeEEEZNS1_10merge_implIS3_NS0_12zip_iteratorINS5_IJN6thrust23THRUST_200600_302600_NS6detail15normal_iteratorINSC_10device_ptrIKtEEEESI_EEEEESK_NSA_INS5_IJNSE_INSF_ItEEEESM_EEEEEPS7_SP_SP_NSC_11hip_rocprim7__merge17predicate_wrapperIttNSC_4lessItEEEEEE10hipError_tPvRmT0_T1_T2_T3_T4_T5_mmT6_P12ihipStream_tbEUlT_E0_NS1_11comp_targetILNS1_3genE4ELNS1_11target_archE910ELNS1_3gpuE8ELNS1_3repE0EEENS1_30default_config_static_selectorELNS0_4arch9wavefront6targetE0EEEvS10_
		.amdhsa_group_segment_fixed_size 0
		.amdhsa_private_segment_fixed_size 0
		.amdhsa_kernarg_size 112
		.amdhsa_user_sgpr_count 2
		.amdhsa_user_sgpr_dispatch_ptr 0
		.amdhsa_user_sgpr_queue_ptr 0
		.amdhsa_user_sgpr_kernarg_segment_ptr 1
		.amdhsa_user_sgpr_dispatch_id 0
		.amdhsa_user_sgpr_kernarg_preload_length 0
		.amdhsa_user_sgpr_kernarg_preload_offset 0
		.amdhsa_user_sgpr_private_segment_size 0
		.amdhsa_wavefront_size32 1
		.amdhsa_uses_dynamic_stack 0
		.amdhsa_enable_private_segment 0
		.amdhsa_system_sgpr_workgroup_id_x 1
		.amdhsa_system_sgpr_workgroup_id_y 0
		.amdhsa_system_sgpr_workgroup_id_z 0
		.amdhsa_system_sgpr_workgroup_info 0
		.amdhsa_system_vgpr_workitem_id 0
		.amdhsa_next_free_vgpr 1
		.amdhsa_next_free_sgpr 1
		.amdhsa_named_barrier_count 0
		.amdhsa_reserve_vcc 0
		.amdhsa_float_round_mode_32 0
		.amdhsa_float_round_mode_16_64 0
		.amdhsa_float_denorm_mode_32 3
		.amdhsa_float_denorm_mode_16_64 3
		.amdhsa_fp16_overflow 0
		.amdhsa_memory_ordered 1
		.amdhsa_forward_progress 1
		.amdhsa_inst_pref_size 0
		.amdhsa_round_robin_scheduling 0
		.amdhsa_exception_fp_ieee_invalid_op 0
		.amdhsa_exception_fp_denorm_src 0
		.amdhsa_exception_fp_ieee_div_zero 0
		.amdhsa_exception_fp_ieee_overflow 0
		.amdhsa_exception_fp_ieee_underflow 0
		.amdhsa_exception_fp_ieee_inexact 0
		.amdhsa_exception_int_div_zero 0
	.end_amdhsa_kernel
	.section	.text._ZN7rocprim17ROCPRIM_400000_NS6detail17trampoline_kernelINS0_14default_configENS1_21merge_config_selectorINS0_5tupleIJttEEENS0_10empty_typeEEEZNS1_10merge_implIS3_NS0_12zip_iteratorINS5_IJN6thrust23THRUST_200600_302600_NS6detail15normal_iteratorINSC_10device_ptrIKtEEEESI_EEEEESK_NSA_INS5_IJNSE_INSF_ItEEEESM_EEEEEPS7_SP_SP_NSC_11hip_rocprim7__merge17predicate_wrapperIttNSC_4lessItEEEEEE10hipError_tPvRmT0_T1_T2_T3_T4_T5_mmT6_P12ihipStream_tbEUlT_E0_NS1_11comp_targetILNS1_3genE4ELNS1_11target_archE910ELNS1_3gpuE8ELNS1_3repE0EEENS1_30default_config_static_selectorELNS0_4arch9wavefront6targetE0EEEvS10_,"axG",@progbits,_ZN7rocprim17ROCPRIM_400000_NS6detail17trampoline_kernelINS0_14default_configENS1_21merge_config_selectorINS0_5tupleIJttEEENS0_10empty_typeEEEZNS1_10merge_implIS3_NS0_12zip_iteratorINS5_IJN6thrust23THRUST_200600_302600_NS6detail15normal_iteratorINSC_10device_ptrIKtEEEESI_EEEEESK_NSA_INS5_IJNSE_INSF_ItEEEESM_EEEEEPS7_SP_SP_NSC_11hip_rocprim7__merge17predicate_wrapperIttNSC_4lessItEEEEEE10hipError_tPvRmT0_T1_T2_T3_T4_T5_mmT6_P12ihipStream_tbEUlT_E0_NS1_11comp_targetILNS1_3genE4ELNS1_11target_archE910ELNS1_3gpuE8ELNS1_3repE0EEENS1_30default_config_static_selectorELNS0_4arch9wavefront6targetE0EEEvS10_,comdat
.Lfunc_end181:
	.size	_ZN7rocprim17ROCPRIM_400000_NS6detail17trampoline_kernelINS0_14default_configENS1_21merge_config_selectorINS0_5tupleIJttEEENS0_10empty_typeEEEZNS1_10merge_implIS3_NS0_12zip_iteratorINS5_IJN6thrust23THRUST_200600_302600_NS6detail15normal_iteratorINSC_10device_ptrIKtEEEESI_EEEEESK_NSA_INS5_IJNSE_INSF_ItEEEESM_EEEEEPS7_SP_SP_NSC_11hip_rocprim7__merge17predicate_wrapperIttNSC_4lessItEEEEEE10hipError_tPvRmT0_T1_T2_T3_T4_T5_mmT6_P12ihipStream_tbEUlT_E0_NS1_11comp_targetILNS1_3genE4ELNS1_11target_archE910ELNS1_3gpuE8ELNS1_3repE0EEENS1_30default_config_static_selectorELNS0_4arch9wavefront6targetE0EEEvS10_, .Lfunc_end181-_ZN7rocprim17ROCPRIM_400000_NS6detail17trampoline_kernelINS0_14default_configENS1_21merge_config_selectorINS0_5tupleIJttEEENS0_10empty_typeEEEZNS1_10merge_implIS3_NS0_12zip_iteratorINS5_IJN6thrust23THRUST_200600_302600_NS6detail15normal_iteratorINSC_10device_ptrIKtEEEESI_EEEEESK_NSA_INS5_IJNSE_INSF_ItEEEESM_EEEEEPS7_SP_SP_NSC_11hip_rocprim7__merge17predicate_wrapperIttNSC_4lessItEEEEEE10hipError_tPvRmT0_T1_T2_T3_T4_T5_mmT6_P12ihipStream_tbEUlT_E0_NS1_11comp_targetILNS1_3genE4ELNS1_11target_archE910ELNS1_3gpuE8ELNS1_3repE0EEENS1_30default_config_static_selectorELNS0_4arch9wavefront6targetE0EEEvS10_
                                        ; -- End function
	.set _ZN7rocprim17ROCPRIM_400000_NS6detail17trampoline_kernelINS0_14default_configENS1_21merge_config_selectorINS0_5tupleIJttEEENS0_10empty_typeEEEZNS1_10merge_implIS3_NS0_12zip_iteratorINS5_IJN6thrust23THRUST_200600_302600_NS6detail15normal_iteratorINSC_10device_ptrIKtEEEESI_EEEEESK_NSA_INS5_IJNSE_INSF_ItEEEESM_EEEEEPS7_SP_SP_NSC_11hip_rocprim7__merge17predicate_wrapperIttNSC_4lessItEEEEEE10hipError_tPvRmT0_T1_T2_T3_T4_T5_mmT6_P12ihipStream_tbEUlT_E0_NS1_11comp_targetILNS1_3genE4ELNS1_11target_archE910ELNS1_3gpuE8ELNS1_3repE0EEENS1_30default_config_static_selectorELNS0_4arch9wavefront6targetE0EEEvS10_.num_vgpr, 0
	.set _ZN7rocprim17ROCPRIM_400000_NS6detail17trampoline_kernelINS0_14default_configENS1_21merge_config_selectorINS0_5tupleIJttEEENS0_10empty_typeEEEZNS1_10merge_implIS3_NS0_12zip_iteratorINS5_IJN6thrust23THRUST_200600_302600_NS6detail15normal_iteratorINSC_10device_ptrIKtEEEESI_EEEEESK_NSA_INS5_IJNSE_INSF_ItEEEESM_EEEEEPS7_SP_SP_NSC_11hip_rocprim7__merge17predicate_wrapperIttNSC_4lessItEEEEEE10hipError_tPvRmT0_T1_T2_T3_T4_T5_mmT6_P12ihipStream_tbEUlT_E0_NS1_11comp_targetILNS1_3genE4ELNS1_11target_archE910ELNS1_3gpuE8ELNS1_3repE0EEENS1_30default_config_static_selectorELNS0_4arch9wavefront6targetE0EEEvS10_.num_agpr, 0
	.set _ZN7rocprim17ROCPRIM_400000_NS6detail17trampoline_kernelINS0_14default_configENS1_21merge_config_selectorINS0_5tupleIJttEEENS0_10empty_typeEEEZNS1_10merge_implIS3_NS0_12zip_iteratorINS5_IJN6thrust23THRUST_200600_302600_NS6detail15normal_iteratorINSC_10device_ptrIKtEEEESI_EEEEESK_NSA_INS5_IJNSE_INSF_ItEEEESM_EEEEEPS7_SP_SP_NSC_11hip_rocprim7__merge17predicate_wrapperIttNSC_4lessItEEEEEE10hipError_tPvRmT0_T1_T2_T3_T4_T5_mmT6_P12ihipStream_tbEUlT_E0_NS1_11comp_targetILNS1_3genE4ELNS1_11target_archE910ELNS1_3gpuE8ELNS1_3repE0EEENS1_30default_config_static_selectorELNS0_4arch9wavefront6targetE0EEEvS10_.numbered_sgpr, 0
	.set _ZN7rocprim17ROCPRIM_400000_NS6detail17trampoline_kernelINS0_14default_configENS1_21merge_config_selectorINS0_5tupleIJttEEENS0_10empty_typeEEEZNS1_10merge_implIS3_NS0_12zip_iteratorINS5_IJN6thrust23THRUST_200600_302600_NS6detail15normal_iteratorINSC_10device_ptrIKtEEEESI_EEEEESK_NSA_INS5_IJNSE_INSF_ItEEEESM_EEEEEPS7_SP_SP_NSC_11hip_rocprim7__merge17predicate_wrapperIttNSC_4lessItEEEEEE10hipError_tPvRmT0_T1_T2_T3_T4_T5_mmT6_P12ihipStream_tbEUlT_E0_NS1_11comp_targetILNS1_3genE4ELNS1_11target_archE910ELNS1_3gpuE8ELNS1_3repE0EEENS1_30default_config_static_selectorELNS0_4arch9wavefront6targetE0EEEvS10_.num_named_barrier, 0
	.set _ZN7rocprim17ROCPRIM_400000_NS6detail17trampoline_kernelINS0_14default_configENS1_21merge_config_selectorINS0_5tupleIJttEEENS0_10empty_typeEEEZNS1_10merge_implIS3_NS0_12zip_iteratorINS5_IJN6thrust23THRUST_200600_302600_NS6detail15normal_iteratorINSC_10device_ptrIKtEEEESI_EEEEESK_NSA_INS5_IJNSE_INSF_ItEEEESM_EEEEEPS7_SP_SP_NSC_11hip_rocprim7__merge17predicate_wrapperIttNSC_4lessItEEEEEE10hipError_tPvRmT0_T1_T2_T3_T4_T5_mmT6_P12ihipStream_tbEUlT_E0_NS1_11comp_targetILNS1_3genE4ELNS1_11target_archE910ELNS1_3gpuE8ELNS1_3repE0EEENS1_30default_config_static_selectorELNS0_4arch9wavefront6targetE0EEEvS10_.private_seg_size, 0
	.set _ZN7rocprim17ROCPRIM_400000_NS6detail17trampoline_kernelINS0_14default_configENS1_21merge_config_selectorINS0_5tupleIJttEEENS0_10empty_typeEEEZNS1_10merge_implIS3_NS0_12zip_iteratorINS5_IJN6thrust23THRUST_200600_302600_NS6detail15normal_iteratorINSC_10device_ptrIKtEEEESI_EEEEESK_NSA_INS5_IJNSE_INSF_ItEEEESM_EEEEEPS7_SP_SP_NSC_11hip_rocprim7__merge17predicate_wrapperIttNSC_4lessItEEEEEE10hipError_tPvRmT0_T1_T2_T3_T4_T5_mmT6_P12ihipStream_tbEUlT_E0_NS1_11comp_targetILNS1_3genE4ELNS1_11target_archE910ELNS1_3gpuE8ELNS1_3repE0EEENS1_30default_config_static_selectorELNS0_4arch9wavefront6targetE0EEEvS10_.uses_vcc, 0
	.set _ZN7rocprim17ROCPRIM_400000_NS6detail17trampoline_kernelINS0_14default_configENS1_21merge_config_selectorINS0_5tupleIJttEEENS0_10empty_typeEEEZNS1_10merge_implIS3_NS0_12zip_iteratorINS5_IJN6thrust23THRUST_200600_302600_NS6detail15normal_iteratorINSC_10device_ptrIKtEEEESI_EEEEESK_NSA_INS5_IJNSE_INSF_ItEEEESM_EEEEEPS7_SP_SP_NSC_11hip_rocprim7__merge17predicate_wrapperIttNSC_4lessItEEEEEE10hipError_tPvRmT0_T1_T2_T3_T4_T5_mmT6_P12ihipStream_tbEUlT_E0_NS1_11comp_targetILNS1_3genE4ELNS1_11target_archE910ELNS1_3gpuE8ELNS1_3repE0EEENS1_30default_config_static_selectorELNS0_4arch9wavefront6targetE0EEEvS10_.uses_flat_scratch, 0
	.set _ZN7rocprim17ROCPRIM_400000_NS6detail17trampoline_kernelINS0_14default_configENS1_21merge_config_selectorINS0_5tupleIJttEEENS0_10empty_typeEEEZNS1_10merge_implIS3_NS0_12zip_iteratorINS5_IJN6thrust23THRUST_200600_302600_NS6detail15normal_iteratorINSC_10device_ptrIKtEEEESI_EEEEESK_NSA_INS5_IJNSE_INSF_ItEEEESM_EEEEEPS7_SP_SP_NSC_11hip_rocprim7__merge17predicate_wrapperIttNSC_4lessItEEEEEE10hipError_tPvRmT0_T1_T2_T3_T4_T5_mmT6_P12ihipStream_tbEUlT_E0_NS1_11comp_targetILNS1_3genE4ELNS1_11target_archE910ELNS1_3gpuE8ELNS1_3repE0EEENS1_30default_config_static_selectorELNS0_4arch9wavefront6targetE0EEEvS10_.has_dyn_sized_stack, 0
	.set _ZN7rocprim17ROCPRIM_400000_NS6detail17trampoline_kernelINS0_14default_configENS1_21merge_config_selectorINS0_5tupleIJttEEENS0_10empty_typeEEEZNS1_10merge_implIS3_NS0_12zip_iteratorINS5_IJN6thrust23THRUST_200600_302600_NS6detail15normal_iteratorINSC_10device_ptrIKtEEEESI_EEEEESK_NSA_INS5_IJNSE_INSF_ItEEEESM_EEEEEPS7_SP_SP_NSC_11hip_rocprim7__merge17predicate_wrapperIttNSC_4lessItEEEEEE10hipError_tPvRmT0_T1_T2_T3_T4_T5_mmT6_P12ihipStream_tbEUlT_E0_NS1_11comp_targetILNS1_3genE4ELNS1_11target_archE910ELNS1_3gpuE8ELNS1_3repE0EEENS1_30default_config_static_selectorELNS0_4arch9wavefront6targetE0EEEvS10_.has_recursion, 0
	.set _ZN7rocprim17ROCPRIM_400000_NS6detail17trampoline_kernelINS0_14default_configENS1_21merge_config_selectorINS0_5tupleIJttEEENS0_10empty_typeEEEZNS1_10merge_implIS3_NS0_12zip_iteratorINS5_IJN6thrust23THRUST_200600_302600_NS6detail15normal_iteratorINSC_10device_ptrIKtEEEESI_EEEEESK_NSA_INS5_IJNSE_INSF_ItEEEESM_EEEEEPS7_SP_SP_NSC_11hip_rocprim7__merge17predicate_wrapperIttNSC_4lessItEEEEEE10hipError_tPvRmT0_T1_T2_T3_T4_T5_mmT6_P12ihipStream_tbEUlT_E0_NS1_11comp_targetILNS1_3genE4ELNS1_11target_archE910ELNS1_3gpuE8ELNS1_3repE0EEENS1_30default_config_static_selectorELNS0_4arch9wavefront6targetE0EEEvS10_.has_indirect_call, 0
	.section	.AMDGPU.csdata,"",@progbits
; Kernel info:
; codeLenInByte = 0
; TotalNumSgprs: 0
; NumVgprs: 0
; ScratchSize: 0
; MemoryBound: 0
; FloatMode: 240
; IeeeMode: 1
; LDSByteSize: 0 bytes/workgroup (compile time only)
; SGPRBlocks: 0
; VGPRBlocks: 0
; NumSGPRsForWavesPerEU: 1
; NumVGPRsForWavesPerEU: 1
; NamedBarCnt: 0
; Occupancy: 16
; WaveLimiterHint : 0
; COMPUTE_PGM_RSRC2:SCRATCH_EN: 0
; COMPUTE_PGM_RSRC2:USER_SGPR: 2
; COMPUTE_PGM_RSRC2:TRAP_HANDLER: 0
; COMPUTE_PGM_RSRC2:TGID_X_EN: 1
; COMPUTE_PGM_RSRC2:TGID_Y_EN: 0
; COMPUTE_PGM_RSRC2:TGID_Z_EN: 0
; COMPUTE_PGM_RSRC2:TIDIG_COMP_CNT: 0
	.section	.text._ZN7rocprim17ROCPRIM_400000_NS6detail17trampoline_kernelINS0_14default_configENS1_21merge_config_selectorINS0_5tupleIJttEEENS0_10empty_typeEEEZNS1_10merge_implIS3_NS0_12zip_iteratorINS5_IJN6thrust23THRUST_200600_302600_NS6detail15normal_iteratorINSC_10device_ptrIKtEEEESI_EEEEESK_NSA_INS5_IJNSE_INSF_ItEEEESM_EEEEEPS7_SP_SP_NSC_11hip_rocprim7__merge17predicate_wrapperIttNSC_4lessItEEEEEE10hipError_tPvRmT0_T1_T2_T3_T4_T5_mmT6_P12ihipStream_tbEUlT_E0_NS1_11comp_targetILNS1_3genE3ELNS1_11target_archE908ELNS1_3gpuE7ELNS1_3repE0EEENS1_30default_config_static_selectorELNS0_4arch9wavefront6targetE0EEEvS10_,"axG",@progbits,_ZN7rocprim17ROCPRIM_400000_NS6detail17trampoline_kernelINS0_14default_configENS1_21merge_config_selectorINS0_5tupleIJttEEENS0_10empty_typeEEEZNS1_10merge_implIS3_NS0_12zip_iteratorINS5_IJN6thrust23THRUST_200600_302600_NS6detail15normal_iteratorINSC_10device_ptrIKtEEEESI_EEEEESK_NSA_INS5_IJNSE_INSF_ItEEEESM_EEEEEPS7_SP_SP_NSC_11hip_rocprim7__merge17predicate_wrapperIttNSC_4lessItEEEEEE10hipError_tPvRmT0_T1_T2_T3_T4_T5_mmT6_P12ihipStream_tbEUlT_E0_NS1_11comp_targetILNS1_3genE3ELNS1_11target_archE908ELNS1_3gpuE7ELNS1_3repE0EEENS1_30default_config_static_selectorELNS0_4arch9wavefront6targetE0EEEvS10_,comdat
	.protected	_ZN7rocprim17ROCPRIM_400000_NS6detail17trampoline_kernelINS0_14default_configENS1_21merge_config_selectorINS0_5tupleIJttEEENS0_10empty_typeEEEZNS1_10merge_implIS3_NS0_12zip_iteratorINS5_IJN6thrust23THRUST_200600_302600_NS6detail15normal_iteratorINSC_10device_ptrIKtEEEESI_EEEEESK_NSA_INS5_IJNSE_INSF_ItEEEESM_EEEEEPS7_SP_SP_NSC_11hip_rocprim7__merge17predicate_wrapperIttNSC_4lessItEEEEEE10hipError_tPvRmT0_T1_T2_T3_T4_T5_mmT6_P12ihipStream_tbEUlT_E0_NS1_11comp_targetILNS1_3genE3ELNS1_11target_archE908ELNS1_3gpuE7ELNS1_3repE0EEENS1_30default_config_static_selectorELNS0_4arch9wavefront6targetE0EEEvS10_ ; -- Begin function _ZN7rocprim17ROCPRIM_400000_NS6detail17trampoline_kernelINS0_14default_configENS1_21merge_config_selectorINS0_5tupleIJttEEENS0_10empty_typeEEEZNS1_10merge_implIS3_NS0_12zip_iteratorINS5_IJN6thrust23THRUST_200600_302600_NS6detail15normal_iteratorINSC_10device_ptrIKtEEEESI_EEEEESK_NSA_INS5_IJNSE_INSF_ItEEEESM_EEEEEPS7_SP_SP_NSC_11hip_rocprim7__merge17predicate_wrapperIttNSC_4lessItEEEEEE10hipError_tPvRmT0_T1_T2_T3_T4_T5_mmT6_P12ihipStream_tbEUlT_E0_NS1_11comp_targetILNS1_3genE3ELNS1_11target_archE908ELNS1_3gpuE7ELNS1_3repE0EEENS1_30default_config_static_selectorELNS0_4arch9wavefront6targetE0EEEvS10_
	.globl	_ZN7rocprim17ROCPRIM_400000_NS6detail17trampoline_kernelINS0_14default_configENS1_21merge_config_selectorINS0_5tupleIJttEEENS0_10empty_typeEEEZNS1_10merge_implIS3_NS0_12zip_iteratorINS5_IJN6thrust23THRUST_200600_302600_NS6detail15normal_iteratorINSC_10device_ptrIKtEEEESI_EEEEESK_NSA_INS5_IJNSE_INSF_ItEEEESM_EEEEEPS7_SP_SP_NSC_11hip_rocprim7__merge17predicate_wrapperIttNSC_4lessItEEEEEE10hipError_tPvRmT0_T1_T2_T3_T4_T5_mmT6_P12ihipStream_tbEUlT_E0_NS1_11comp_targetILNS1_3genE3ELNS1_11target_archE908ELNS1_3gpuE7ELNS1_3repE0EEENS1_30default_config_static_selectorELNS0_4arch9wavefront6targetE0EEEvS10_
	.p2align	8
	.type	_ZN7rocprim17ROCPRIM_400000_NS6detail17trampoline_kernelINS0_14default_configENS1_21merge_config_selectorINS0_5tupleIJttEEENS0_10empty_typeEEEZNS1_10merge_implIS3_NS0_12zip_iteratorINS5_IJN6thrust23THRUST_200600_302600_NS6detail15normal_iteratorINSC_10device_ptrIKtEEEESI_EEEEESK_NSA_INS5_IJNSE_INSF_ItEEEESM_EEEEEPS7_SP_SP_NSC_11hip_rocprim7__merge17predicate_wrapperIttNSC_4lessItEEEEEE10hipError_tPvRmT0_T1_T2_T3_T4_T5_mmT6_P12ihipStream_tbEUlT_E0_NS1_11comp_targetILNS1_3genE3ELNS1_11target_archE908ELNS1_3gpuE7ELNS1_3repE0EEENS1_30default_config_static_selectorELNS0_4arch9wavefront6targetE0EEEvS10_,@function
_ZN7rocprim17ROCPRIM_400000_NS6detail17trampoline_kernelINS0_14default_configENS1_21merge_config_selectorINS0_5tupleIJttEEENS0_10empty_typeEEEZNS1_10merge_implIS3_NS0_12zip_iteratorINS5_IJN6thrust23THRUST_200600_302600_NS6detail15normal_iteratorINSC_10device_ptrIKtEEEESI_EEEEESK_NSA_INS5_IJNSE_INSF_ItEEEESM_EEEEEPS7_SP_SP_NSC_11hip_rocprim7__merge17predicate_wrapperIttNSC_4lessItEEEEEE10hipError_tPvRmT0_T1_T2_T3_T4_T5_mmT6_P12ihipStream_tbEUlT_E0_NS1_11comp_targetILNS1_3genE3ELNS1_11target_archE908ELNS1_3gpuE7ELNS1_3repE0EEENS1_30default_config_static_selectorELNS0_4arch9wavefront6targetE0EEEvS10_: ; @_ZN7rocprim17ROCPRIM_400000_NS6detail17trampoline_kernelINS0_14default_configENS1_21merge_config_selectorINS0_5tupleIJttEEENS0_10empty_typeEEEZNS1_10merge_implIS3_NS0_12zip_iteratorINS5_IJN6thrust23THRUST_200600_302600_NS6detail15normal_iteratorINSC_10device_ptrIKtEEEESI_EEEEESK_NSA_INS5_IJNSE_INSF_ItEEEESM_EEEEEPS7_SP_SP_NSC_11hip_rocprim7__merge17predicate_wrapperIttNSC_4lessItEEEEEE10hipError_tPvRmT0_T1_T2_T3_T4_T5_mmT6_P12ihipStream_tbEUlT_E0_NS1_11comp_targetILNS1_3genE3ELNS1_11target_archE908ELNS1_3gpuE7ELNS1_3repE0EEENS1_30default_config_static_selectorELNS0_4arch9wavefront6targetE0EEEvS10_
; %bb.0:
	.section	.rodata,"a",@progbits
	.p2align	6, 0x0
	.amdhsa_kernel _ZN7rocprim17ROCPRIM_400000_NS6detail17trampoline_kernelINS0_14default_configENS1_21merge_config_selectorINS0_5tupleIJttEEENS0_10empty_typeEEEZNS1_10merge_implIS3_NS0_12zip_iteratorINS5_IJN6thrust23THRUST_200600_302600_NS6detail15normal_iteratorINSC_10device_ptrIKtEEEESI_EEEEESK_NSA_INS5_IJNSE_INSF_ItEEEESM_EEEEEPS7_SP_SP_NSC_11hip_rocprim7__merge17predicate_wrapperIttNSC_4lessItEEEEEE10hipError_tPvRmT0_T1_T2_T3_T4_T5_mmT6_P12ihipStream_tbEUlT_E0_NS1_11comp_targetILNS1_3genE3ELNS1_11target_archE908ELNS1_3gpuE7ELNS1_3repE0EEENS1_30default_config_static_selectorELNS0_4arch9wavefront6targetE0EEEvS10_
		.amdhsa_group_segment_fixed_size 0
		.amdhsa_private_segment_fixed_size 0
		.amdhsa_kernarg_size 112
		.amdhsa_user_sgpr_count 2
		.amdhsa_user_sgpr_dispatch_ptr 0
		.amdhsa_user_sgpr_queue_ptr 0
		.amdhsa_user_sgpr_kernarg_segment_ptr 1
		.amdhsa_user_sgpr_dispatch_id 0
		.amdhsa_user_sgpr_kernarg_preload_length 0
		.amdhsa_user_sgpr_kernarg_preload_offset 0
		.amdhsa_user_sgpr_private_segment_size 0
		.amdhsa_wavefront_size32 1
		.amdhsa_uses_dynamic_stack 0
		.amdhsa_enable_private_segment 0
		.amdhsa_system_sgpr_workgroup_id_x 1
		.amdhsa_system_sgpr_workgroup_id_y 0
		.amdhsa_system_sgpr_workgroup_id_z 0
		.amdhsa_system_sgpr_workgroup_info 0
		.amdhsa_system_vgpr_workitem_id 0
		.amdhsa_next_free_vgpr 1
		.amdhsa_next_free_sgpr 1
		.amdhsa_named_barrier_count 0
		.amdhsa_reserve_vcc 0
		.amdhsa_float_round_mode_32 0
		.amdhsa_float_round_mode_16_64 0
		.amdhsa_float_denorm_mode_32 3
		.amdhsa_float_denorm_mode_16_64 3
		.amdhsa_fp16_overflow 0
		.amdhsa_memory_ordered 1
		.amdhsa_forward_progress 1
		.amdhsa_inst_pref_size 0
		.amdhsa_round_robin_scheduling 0
		.amdhsa_exception_fp_ieee_invalid_op 0
		.amdhsa_exception_fp_denorm_src 0
		.amdhsa_exception_fp_ieee_div_zero 0
		.amdhsa_exception_fp_ieee_overflow 0
		.amdhsa_exception_fp_ieee_underflow 0
		.amdhsa_exception_fp_ieee_inexact 0
		.amdhsa_exception_int_div_zero 0
	.end_amdhsa_kernel
	.section	.text._ZN7rocprim17ROCPRIM_400000_NS6detail17trampoline_kernelINS0_14default_configENS1_21merge_config_selectorINS0_5tupleIJttEEENS0_10empty_typeEEEZNS1_10merge_implIS3_NS0_12zip_iteratorINS5_IJN6thrust23THRUST_200600_302600_NS6detail15normal_iteratorINSC_10device_ptrIKtEEEESI_EEEEESK_NSA_INS5_IJNSE_INSF_ItEEEESM_EEEEEPS7_SP_SP_NSC_11hip_rocprim7__merge17predicate_wrapperIttNSC_4lessItEEEEEE10hipError_tPvRmT0_T1_T2_T3_T4_T5_mmT6_P12ihipStream_tbEUlT_E0_NS1_11comp_targetILNS1_3genE3ELNS1_11target_archE908ELNS1_3gpuE7ELNS1_3repE0EEENS1_30default_config_static_selectorELNS0_4arch9wavefront6targetE0EEEvS10_,"axG",@progbits,_ZN7rocprim17ROCPRIM_400000_NS6detail17trampoline_kernelINS0_14default_configENS1_21merge_config_selectorINS0_5tupleIJttEEENS0_10empty_typeEEEZNS1_10merge_implIS3_NS0_12zip_iteratorINS5_IJN6thrust23THRUST_200600_302600_NS6detail15normal_iteratorINSC_10device_ptrIKtEEEESI_EEEEESK_NSA_INS5_IJNSE_INSF_ItEEEESM_EEEEEPS7_SP_SP_NSC_11hip_rocprim7__merge17predicate_wrapperIttNSC_4lessItEEEEEE10hipError_tPvRmT0_T1_T2_T3_T4_T5_mmT6_P12ihipStream_tbEUlT_E0_NS1_11comp_targetILNS1_3genE3ELNS1_11target_archE908ELNS1_3gpuE7ELNS1_3repE0EEENS1_30default_config_static_selectorELNS0_4arch9wavefront6targetE0EEEvS10_,comdat
.Lfunc_end182:
	.size	_ZN7rocprim17ROCPRIM_400000_NS6detail17trampoline_kernelINS0_14default_configENS1_21merge_config_selectorINS0_5tupleIJttEEENS0_10empty_typeEEEZNS1_10merge_implIS3_NS0_12zip_iteratorINS5_IJN6thrust23THRUST_200600_302600_NS6detail15normal_iteratorINSC_10device_ptrIKtEEEESI_EEEEESK_NSA_INS5_IJNSE_INSF_ItEEEESM_EEEEEPS7_SP_SP_NSC_11hip_rocprim7__merge17predicate_wrapperIttNSC_4lessItEEEEEE10hipError_tPvRmT0_T1_T2_T3_T4_T5_mmT6_P12ihipStream_tbEUlT_E0_NS1_11comp_targetILNS1_3genE3ELNS1_11target_archE908ELNS1_3gpuE7ELNS1_3repE0EEENS1_30default_config_static_selectorELNS0_4arch9wavefront6targetE0EEEvS10_, .Lfunc_end182-_ZN7rocprim17ROCPRIM_400000_NS6detail17trampoline_kernelINS0_14default_configENS1_21merge_config_selectorINS0_5tupleIJttEEENS0_10empty_typeEEEZNS1_10merge_implIS3_NS0_12zip_iteratorINS5_IJN6thrust23THRUST_200600_302600_NS6detail15normal_iteratorINSC_10device_ptrIKtEEEESI_EEEEESK_NSA_INS5_IJNSE_INSF_ItEEEESM_EEEEEPS7_SP_SP_NSC_11hip_rocprim7__merge17predicate_wrapperIttNSC_4lessItEEEEEE10hipError_tPvRmT0_T1_T2_T3_T4_T5_mmT6_P12ihipStream_tbEUlT_E0_NS1_11comp_targetILNS1_3genE3ELNS1_11target_archE908ELNS1_3gpuE7ELNS1_3repE0EEENS1_30default_config_static_selectorELNS0_4arch9wavefront6targetE0EEEvS10_
                                        ; -- End function
	.set _ZN7rocprim17ROCPRIM_400000_NS6detail17trampoline_kernelINS0_14default_configENS1_21merge_config_selectorINS0_5tupleIJttEEENS0_10empty_typeEEEZNS1_10merge_implIS3_NS0_12zip_iteratorINS5_IJN6thrust23THRUST_200600_302600_NS6detail15normal_iteratorINSC_10device_ptrIKtEEEESI_EEEEESK_NSA_INS5_IJNSE_INSF_ItEEEESM_EEEEEPS7_SP_SP_NSC_11hip_rocprim7__merge17predicate_wrapperIttNSC_4lessItEEEEEE10hipError_tPvRmT0_T1_T2_T3_T4_T5_mmT6_P12ihipStream_tbEUlT_E0_NS1_11comp_targetILNS1_3genE3ELNS1_11target_archE908ELNS1_3gpuE7ELNS1_3repE0EEENS1_30default_config_static_selectorELNS0_4arch9wavefront6targetE0EEEvS10_.num_vgpr, 0
	.set _ZN7rocprim17ROCPRIM_400000_NS6detail17trampoline_kernelINS0_14default_configENS1_21merge_config_selectorINS0_5tupleIJttEEENS0_10empty_typeEEEZNS1_10merge_implIS3_NS0_12zip_iteratorINS5_IJN6thrust23THRUST_200600_302600_NS6detail15normal_iteratorINSC_10device_ptrIKtEEEESI_EEEEESK_NSA_INS5_IJNSE_INSF_ItEEEESM_EEEEEPS7_SP_SP_NSC_11hip_rocprim7__merge17predicate_wrapperIttNSC_4lessItEEEEEE10hipError_tPvRmT0_T1_T2_T3_T4_T5_mmT6_P12ihipStream_tbEUlT_E0_NS1_11comp_targetILNS1_3genE3ELNS1_11target_archE908ELNS1_3gpuE7ELNS1_3repE0EEENS1_30default_config_static_selectorELNS0_4arch9wavefront6targetE0EEEvS10_.num_agpr, 0
	.set _ZN7rocprim17ROCPRIM_400000_NS6detail17trampoline_kernelINS0_14default_configENS1_21merge_config_selectorINS0_5tupleIJttEEENS0_10empty_typeEEEZNS1_10merge_implIS3_NS0_12zip_iteratorINS5_IJN6thrust23THRUST_200600_302600_NS6detail15normal_iteratorINSC_10device_ptrIKtEEEESI_EEEEESK_NSA_INS5_IJNSE_INSF_ItEEEESM_EEEEEPS7_SP_SP_NSC_11hip_rocprim7__merge17predicate_wrapperIttNSC_4lessItEEEEEE10hipError_tPvRmT0_T1_T2_T3_T4_T5_mmT6_P12ihipStream_tbEUlT_E0_NS1_11comp_targetILNS1_3genE3ELNS1_11target_archE908ELNS1_3gpuE7ELNS1_3repE0EEENS1_30default_config_static_selectorELNS0_4arch9wavefront6targetE0EEEvS10_.numbered_sgpr, 0
	.set _ZN7rocprim17ROCPRIM_400000_NS6detail17trampoline_kernelINS0_14default_configENS1_21merge_config_selectorINS0_5tupleIJttEEENS0_10empty_typeEEEZNS1_10merge_implIS3_NS0_12zip_iteratorINS5_IJN6thrust23THRUST_200600_302600_NS6detail15normal_iteratorINSC_10device_ptrIKtEEEESI_EEEEESK_NSA_INS5_IJNSE_INSF_ItEEEESM_EEEEEPS7_SP_SP_NSC_11hip_rocprim7__merge17predicate_wrapperIttNSC_4lessItEEEEEE10hipError_tPvRmT0_T1_T2_T3_T4_T5_mmT6_P12ihipStream_tbEUlT_E0_NS1_11comp_targetILNS1_3genE3ELNS1_11target_archE908ELNS1_3gpuE7ELNS1_3repE0EEENS1_30default_config_static_selectorELNS0_4arch9wavefront6targetE0EEEvS10_.num_named_barrier, 0
	.set _ZN7rocprim17ROCPRIM_400000_NS6detail17trampoline_kernelINS0_14default_configENS1_21merge_config_selectorINS0_5tupleIJttEEENS0_10empty_typeEEEZNS1_10merge_implIS3_NS0_12zip_iteratorINS5_IJN6thrust23THRUST_200600_302600_NS6detail15normal_iteratorINSC_10device_ptrIKtEEEESI_EEEEESK_NSA_INS5_IJNSE_INSF_ItEEEESM_EEEEEPS7_SP_SP_NSC_11hip_rocprim7__merge17predicate_wrapperIttNSC_4lessItEEEEEE10hipError_tPvRmT0_T1_T2_T3_T4_T5_mmT6_P12ihipStream_tbEUlT_E0_NS1_11comp_targetILNS1_3genE3ELNS1_11target_archE908ELNS1_3gpuE7ELNS1_3repE0EEENS1_30default_config_static_selectorELNS0_4arch9wavefront6targetE0EEEvS10_.private_seg_size, 0
	.set _ZN7rocprim17ROCPRIM_400000_NS6detail17trampoline_kernelINS0_14default_configENS1_21merge_config_selectorINS0_5tupleIJttEEENS0_10empty_typeEEEZNS1_10merge_implIS3_NS0_12zip_iteratorINS5_IJN6thrust23THRUST_200600_302600_NS6detail15normal_iteratorINSC_10device_ptrIKtEEEESI_EEEEESK_NSA_INS5_IJNSE_INSF_ItEEEESM_EEEEEPS7_SP_SP_NSC_11hip_rocprim7__merge17predicate_wrapperIttNSC_4lessItEEEEEE10hipError_tPvRmT0_T1_T2_T3_T4_T5_mmT6_P12ihipStream_tbEUlT_E0_NS1_11comp_targetILNS1_3genE3ELNS1_11target_archE908ELNS1_3gpuE7ELNS1_3repE0EEENS1_30default_config_static_selectorELNS0_4arch9wavefront6targetE0EEEvS10_.uses_vcc, 0
	.set _ZN7rocprim17ROCPRIM_400000_NS6detail17trampoline_kernelINS0_14default_configENS1_21merge_config_selectorINS0_5tupleIJttEEENS0_10empty_typeEEEZNS1_10merge_implIS3_NS0_12zip_iteratorINS5_IJN6thrust23THRUST_200600_302600_NS6detail15normal_iteratorINSC_10device_ptrIKtEEEESI_EEEEESK_NSA_INS5_IJNSE_INSF_ItEEEESM_EEEEEPS7_SP_SP_NSC_11hip_rocprim7__merge17predicate_wrapperIttNSC_4lessItEEEEEE10hipError_tPvRmT0_T1_T2_T3_T4_T5_mmT6_P12ihipStream_tbEUlT_E0_NS1_11comp_targetILNS1_3genE3ELNS1_11target_archE908ELNS1_3gpuE7ELNS1_3repE0EEENS1_30default_config_static_selectorELNS0_4arch9wavefront6targetE0EEEvS10_.uses_flat_scratch, 0
	.set _ZN7rocprim17ROCPRIM_400000_NS6detail17trampoline_kernelINS0_14default_configENS1_21merge_config_selectorINS0_5tupleIJttEEENS0_10empty_typeEEEZNS1_10merge_implIS3_NS0_12zip_iteratorINS5_IJN6thrust23THRUST_200600_302600_NS6detail15normal_iteratorINSC_10device_ptrIKtEEEESI_EEEEESK_NSA_INS5_IJNSE_INSF_ItEEEESM_EEEEEPS7_SP_SP_NSC_11hip_rocprim7__merge17predicate_wrapperIttNSC_4lessItEEEEEE10hipError_tPvRmT0_T1_T2_T3_T4_T5_mmT6_P12ihipStream_tbEUlT_E0_NS1_11comp_targetILNS1_3genE3ELNS1_11target_archE908ELNS1_3gpuE7ELNS1_3repE0EEENS1_30default_config_static_selectorELNS0_4arch9wavefront6targetE0EEEvS10_.has_dyn_sized_stack, 0
	.set _ZN7rocprim17ROCPRIM_400000_NS6detail17trampoline_kernelINS0_14default_configENS1_21merge_config_selectorINS0_5tupleIJttEEENS0_10empty_typeEEEZNS1_10merge_implIS3_NS0_12zip_iteratorINS5_IJN6thrust23THRUST_200600_302600_NS6detail15normal_iteratorINSC_10device_ptrIKtEEEESI_EEEEESK_NSA_INS5_IJNSE_INSF_ItEEEESM_EEEEEPS7_SP_SP_NSC_11hip_rocprim7__merge17predicate_wrapperIttNSC_4lessItEEEEEE10hipError_tPvRmT0_T1_T2_T3_T4_T5_mmT6_P12ihipStream_tbEUlT_E0_NS1_11comp_targetILNS1_3genE3ELNS1_11target_archE908ELNS1_3gpuE7ELNS1_3repE0EEENS1_30default_config_static_selectorELNS0_4arch9wavefront6targetE0EEEvS10_.has_recursion, 0
	.set _ZN7rocprim17ROCPRIM_400000_NS6detail17trampoline_kernelINS0_14default_configENS1_21merge_config_selectorINS0_5tupleIJttEEENS0_10empty_typeEEEZNS1_10merge_implIS3_NS0_12zip_iteratorINS5_IJN6thrust23THRUST_200600_302600_NS6detail15normal_iteratorINSC_10device_ptrIKtEEEESI_EEEEESK_NSA_INS5_IJNSE_INSF_ItEEEESM_EEEEEPS7_SP_SP_NSC_11hip_rocprim7__merge17predicate_wrapperIttNSC_4lessItEEEEEE10hipError_tPvRmT0_T1_T2_T3_T4_T5_mmT6_P12ihipStream_tbEUlT_E0_NS1_11comp_targetILNS1_3genE3ELNS1_11target_archE908ELNS1_3gpuE7ELNS1_3repE0EEENS1_30default_config_static_selectorELNS0_4arch9wavefront6targetE0EEEvS10_.has_indirect_call, 0
	.section	.AMDGPU.csdata,"",@progbits
; Kernel info:
; codeLenInByte = 0
; TotalNumSgprs: 0
; NumVgprs: 0
; ScratchSize: 0
; MemoryBound: 0
; FloatMode: 240
; IeeeMode: 1
; LDSByteSize: 0 bytes/workgroup (compile time only)
; SGPRBlocks: 0
; VGPRBlocks: 0
; NumSGPRsForWavesPerEU: 1
; NumVGPRsForWavesPerEU: 1
; NamedBarCnt: 0
; Occupancy: 16
; WaveLimiterHint : 0
; COMPUTE_PGM_RSRC2:SCRATCH_EN: 0
; COMPUTE_PGM_RSRC2:USER_SGPR: 2
; COMPUTE_PGM_RSRC2:TRAP_HANDLER: 0
; COMPUTE_PGM_RSRC2:TGID_X_EN: 1
; COMPUTE_PGM_RSRC2:TGID_Y_EN: 0
; COMPUTE_PGM_RSRC2:TGID_Z_EN: 0
; COMPUTE_PGM_RSRC2:TIDIG_COMP_CNT: 0
	.section	.text._ZN7rocprim17ROCPRIM_400000_NS6detail17trampoline_kernelINS0_14default_configENS1_21merge_config_selectorINS0_5tupleIJttEEENS0_10empty_typeEEEZNS1_10merge_implIS3_NS0_12zip_iteratorINS5_IJN6thrust23THRUST_200600_302600_NS6detail15normal_iteratorINSC_10device_ptrIKtEEEESI_EEEEESK_NSA_INS5_IJNSE_INSF_ItEEEESM_EEEEEPS7_SP_SP_NSC_11hip_rocprim7__merge17predicate_wrapperIttNSC_4lessItEEEEEE10hipError_tPvRmT0_T1_T2_T3_T4_T5_mmT6_P12ihipStream_tbEUlT_E0_NS1_11comp_targetILNS1_3genE2ELNS1_11target_archE906ELNS1_3gpuE6ELNS1_3repE0EEENS1_30default_config_static_selectorELNS0_4arch9wavefront6targetE0EEEvS10_,"axG",@progbits,_ZN7rocprim17ROCPRIM_400000_NS6detail17trampoline_kernelINS0_14default_configENS1_21merge_config_selectorINS0_5tupleIJttEEENS0_10empty_typeEEEZNS1_10merge_implIS3_NS0_12zip_iteratorINS5_IJN6thrust23THRUST_200600_302600_NS6detail15normal_iteratorINSC_10device_ptrIKtEEEESI_EEEEESK_NSA_INS5_IJNSE_INSF_ItEEEESM_EEEEEPS7_SP_SP_NSC_11hip_rocprim7__merge17predicate_wrapperIttNSC_4lessItEEEEEE10hipError_tPvRmT0_T1_T2_T3_T4_T5_mmT6_P12ihipStream_tbEUlT_E0_NS1_11comp_targetILNS1_3genE2ELNS1_11target_archE906ELNS1_3gpuE6ELNS1_3repE0EEENS1_30default_config_static_selectorELNS0_4arch9wavefront6targetE0EEEvS10_,comdat
	.protected	_ZN7rocprim17ROCPRIM_400000_NS6detail17trampoline_kernelINS0_14default_configENS1_21merge_config_selectorINS0_5tupleIJttEEENS0_10empty_typeEEEZNS1_10merge_implIS3_NS0_12zip_iteratorINS5_IJN6thrust23THRUST_200600_302600_NS6detail15normal_iteratorINSC_10device_ptrIKtEEEESI_EEEEESK_NSA_INS5_IJNSE_INSF_ItEEEESM_EEEEEPS7_SP_SP_NSC_11hip_rocprim7__merge17predicate_wrapperIttNSC_4lessItEEEEEE10hipError_tPvRmT0_T1_T2_T3_T4_T5_mmT6_P12ihipStream_tbEUlT_E0_NS1_11comp_targetILNS1_3genE2ELNS1_11target_archE906ELNS1_3gpuE6ELNS1_3repE0EEENS1_30default_config_static_selectorELNS0_4arch9wavefront6targetE0EEEvS10_ ; -- Begin function _ZN7rocprim17ROCPRIM_400000_NS6detail17trampoline_kernelINS0_14default_configENS1_21merge_config_selectorINS0_5tupleIJttEEENS0_10empty_typeEEEZNS1_10merge_implIS3_NS0_12zip_iteratorINS5_IJN6thrust23THRUST_200600_302600_NS6detail15normal_iteratorINSC_10device_ptrIKtEEEESI_EEEEESK_NSA_INS5_IJNSE_INSF_ItEEEESM_EEEEEPS7_SP_SP_NSC_11hip_rocprim7__merge17predicate_wrapperIttNSC_4lessItEEEEEE10hipError_tPvRmT0_T1_T2_T3_T4_T5_mmT6_P12ihipStream_tbEUlT_E0_NS1_11comp_targetILNS1_3genE2ELNS1_11target_archE906ELNS1_3gpuE6ELNS1_3repE0EEENS1_30default_config_static_selectorELNS0_4arch9wavefront6targetE0EEEvS10_
	.globl	_ZN7rocprim17ROCPRIM_400000_NS6detail17trampoline_kernelINS0_14default_configENS1_21merge_config_selectorINS0_5tupleIJttEEENS0_10empty_typeEEEZNS1_10merge_implIS3_NS0_12zip_iteratorINS5_IJN6thrust23THRUST_200600_302600_NS6detail15normal_iteratorINSC_10device_ptrIKtEEEESI_EEEEESK_NSA_INS5_IJNSE_INSF_ItEEEESM_EEEEEPS7_SP_SP_NSC_11hip_rocprim7__merge17predicate_wrapperIttNSC_4lessItEEEEEE10hipError_tPvRmT0_T1_T2_T3_T4_T5_mmT6_P12ihipStream_tbEUlT_E0_NS1_11comp_targetILNS1_3genE2ELNS1_11target_archE906ELNS1_3gpuE6ELNS1_3repE0EEENS1_30default_config_static_selectorELNS0_4arch9wavefront6targetE0EEEvS10_
	.p2align	8
	.type	_ZN7rocprim17ROCPRIM_400000_NS6detail17trampoline_kernelINS0_14default_configENS1_21merge_config_selectorINS0_5tupleIJttEEENS0_10empty_typeEEEZNS1_10merge_implIS3_NS0_12zip_iteratorINS5_IJN6thrust23THRUST_200600_302600_NS6detail15normal_iteratorINSC_10device_ptrIKtEEEESI_EEEEESK_NSA_INS5_IJNSE_INSF_ItEEEESM_EEEEEPS7_SP_SP_NSC_11hip_rocprim7__merge17predicate_wrapperIttNSC_4lessItEEEEEE10hipError_tPvRmT0_T1_T2_T3_T4_T5_mmT6_P12ihipStream_tbEUlT_E0_NS1_11comp_targetILNS1_3genE2ELNS1_11target_archE906ELNS1_3gpuE6ELNS1_3repE0EEENS1_30default_config_static_selectorELNS0_4arch9wavefront6targetE0EEEvS10_,@function
_ZN7rocprim17ROCPRIM_400000_NS6detail17trampoline_kernelINS0_14default_configENS1_21merge_config_selectorINS0_5tupleIJttEEENS0_10empty_typeEEEZNS1_10merge_implIS3_NS0_12zip_iteratorINS5_IJN6thrust23THRUST_200600_302600_NS6detail15normal_iteratorINSC_10device_ptrIKtEEEESI_EEEEESK_NSA_INS5_IJNSE_INSF_ItEEEESM_EEEEEPS7_SP_SP_NSC_11hip_rocprim7__merge17predicate_wrapperIttNSC_4lessItEEEEEE10hipError_tPvRmT0_T1_T2_T3_T4_T5_mmT6_P12ihipStream_tbEUlT_E0_NS1_11comp_targetILNS1_3genE2ELNS1_11target_archE906ELNS1_3gpuE6ELNS1_3repE0EEENS1_30default_config_static_selectorELNS0_4arch9wavefront6targetE0EEEvS10_: ; @_ZN7rocprim17ROCPRIM_400000_NS6detail17trampoline_kernelINS0_14default_configENS1_21merge_config_selectorINS0_5tupleIJttEEENS0_10empty_typeEEEZNS1_10merge_implIS3_NS0_12zip_iteratorINS5_IJN6thrust23THRUST_200600_302600_NS6detail15normal_iteratorINSC_10device_ptrIKtEEEESI_EEEEESK_NSA_INS5_IJNSE_INSF_ItEEEESM_EEEEEPS7_SP_SP_NSC_11hip_rocprim7__merge17predicate_wrapperIttNSC_4lessItEEEEEE10hipError_tPvRmT0_T1_T2_T3_T4_T5_mmT6_P12ihipStream_tbEUlT_E0_NS1_11comp_targetILNS1_3genE2ELNS1_11target_archE906ELNS1_3gpuE6ELNS1_3repE0EEENS1_30default_config_static_selectorELNS0_4arch9wavefront6targetE0EEEvS10_
; %bb.0:
	.section	.rodata,"a",@progbits
	.p2align	6, 0x0
	.amdhsa_kernel _ZN7rocprim17ROCPRIM_400000_NS6detail17trampoline_kernelINS0_14default_configENS1_21merge_config_selectorINS0_5tupleIJttEEENS0_10empty_typeEEEZNS1_10merge_implIS3_NS0_12zip_iteratorINS5_IJN6thrust23THRUST_200600_302600_NS6detail15normal_iteratorINSC_10device_ptrIKtEEEESI_EEEEESK_NSA_INS5_IJNSE_INSF_ItEEEESM_EEEEEPS7_SP_SP_NSC_11hip_rocprim7__merge17predicate_wrapperIttNSC_4lessItEEEEEE10hipError_tPvRmT0_T1_T2_T3_T4_T5_mmT6_P12ihipStream_tbEUlT_E0_NS1_11comp_targetILNS1_3genE2ELNS1_11target_archE906ELNS1_3gpuE6ELNS1_3repE0EEENS1_30default_config_static_selectorELNS0_4arch9wavefront6targetE0EEEvS10_
		.amdhsa_group_segment_fixed_size 0
		.amdhsa_private_segment_fixed_size 0
		.amdhsa_kernarg_size 112
		.amdhsa_user_sgpr_count 2
		.amdhsa_user_sgpr_dispatch_ptr 0
		.amdhsa_user_sgpr_queue_ptr 0
		.amdhsa_user_sgpr_kernarg_segment_ptr 1
		.amdhsa_user_sgpr_dispatch_id 0
		.amdhsa_user_sgpr_kernarg_preload_length 0
		.amdhsa_user_sgpr_kernarg_preload_offset 0
		.amdhsa_user_sgpr_private_segment_size 0
		.amdhsa_wavefront_size32 1
		.amdhsa_uses_dynamic_stack 0
		.amdhsa_enable_private_segment 0
		.amdhsa_system_sgpr_workgroup_id_x 1
		.amdhsa_system_sgpr_workgroup_id_y 0
		.amdhsa_system_sgpr_workgroup_id_z 0
		.amdhsa_system_sgpr_workgroup_info 0
		.amdhsa_system_vgpr_workitem_id 0
		.amdhsa_next_free_vgpr 1
		.amdhsa_next_free_sgpr 1
		.amdhsa_named_barrier_count 0
		.amdhsa_reserve_vcc 0
		.amdhsa_float_round_mode_32 0
		.amdhsa_float_round_mode_16_64 0
		.amdhsa_float_denorm_mode_32 3
		.amdhsa_float_denorm_mode_16_64 3
		.amdhsa_fp16_overflow 0
		.amdhsa_memory_ordered 1
		.amdhsa_forward_progress 1
		.amdhsa_inst_pref_size 0
		.amdhsa_round_robin_scheduling 0
		.amdhsa_exception_fp_ieee_invalid_op 0
		.amdhsa_exception_fp_denorm_src 0
		.amdhsa_exception_fp_ieee_div_zero 0
		.amdhsa_exception_fp_ieee_overflow 0
		.amdhsa_exception_fp_ieee_underflow 0
		.amdhsa_exception_fp_ieee_inexact 0
		.amdhsa_exception_int_div_zero 0
	.end_amdhsa_kernel
	.section	.text._ZN7rocprim17ROCPRIM_400000_NS6detail17trampoline_kernelINS0_14default_configENS1_21merge_config_selectorINS0_5tupleIJttEEENS0_10empty_typeEEEZNS1_10merge_implIS3_NS0_12zip_iteratorINS5_IJN6thrust23THRUST_200600_302600_NS6detail15normal_iteratorINSC_10device_ptrIKtEEEESI_EEEEESK_NSA_INS5_IJNSE_INSF_ItEEEESM_EEEEEPS7_SP_SP_NSC_11hip_rocprim7__merge17predicate_wrapperIttNSC_4lessItEEEEEE10hipError_tPvRmT0_T1_T2_T3_T4_T5_mmT6_P12ihipStream_tbEUlT_E0_NS1_11comp_targetILNS1_3genE2ELNS1_11target_archE906ELNS1_3gpuE6ELNS1_3repE0EEENS1_30default_config_static_selectorELNS0_4arch9wavefront6targetE0EEEvS10_,"axG",@progbits,_ZN7rocprim17ROCPRIM_400000_NS6detail17trampoline_kernelINS0_14default_configENS1_21merge_config_selectorINS0_5tupleIJttEEENS0_10empty_typeEEEZNS1_10merge_implIS3_NS0_12zip_iteratorINS5_IJN6thrust23THRUST_200600_302600_NS6detail15normal_iteratorINSC_10device_ptrIKtEEEESI_EEEEESK_NSA_INS5_IJNSE_INSF_ItEEEESM_EEEEEPS7_SP_SP_NSC_11hip_rocprim7__merge17predicate_wrapperIttNSC_4lessItEEEEEE10hipError_tPvRmT0_T1_T2_T3_T4_T5_mmT6_P12ihipStream_tbEUlT_E0_NS1_11comp_targetILNS1_3genE2ELNS1_11target_archE906ELNS1_3gpuE6ELNS1_3repE0EEENS1_30default_config_static_selectorELNS0_4arch9wavefront6targetE0EEEvS10_,comdat
.Lfunc_end183:
	.size	_ZN7rocprim17ROCPRIM_400000_NS6detail17trampoline_kernelINS0_14default_configENS1_21merge_config_selectorINS0_5tupleIJttEEENS0_10empty_typeEEEZNS1_10merge_implIS3_NS0_12zip_iteratorINS5_IJN6thrust23THRUST_200600_302600_NS6detail15normal_iteratorINSC_10device_ptrIKtEEEESI_EEEEESK_NSA_INS5_IJNSE_INSF_ItEEEESM_EEEEEPS7_SP_SP_NSC_11hip_rocprim7__merge17predicate_wrapperIttNSC_4lessItEEEEEE10hipError_tPvRmT0_T1_T2_T3_T4_T5_mmT6_P12ihipStream_tbEUlT_E0_NS1_11comp_targetILNS1_3genE2ELNS1_11target_archE906ELNS1_3gpuE6ELNS1_3repE0EEENS1_30default_config_static_selectorELNS0_4arch9wavefront6targetE0EEEvS10_, .Lfunc_end183-_ZN7rocprim17ROCPRIM_400000_NS6detail17trampoline_kernelINS0_14default_configENS1_21merge_config_selectorINS0_5tupleIJttEEENS0_10empty_typeEEEZNS1_10merge_implIS3_NS0_12zip_iteratorINS5_IJN6thrust23THRUST_200600_302600_NS6detail15normal_iteratorINSC_10device_ptrIKtEEEESI_EEEEESK_NSA_INS5_IJNSE_INSF_ItEEEESM_EEEEEPS7_SP_SP_NSC_11hip_rocprim7__merge17predicate_wrapperIttNSC_4lessItEEEEEE10hipError_tPvRmT0_T1_T2_T3_T4_T5_mmT6_P12ihipStream_tbEUlT_E0_NS1_11comp_targetILNS1_3genE2ELNS1_11target_archE906ELNS1_3gpuE6ELNS1_3repE0EEENS1_30default_config_static_selectorELNS0_4arch9wavefront6targetE0EEEvS10_
                                        ; -- End function
	.set _ZN7rocprim17ROCPRIM_400000_NS6detail17trampoline_kernelINS0_14default_configENS1_21merge_config_selectorINS0_5tupleIJttEEENS0_10empty_typeEEEZNS1_10merge_implIS3_NS0_12zip_iteratorINS5_IJN6thrust23THRUST_200600_302600_NS6detail15normal_iteratorINSC_10device_ptrIKtEEEESI_EEEEESK_NSA_INS5_IJNSE_INSF_ItEEEESM_EEEEEPS7_SP_SP_NSC_11hip_rocprim7__merge17predicate_wrapperIttNSC_4lessItEEEEEE10hipError_tPvRmT0_T1_T2_T3_T4_T5_mmT6_P12ihipStream_tbEUlT_E0_NS1_11comp_targetILNS1_3genE2ELNS1_11target_archE906ELNS1_3gpuE6ELNS1_3repE0EEENS1_30default_config_static_selectorELNS0_4arch9wavefront6targetE0EEEvS10_.num_vgpr, 0
	.set _ZN7rocprim17ROCPRIM_400000_NS6detail17trampoline_kernelINS0_14default_configENS1_21merge_config_selectorINS0_5tupleIJttEEENS0_10empty_typeEEEZNS1_10merge_implIS3_NS0_12zip_iteratorINS5_IJN6thrust23THRUST_200600_302600_NS6detail15normal_iteratorINSC_10device_ptrIKtEEEESI_EEEEESK_NSA_INS5_IJNSE_INSF_ItEEEESM_EEEEEPS7_SP_SP_NSC_11hip_rocprim7__merge17predicate_wrapperIttNSC_4lessItEEEEEE10hipError_tPvRmT0_T1_T2_T3_T4_T5_mmT6_P12ihipStream_tbEUlT_E0_NS1_11comp_targetILNS1_3genE2ELNS1_11target_archE906ELNS1_3gpuE6ELNS1_3repE0EEENS1_30default_config_static_selectorELNS0_4arch9wavefront6targetE0EEEvS10_.num_agpr, 0
	.set _ZN7rocprim17ROCPRIM_400000_NS6detail17trampoline_kernelINS0_14default_configENS1_21merge_config_selectorINS0_5tupleIJttEEENS0_10empty_typeEEEZNS1_10merge_implIS3_NS0_12zip_iteratorINS5_IJN6thrust23THRUST_200600_302600_NS6detail15normal_iteratorINSC_10device_ptrIKtEEEESI_EEEEESK_NSA_INS5_IJNSE_INSF_ItEEEESM_EEEEEPS7_SP_SP_NSC_11hip_rocprim7__merge17predicate_wrapperIttNSC_4lessItEEEEEE10hipError_tPvRmT0_T1_T2_T3_T4_T5_mmT6_P12ihipStream_tbEUlT_E0_NS1_11comp_targetILNS1_3genE2ELNS1_11target_archE906ELNS1_3gpuE6ELNS1_3repE0EEENS1_30default_config_static_selectorELNS0_4arch9wavefront6targetE0EEEvS10_.numbered_sgpr, 0
	.set _ZN7rocprim17ROCPRIM_400000_NS6detail17trampoline_kernelINS0_14default_configENS1_21merge_config_selectorINS0_5tupleIJttEEENS0_10empty_typeEEEZNS1_10merge_implIS3_NS0_12zip_iteratorINS5_IJN6thrust23THRUST_200600_302600_NS6detail15normal_iteratorINSC_10device_ptrIKtEEEESI_EEEEESK_NSA_INS5_IJNSE_INSF_ItEEEESM_EEEEEPS7_SP_SP_NSC_11hip_rocprim7__merge17predicate_wrapperIttNSC_4lessItEEEEEE10hipError_tPvRmT0_T1_T2_T3_T4_T5_mmT6_P12ihipStream_tbEUlT_E0_NS1_11comp_targetILNS1_3genE2ELNS1_11target_archE906ELNS1_3gpuE6ELNS1_3repE0EEENS1_30default_config_static_selectorELNS0_4arch9wavefront6targetE0EEEvS10_.num_named_barrier, 0
	.set _ZN7rocprim17ROCPRIM_400000_NS6detail17trampoline_kernelINS0_14default_configENS1_21merge_config_selectorINS0_5tupleIJttEEENS0_10empty_typeEEEZNS1_10merge_implIS3_NS0_12zip_iteratorINS5_IJN6thrust23THRUST_200600_302600_NS6detail15normal_iteratorINSC_10device_ptrIKtEEEESI_EEEEESK_NSA_INS5_IJNSE_INSF_ItEEEESM_EEEEEPS7_SP_SP_NSC_11hip_rocprim7__merge17predicate_wrapperIttNSC_4lessItEEEEEE10hipError_tPvRmT0_T1_T2_T3_T4_T5_mmT6_P12ihipStream_tbEUlT_E0_NS1_11comp_targetILNS1_3genE2ELNS1_11target_archE906ELNS1_3gpuE6ELNS1_3repE0EEENS1_30default_config_static_selectorELNS0_4arch9wavefront6targetE0EEEvS10_.private_seg_size, 0
	.set _ZN7rocprim17ROCPRIM_400000_NS6detail17trampoline_kernelINS0_14default_configENS1_21merge_config_selectorINS0_5tupleIJttEEENS0_10empty_typeEEEZNS1_10merge_implIS3_NS0_12zip_iteratorINS5_IJN6thrust23THRUST_200600_302600_NS6detail15normal_iteratorINSC_10device_ptrIKtEEEESI_EEEEESK_NSA_INS5_IJNSE_INSF_ItEEEESM_EEEEEPS7_SP_SP_NSC_11hip_rocprim7__merge17predicate_wrapperIttNSC_4lessItEEEEEE10hipError_tPvRmT0_T1_T2_T3_T4_T5_mmT6_P12ihipStream_tbEUlT_E0_NS1_11comp_targetILNS1_3genE2ELNS1_11target_archE906ELNS1_3gpuE6ELNS1_3repE0EEENS1_30default_config_static_selectorELNS0_4arch9wavefront6targetE0EEEvS10_.uses_vcc, 0
	.set _ZN7rocprim17ROCPRIM_400000_NS6detail17trampoline_kernelINS0_14default_configENS1_21merge_config_selectorINS0_5tupleIJttEEENS0_10empty_typeEEEZNS1_10merge_implIS3_NS0_12zip_iteratorINS5_IJN6thrust23THRUST_200600_302600_NS6detail15normal_iteratorINSC_10device_ptrIKtEEEESI_EEEEESK_NSA_INS5_IJNSE_INSF_ItEEEESM_EEEEEPS7_SP_SP_NSC_11hip_rocprim7__merge17predicate_wrapperIttNSC_4lessItEEEEEE10hipError_tPvRmT0_T1_T2_T3_T4_T5_mmT6_P12ihipStream_tbEUlT_E0_NS1_11comp_targetILNS1_3genE2ELNS1_11target_archE906ELNS1_3gpuE6ELNS1_3repE0EEENS1_30default_config_static_selectorELNS0_4arch9wavefront6targetE0EEEvS10_.uses_flat_scratch, 0
	.set _ZN7rocprim17ROCPRIM_400000_NS6detail17trampoline_kernelINS0_14default_configENS1_21merge_config_selectorINS0_5tupleIJttEEENS0_10empty_typeEEEZNS1_10merge_implIS3_NS0_12zip_iteratorINS5_IJN6thrust23THRUST_200600_302600_NS6detail15normal_iteratorINSC_10device_ptrIKtEEEESI_EEEEESK_NSA_INS5_IJNSE_INSF_ItEEEESM_EEEEEPS7_SP_SP_NSC_11hip_rocprim7__merge17predicate_wrapperIttNSC_4lessItEEEEEE10hipError_tPvRmT0_T1_T2_T3_T4_T5_mmT6_P12ihipStream_tbEUlT_E0_NS1_11comp_targetILNS1_3genE2ELNS1_11target_archE906ELNS1_3gpuE6ELNS1_3repE0EEENS1_30default_config_static_selectorELNS0_4arch9wavefront6targetE0EEEvS10_.has_dyn_sized_stack, 0
	.set _ZN7rocprim17ROCPRIM_400000_NS6detail17trampoline_kernelINS0_14default_configENS1_21merge_config_selectorINS0_5tupleIJttEEENS0_10empty_typeEEEZNS1_10merge_implIS3_NS0_12zip_iteratorINS5_IJN6thrust23THRUST_200600_302600_NS6detail15normal_iteratorINSC_10device_ptrIKtEEEESI_EEEEESK_NSA_INS5_IJNSE_INSF_ItEEEESM_EEEEEPS7_SP_SP_NSC_11hip_rocprim7__merge17predicate_wrapperIttNSC_4lessItEEEEEE10hipError_tPvRmT0_T1_T2_T3_T4_T5_mmT6_P12ihipStream_tbEUlT_E0_NS1_11comp_targetILNS1_3genE2ELNS1_11target_archE906ELNS1_3gpuE6ELNS1_3repE0EEENS1_30default_config_static_selectorELNS0_4arch9wavefront6targetE0EEEvS10_.has_recursion, 0
	.set _ZN7rocprim17ROCPRIM_400000_NS6detail17trampoline_kernelINS0_14default_configENS1_21merge_config_selectorINS0_5tupleIJttEEENS0_10empty_typeEEEZNS1_10merge_implIS3_NS0_12zip_iteratorINS5_IJN6thrust23THRUST_200600_302600_NS6detail15normal_iteratorINSC_10device_ptrIKtEEEESI_EEEEESK_NSA_INS5_IJNSE_INSF_ItEEEESM_EEEEEPS7_SP_SP_NSC_11hip_rocprim7__merge17predicate_wrapperIttNSC_4lessItEEEEEE10hipError_tPvRmT0_T1_T2_T3_T4_T5_mmT6_P12ihipStream_tbEUlT_E0_NS1_11comp_targetILNS1_3genE2ELNS1_11target_archE906ELNS1_3gpuE6ELNS1_3repE0EEENS1_30default_config_static_selectorELNS0_4arch9wavefront6targetE0EEEvS10_.has_indirect_call, 0
	.section	.AMDGPU.csdata,"",@progbits
; Kernel info:
; codeLenInByte = 0
; TotalNumSgprs: 0
; NumVgprs: 0
; ScratchSize: 0
; MemoryBound: 0
; FloatMode: 240
; IeeeMode: 1
; LDSByteSize: 0 bytes/workgroup (compile time only)
; SGPRBlocks: 0
; VGPRBlocks: 0
; NumSGPRsForWavesPerEU: 1
; NumVGPRsForWavesPerEU: 1
; NamedBarCnt: 0
; Occupancy: 16
; WaveLimiterHint : 0
; COMPUTE_PGM_RSRC2:SCRATCH_EN: 0
; COMPUTE_PGM_RSRC2:USER_SGPR: 2
; COMPUTE_PGM_RSRC2:TRAP_HANDLER: 0
; COMPUTE_PGM_RSRC2:TGID_X_EN: 1
; COMPUTE_PGM_RSRC2:TGID_Y_EN: 0
; COMPUTE_PGM_RSRC2:TGID_Z_EN: 0
; COMPUTE_PGM_RSRC2:TIDIG_COMP_CNT: 0
	.section	.text._ZN7rocprim17ROCPRIM_400000_NS6detail17trampoline_kernelINS0_14default_configENS1_21merge_config_selectorINS0_5tupleIJttEEENS0_10empty_typeEEEZNS1_10merge_implIS3_NS0_12zip_iteratorINS5_IJN6thrust23THRUST_200600_302600_NS6detail15normal_iteratorINSC_10device_ptrIKtEEEESI_EEEEESK_NSA_INS5_IJNSE_INSF_ItEEEESM_EEEEEPS7_SP_SP_NSC_11hip_rocprim7__merge17predicate_wrapperIttNSC_4lessItEEEEEE10hipError_tPvRmT0_T1_T2_T3_T4_T5_mmT6_P12ihipStream_tbEUlT_E0_NS1_11comp_targetILNS1_3genE10ELNS1_11target_archE1201ELNS1_3gpuE5ELNS1_3repE0EEENS1_30default_config_static_selectorELNS0_4arch9wavefront6targetE0EEEvS10_,"axG",@progbits,_ZN7rocprim17ROCPRIM_400000_NS6detail17trampoline_kernelINS0_14default_configENS1_21merge_config_selectorINS0_5tupleIJttEEENS0_10empty_typeEEEZNS1_10merge_implIS3_NS0_12zip_iteratorINS5_IJN6thrust23THRUST_200600_302600_NS6detail15normal_iteratorINSC_10device_ptrIKtEEEESI_EEEEESK_NSA_INS5_IJNSE_INSF_ItEEEESM_EEEEEPS7_SP_SP_NSC_11hip_rocprim7__merge17predicate_wrapperIttNSC_4lessItEEEEEE10hipError_tPvRmT0_T1_T2_T3_T4_T5_mmT6_P12ihipStream_tbEUlT_E0_NS1_11comp_targetILNS1_3genE10ELNS1_11target_archE1201ELNS1_3gpuE5ELNS1_3repE0EEENS1_30default_config_static_selectorELNS0_4arch9wavefront6targetE0EEEvS10_,comdat
	.protected	_ZN7rocprim17ROCPRIM_400000_NS6detail17trampoline_kernelINS0_14default_configENS1_21merge_config_selectorINS0_5tupleIJttEEENS0_10empty_typeEEEZNS1_10merge_implIS3_NS0_12zip_iteratorINS5_IJN6thrust23THRUST_200600_302600_NS6detail15normal_iteratorINSC_10device_ptrIKtEEEESI_EEEEESK_NSA_INS5_IJNSE_INSF_ItEEEESM_EEEEEPS7_SP_SP_NSC_11hip_rocprim7__merge17predicate_wrapperIttNSC_4lessItEEEEEE10hipError_tPvRmT0_T1_T2_T3_T4_T5_mmT6_P12ihipStream_tbEUlT_E0_NS1_11comp_targetILNS1_3genE10ELNS1_11target_archE1201ELNS1_3gpuE5ELNS1_3repE0EEENS1_30default_config_static_selectorELNS0_4arch9wavefront6targetE0EEEvS10_ ; -- Begin function _ZN7rocprim17ROCPRIM_400000_NS6detail17trampoline_kernelINS0_14default_configENS1_21merge_config_selectorINS0_5tupleIJttEEENS0_10empty_typeEEEZNS1_10merge_implIS3_NS0_12zip_iteratorINS5_IJN6thrust23THRUST_200600_302600_NS6detail15normal_iteratorINSC_10device_ptrIKtEEEESI_EEEEESK_NSA_INS5_IJNSE_INSF_ItEEEESM_EEEEEPS7_SP_SP_NSC_11hip_rocprim7__merge17predicate_wrapperIttNSC_4lessItEEEEEE10hipError_tPvRmT0_T1_T2_T3_T4_T5_mmT6_P12ihipStream_tbEUlT_E0_NS1_11comp_targetILNS1_3genE10ELNS1_11target_archE1201ELNS1_3gpuE5ELNS1_3repE0EEENS1_30default_config_static_selectorELNS0_4arch9wavefront6targetE0EEEvS10_
	.globl	_ZN7rocprim17ROCPRIM_400000_NS6detail17trampoline_kernelINS0_14default_configENS1_21merge_config_selectorINS0_5tupleIJttEEENS0_10empty_typeEEEZNS1_10merge_implIS3_NS0_12zip_iteratorINS5_IJN6thrust23THRUST_200600_302600_NS6detail15normal_iteratorINSC_10device_ptrIKtEEEESI_EEEEESK_NSA_INS5_IJNSE_INSF_ItEEEESM_EEEEEPS7_SP_SP_NSC_11hip_rocprim7__merge17predicate_wrapperIttNSC_4lessItEEEEEE10hipError_tPvRmT0_T1_T2_T3_T4_T5_mmT6_P12ihipStream_tbEUlT_E0_NS1_11comp_targetILNS1_3genE10ELNS1_11target_archE1201ELNS1_3gpuE5ELNS1_3repE0EEENS1_30default_config_static_selectorELNS0_4arch9wavefront6targetE0EEEvS10_
	.p2align	8
	.type	_ZN7rocprim17ROCPRIM_400000_NS6detail17trampoline_kernelINS0_14default_configENS1_21merge_config_selectorINS0_5tupleIJttEEENS0_10empty_typeEEEZNS1_10merge_implIS3_NS0_12zip_iteratorINS5_IJN6thrust23THRUST_200600_302600_NS6detail15normal_iteratorINSC_10device_ptrIKtEEEESI_EEEEESK_NSA_INS5_IJNSE_INSF_ItEEEESM_EEEEEPS7_SP_SP_NSC_11hip_rocprim7__merge17predicate_wrapperIttNSC_4lessItEEEEEE10hipError_tPvRmT0_T1_T2_T3_T4_T5_mmT6_P12ihipStream_tbEUlT_E0_NS1_11comp_targetILNS1_3genE10ELNS1_11target_archE1201ELNS1_3gpuE5ELNS1_3repE0EEENS1_30default_config_static_selectorELNS0_4arch9wavefront6targetE0EEEvS10_,@function
_ZN7rocprim17ROCPRIM_400000_NS6detail17trampoline_kernelINS0_14default_configENS1_21merge_config_selectorINS0_5tupleIJttEEENS0_10empty_typeEEEZNS1_10merge_implIS3_NS0_12zip_iteratorINS5_IJN6thrust23THRUST_200600_302600_NS6detail15normal_iteratorINSC_10device_ptrIKtEEEESI_EEEEESK_NSA_INS5_IJNSE_INSF_ItEEEESM_EEEEEPS7_SP_SP_NSC_11hip_rocprim7__merge17predicate_wrapperIttNSC_4lessItEEEEEE10hipError_tPvRmT0_T1_T2_T3_T4_T5_mmT6_P12ihipStream_tbEUlT_E0_NS1_11comp_targetILNS1_3genE10ELNS1_11target_archE1201ELNS1_3gpuE5ELNS1_3repE0EEENS1_30default_config_static_selectorELNS0_4arch9wavefront6targetE0EEEvS10_: ; @_ZN7rocprim17ROCPRIM_400000_NS6detail17trampoline_kernelINS0_14default_configENS1_21merge_config_selectorINS0_5tupleIJttEEENS0_10empty_typeEEEZNS1_10merge_implIS3_NS0_12zip_iteratorINS5_IJN6thrust23THRUST_200600_302600_NS6detail15normal_iteratorINSC_10device_ptrIKtEEEESI_EEEEESK_NSA_INS5_IJNSE_INSF_ItEEEESM_EEEEEPS7_SP_SP_NSC_11hip_rocprim7__merge17predicate_wrapperIttNSC_4lessItEEEEEE10hipError_tPvRmT0_T1_T2_T3_T4_T5_mmT6_P12ihipStream_tbEUlT_E0_NS1_11comp_targetILNS1_3genE10ELNS1_11target_archE1201ELNS1_3gpuE5ELNS1_3repE0EEENS1_30default_config_static_selectorELNS0_4arch9wavefront6targetE0EEEvS10_
; %bb.0:
	.section	.rodata,"a",@progbits
	.p2align	6, 0x0
	.amdhsa_kernel _ZN7rocprim17ROCPRIM_400000_NS6detail17trampoline_kernelINS0_14default_configENS1_21merge_config_selectorINS0_5tupleIJttEEENS0_10empty_typeEEEZNS1_10merge_implIS3_NS0_12zip_iteratorINS5_IJN6thrust23THRUST_200600_302600_NS6detail15normal_iteratorINSC_10device_ptrIKtEEEESI_EEEEESK_NSA_INS5_IJNSE_INSF_ItEEEESM_EEEEEPS7_SP_SP_NSC_11hip_rocprim7__merge17predicate_wrapperIttNSC_4lessItEEEEEE10hipError_tPvRmT0_T1_T2_T3_T4_T5_mmT6_P12ihipStream_tbEUlT_E0_NS1_11comp_targetILNS1_3genE10ELNS1_11target_archE1201ELNS1_3gpuE5ELNS1_3repE0EEENS1_30default_config_static_selectorELNS0_4arch9wavefront6targetE0EEEvS10_
		.amdhsa_group_segment_fixed_size 0
		.amdhsa_private_segment_fixed_size 0
		.amdhsa_kernarg_size 112
		.amdhsa_user_sgpr_count 2
		.amdhsa_user_sgpr_dispatch_ptr 0
		.amdhsa_user_sgpr_queue_ptr 0
		.amdhsa_user_sgpr_kernarg_segment_ptr 1
		.amdhsa_user_sgpr_dispatch_id 0
		.amdhsa_user_sgpr_kernarg_preload_length 0
		.amdhsa_user_sgpr_kernarg_preload_offset 0
		.amdhsa_user_sgpr_private_segment_size 0
		.amdhsa_wavefront_size32 1
		.amdhsa_uses_dynamic_stack 0
		.amdhsa_enable_private_segment 0
		.amdhsa_system_sgpr_workgroup_id_x 1
		.amdhsa_system_sgpr_workgroup_id_y 0
		.amdhsa_system_sgpr_workgroup_id_z 0
		.amdhsa_system_sgpr_workgroup_info 0
		.amdhsa_system_vgpr_workitem_id 0
		.amdhsa_next_free_vgpr 1
		.amdhsa_next_free_sgpr 1
		.amdhsa_named_barrier_count 0
		.amdhsa_reserve_vcc 0
		.amdhsa_float_round_mode_32 0
		.amdhsa_float_round_mode_16_64 0
		.amdhsa_float_denorm_mode_32 3
		.amdhsa_float_denorm_mode_16_64 3
		.amdhsa_fp16_overflow 0
		.amdhsa_memory_ordered 1
		.amdhsa_forward_progress 1
		.amdhsa_inst_pref_size 0
		.amdhsa_round_robin_scheduling 0
		.amdhsa_exception_fp_ieee_invalid_op 0
		.amdhsa_exception_fp_denorm_src 0
		.amdhsa_exception_fp_ieee_div_zero 0
		.amdhsa_exception_fp_ieee_overflow 0
		.amdhsa_exception_fp_ieee_underflow 0
		.amdhsa_exception_fp_ieee_inexact 0
		.amdhsa_exception_int_div_zero 0
	.end_amdhsa_kernel
	.section	.text._ZN7rocprim17ROCPRIM_400000_NS6detail17trampoline_kernelINS0_14default_configENS1_21merge_config_selectorINS0_5tupleIJttEEENS0_10empty_typeEEEZNS1_10merge_implIS3_NS0_12zip_iteratorINS5_IJN6thrust23THRUST_200600_302600_NS6detail15normal_iteratorINSC_10device_ptrIKtEEEESI_EEEEESK_NSA_INS5_IJNSE_INSF_ItEEEESM_EEEEEPS7_SP_SP_NSC_11hip_rocprim7__merge17predicate_wrapperIttNSC_4lessItEEEEEE10hipError_tPvRmT0_T1_T2_T3_T4_T5_mmT6_P12ihipStream_tbEUlT_E0_NS1_11comp_targetILNS1_3genE10ELNS1_11target_archE1201ELNS1_3gpuE5ELNS1_3repE0EEENS1_30default_config_static_selectorELNS0_4arch9wavefront6targetE0EEEvS10_,"axG",@progbits,_ZN7rocprim17ROCPRIM_400000_NS6detail17trampoline_kernelINS0_14default_configENS1_21merge_config_selectorINS0_5tupleIJttEEENS0_10empty_typeEEEZNS1_10merge_implIS3_NS0_12zip_iteratorINS5_IJN6thrust23THRUST_200600_302600_NS6detail15normal_iteratorINSC_10device_ptrIKtEEEESI_EEEEESK_NSA_INS5_IJNSE_INSF_ItEEEESM_EEEEEPS7_SP_SP_NSC_11hip_rocprim7__merge17predicate_wrapperIttNSC_4lessItEEEEEE10hipError_tPvRmT0_T1_T2_T3_T4_T5_mmT6_P12ihipStream_tbEUlT_E0_NS1_11comp_targetILNS1_3genE10ELNS1_11target_archE1201ELNS1_3gpuE5ELNS1_3repE0EEENS1_30default_config_static_selectorELNS0_4arch9wavefront6targetE0EEEvS10_,comdat
.Lfunc_end184:
	.size	_ZN7rocprim17ROCPRIM_400000_NS6detail17trampoline_kernelINS0_14default_configENS1_21merge_config_selectorINS0_5tupleIJttEEENS0_10empty_typeEEEZNS1_10merge_implIS3_NS0_12zip_iteratorINS5_IJN6thrust23THRUST_200600_302600_NS6detail15normal_iteratorINSC_10device_ptrIKtEEEESI_EEEEESK_NSA_INS5_IJNSE_INSF_ItEEEESM_EEEEEPS7_SP_SP_NSC_11hip_rocprim7__merge17predicate_wrapperIttNSC_4lessItEEEEEE10hipError_tPvRmT0_T1_T2_T3_T4_T5_mmT6_P12ihipStream_tbEUlT_E0_NS1_11comp_targetILNS1_3genE10ELNS1_11target_archE1201ELNS1_3gpuE5ELNS1_3repE0EEENS1_30default_config_static_selectorELNS0_4arch9wavefront6targetE0EEEvS10_, .Lfunc_end184-_ZN7rocprim17ROCPRIM_400000_NS6detail17trampoline_kernelINS0_14default_configENS1_21merge_config_selectorINS0_5tupleIJttEEENS0_10empty_typeEEEZNS1_10merge_implIS3_NS0_12zip_iteratorINS5_IJN6thrust23THRUST_200600_302600_NS6detail15normal_iteratorINSC_10device_ptrIKtEEEESI_EEEEESK_NSA_INS5_IJNSE_INSF_ItEEEESM_EEEEEPS7_SP_SP_NSC_11hip_rocprim7__merge17predicate_wrapperIttNSC_4lessItEEEEEE10hipError_tPvRmT0_T1_T2_T3_T4_T5_mmT6_P12ihipStream_tbEUlT_E0_NS1_11comp_targetILNS1_3genE10ELNS1_11target_archE1201ELNS1_3gpuE5ELNS1_3repE0EEENS1_30default_config_static_selectorELNS0_4arch9wavefront6targetE0EEEvS10_
                                        ; -- End function
	.set _ZN7rocprim17ROCPRIM_400000_NS6detail17trampoline_kernelINS0_14default_configENS1_21merge_config_selectorINS0_5tupleIJttEEENS0_10empty_typeEEEZNS1_10merge_implIS3_NS0_12zip_iteratorINS5_IJN6thrust23THRUST_200600_302600_NS6detail15normal_iteratorINSC_10device_ptrIKtEEEESI_EEEEESK_NSA_INS5_IJNSE_INSF_ItEEEESM_EEEEEPS7_SP_SP_NSC_11hip_rocprim7__merge17predicate_wrapperIttNSC_4lessItEEEEEE10hipError_tPvRmT0_T1_T2_T3_T4_T5_mmT6_P12ihipStream_tbEUlT_E0_NS1_11comp_targetILNS1_3genE10ELNS1_11target_archE1201ELNS1_3gpuE5ELNS1_3repE0EEENS1_30default_config_static_selectorELNS0_4arch9wavefront6targetE0EEEvS10_.num_vgpr, 0
	.set _ZN7rocprim17ROCPRIM_400000_NS6detail17trampoline_kernelINS0_14default_configENS1_21merge_config_selectorINS0_5tupleIJttEEENS0_10empty_typeEEEZNS1_10merge_implIS3_NS0_12zip_iteratorINS5_IJN6thrust23THRUST_200600_302600_NS6detail15normal_iteratorINSC_10device_ptrIKtEEEESI_EEEEESK_NSA_INS5_IJNSE_INSF_ItEEEESM_EEEEEPS7_SP_SP_NSC_11hip_rocprim7__merge17predicate_wrapperIttNSC_4lessItEEEEEE10hipError_tPvRmT0_T1_T2_T3_T4_T5_mmT6_P12ihipStream_tbEUlT_E0_NS1_11comp_targetILNS1_3genE10ELNS1_11target_archE1201ELNS1_3gpuE5ELNS1_3repE0EEENS1_30default_config_static_selectorELNS0_4arch9wavefront6targetE0EEEvS10_.num_agpr, 0
	.set _ZN7rocprim17ROCPRIM_400000_NS6detail17trampoline_kernelINS0_14default_configENS1_21merge_config_selectorINS0_5tupleIJttEEENS0_10empty_typeEEEZNS1_10merge_implIS3_NS0_12zip_iteratorINS5_IJN6thrust23THRUST_200600_302600_NS6detail15normal_iteratorINSC_10device_ptrIKtEEEESI_EEEEESK_NSA_INS5_IJNSE_INSF_ItEEEESM_EEEEEPS7_SP_SP_NSC_11hip_rocprim7__merge17predicate_wrapperIttNSC_4lessItEEEEEE10hipError_tPvRmT0_T1_T2_T3_T4_T5_mmT6_P12ihipStream_tbEUlT_E0_NS1_11comp_targetILNS1_3genE10ELNS1_11target_archE1201ELNS1_3gpuE5ELNS1_3repE0EEENS1_30default_config_static_selectorELNS0_4arch9wavefront6targetE0EEEvS10_.numbered_sgpr, 0
	.set _ZN7rocprim17ROCPRIM_400000_NS6detail17trampoline_kernelINS0_14default_configENS1_21merge_config_selectorINS0_5tupleIJttEEENS0_10empty_typeEEEZNS1_10merge_implIS3_NS0_12zip_iteratorINS5_IJN6thrust23THRUST_200600_302600_NS6detail15normal_iteratorINSC_10device_ptrIKtEEEESI_EEEEESK_NSA_INS5_IJNSE_INSF_ItEEEESM_EEEEEPS7_SP_SP_NSC_11hip_rocprim7__merge17predicate_wrapperIttNSC_4lessItEEEEEE10hipError_tPvRmT0_T1_T2_T3_T4_T5_mmT6_P12ihipStream_tbEUlT_E0_NS1_11comp_targetILNS1_3genE10ELNS1_11target_archE1201ELNS1_3gpuE5ELNS1_3repE0EEENS1_30default_config_static_selectorELNS0_4arch9wavefront6targetE0EEEvS10_.num_named_barrier, 0
	.set _ZN7rocprim17ROCPRIM_400000_NS6detail17trampoline_kernelINS0_14default_configENS1_21merge_config_selectorINS0_5tupleIJttEEENS0_10empty_typeEEEZNS1_10merge_implIS3_NS0_12zip_iteratorINS5_IJN6thrust23THRUST_200600_302600_NS6detail15normal_iteratorINSC_10device_ptrIKtEEEESI_EEEEESK_NSA_INS5_IJNSE_INSF_ItEEEESM_EEEEEPS7_SP_SP_NSC_11hip_rocprim7__merge17predicate_wrapperIttNSC_4lessItEEEEEE10hipError_tPvRmT0_T1_T2_T3_T4_T5_mmT6_P12ihipStream_tbEUlT_E0_NS1_11comp_targetILNS1_3genE10ELNS1_11target_archE1201ELNS1_3gpuE5ELNS1_3repE0EEENS1_30default_config_static_selectorELNS0_4arch9wavefront6targetE0EEEvS10_.private_seg_size, 0
	.set _ZN7rocprim17ROCPRIM_400000_NS6detail17trampoline_kernelINS0_14default_configENS1_21merge_config_selectorINS0_5tupleIJttEEENS0_10empty_typeEEEZNS1_10merge_implIS3_NS0_12zip_iteratorINS5_IJN6thrust23THRUST_200600_302600_NS6detail15normal_iteratorINSC_10device_ptrIKtEEEESI_EEEEESK_NSA_INS5_IJNSE_INSF_ItEEEESM_EEEEEPS7_SP_SP_NSC_11hip_rocprim7__merge17predicate_wrapperIttNSC_4lessItEEEEEE10hipError_tPvRmT0_T1_T2_T3_T4_T5_mmT6_P12ihipStream_tbEUlT_E0_NS1_11comp_targetILNS1_3genE10ELNS1_11target_archE1201ELNS1_3gpuE5ELNS1_3repE0EEENS1_30default_config_static_selectorELNS0_4arch9wavefront6targetE0EEEvS10_.uses_vcc, 0
	.set _ZN7rocprim17ROCPRIM_400000_NS6detail17trampoline_kernelINS0_14default_configENS1_21merge_config_selectorINS0_5tupleIJttEEENS0_10empty_typeEEEZNS1_10merge_implIS3_NS0_12zip_iteratorINS5_IJN6thrust23THRUST_200600_302600_NS6detail15normal_iteratorINSC_10device_ptrIKtEEEESI_EEEEESK_NSA_INS5_IJNSE_INSF_ItEEEESM_EEEEEPS7_SP_SP_NSC_11hip_rocprim7__merge17predicate_wrapperIttNSC_4lessItEEEEEE10hipError_tPvRmT0_T1_T2_T3_T4_T5_mmT6_P12ihipStream_tbEUlT_E0_NS1_11comp_targetILNS1_3genE10ELNS1_11target_archE1201ELNS1_3gpuE5ELNS1_3repE0EEENS1_30default_config_static_selectorELNS0_4arch9wavefront6targetE0EEEvS10_.uses_flat_scratch, 0
	.set _ZN7rocprim17ROCPRIM_400000_NS6detail17trampoline_kernelINS0_14default_configENS1_21merge_config_selectorINS0_5tupleIJttEEENS0_10empty_typeEEEZNS1_10merge_implIS3_NS0_12zip_iteratorINS5_IJN6thrust23THRUST_200600_302600_NS6detail15normal_iteratorINSC_10device_ptrIKtEEEESI_EEEEESK_NSA_INS5_IJNSE_INSF_ItEEEESM_EEEEEPS7_SP_SP_NSC_11hip_rocprim7__merge17predicate_wrapperIttNSC_4lessItEEEEEE10hipError_tPvRmT0_T1_T2_T3_T4_T5_mmT6_P12ihipStream_tbEUlT_E0_NS1_11comp_targetILNS1_3genE10ELNS1_11target_archE1201ELNS1_3gpuE5ELNS1_3repE0EEENS1_30default_config_static_selectorELNS0_4arch9wavefront6targetE0EEEvS10_.has_dyn_sized_stack, 0
	.set _ZN7rocprim17ROCPRIM_400000_NS6detail17trampoline_kernelINS0_14default_configENS1_21merge_config_selectorINS0_5tupleIJttEEENS0_10empty_typeEEEZNS1_10merge_implIS3_NS0_12zip_iteratorINS5_IJN6thrust23THRUST_200600_302600_NS6detail15normal_iteratorINSC_10device_ptrIKtEEEESI_EEEEESK_NSA_INS5_IJNSE_INSF_ItEEEESM_EEEEEPS7_SP_SP_NSC_11hip_rocprim7__merge17predicate_wrapperIttNSC_4lessItEEEEEE10hipError_tPvRmT0_T1_T2_T3_T4_T5_mmT6_P12ihipStream_tbEUlT_E0_NS1_11comp_targetILNS1_3genE10ELNS1_11target_archE1201ELNS1_3gpuE5ELNS1_3repE0EEENS1_30default_config_static_selectorELNS0_4arch9wavefront6targetE0EEEvS10_.has_recursion, 0
	.set _ZN7rocprim17ROCPRIM_400000_NS6detail17trampoline_kernelINS0_14default_configENS1_21merge_config_selectorINS0_5tupleIJttEEENS0_10empty_typeEEEZNS1_10merge_implIS3_NS0_12zip_iteratorINS5_IJN6thrust23THRUST_200600_302600_NS6detail15normal_iteratorINSC_10device_ptrIKtEEEESI_EEEEESK_NSA_INS5_IJNSE_INSF_ItEEEESM_EEEEEPS7_SP_SP_NSC_11hip_rocprim7__merge17predicate_wrapperIttNSC_4lessItEEEEEE10hipError_tPvRmT0_T1_T2_T3_T4_T5_mmT6_P12ihipStream_tbEUlT_E0_NS1_11comp_targetILNS1_3genE10ELNS1_11target_archE1201ELNS1_3gpuE5ELNS1_3repE0EEENS1_30default_config_static_selectorELNS0_4arch9wavefront6targetE0EEEvS10_.has_indirect_call, 0
	.section	.AMDGPU.csdata,"",@progbits
; Kernel info:
; codeLenInByte = 0
; TotalNumSgprs: 0
; NumVgprs: 0
; ScratchSize: 0
; MemoryBound: 0
; FloatMode: 240
; IeeeMode: 1
; LDSByteSize: 0 bytes/workgroup (compile time only)
; SGPRBlocks: 0
; VGPRBlocks: 0
; NumSGPRsForWavesPerEU: 1
; NumVGPRsForWavesPerEU: 1
; NamedBarCnt: 0
; Occupancy: 16
; WaveLimiterHint : 0
; COMPUTE_PGM_RSRC2:SCRATCH_EN: 0
; COMPUTE_PGM_RSRC2:USER_SGPR: 2
; COMPUTE_PGM_RSRC2:TRAP_HANDLER: 0
; COMPUTE_PGM_RSRC2:TGID_X_EN: 1
; COMPUTE_PGM_RSRC2:TGID_Y_EN: 0
; COMPUTE_PGM_RSRC2:TGID_Z_EN: 0
; COMPUTE_PGM_RSRC2:TIDIG_COMP_CNT: 0
	.section	.text._ZN7rocprim17ROCPRIM_400000_NS6detail17trampoline_kernelINS0_14default_configENS1_21merge_config_selectorINS0_5tupleIJttEEENS0_10empty_typeEEEZNS1_10merge_implIS3_NS0_12zip_iteratorINS5_IJN6thrust23THRUST_200600_302600_NS6detail15normal_iteratorINSC_10device_ptrIKtEEEESI_EEEEESK_NSA_INS5_IJNSE_INSF_ItEEEESM_EEEEEPS7_SP_SP_NSC_11hip_rocprim7__merge17predicate_wrapperIttNSC_4lessItEEEEEE10hipError_tPvRmT0_T1_T2_T3_T4_T5_mmT6_P12ihipStream_tbEUlT_E0_NS1_11comp_targetILNS1_3genE10ELNS1_11target_archE1200ELNS1_3gpuE4ELNS1_3repE0EEENS1_30default_config_static_selectorELNS0_4arch9wavefront6targetE0EEEvS10_,"axG",@progbits,_ZN7rocprim17ROCPRIM_400000_NS6detail17trampoline_kernelINS0_14default_configENS1_21merge_config_selectorINS0_5tupleIJttEEENS0_10empty_typeEEEZNS1_10merge_implIS3_NS0_12zip_iteratorINS5_IJN6thrust23THRUST_200600_302600_NS6detail15normal_iteratorINSC_10device_ptrIKtEEEESI_EEEEESK_NSA_INS5_IJNSE_INSF_ItEEEESM_EEEEEPS7_SP_SP_NSC_11hip_rocprim7__merge17predicate_wrapperIttNSC_4lessItEEEEEE10hipError_tPvRmT0_T1_T2_T3_T4_T5_mmT6_P12ihipStream_tbEUlT_E0_NS1_11comp_targetILNS1_3genE10ELNS1_11target_archE1200ELNS1_3gpuE4ELNS1_3repE0EEENS1_30default_config_static_selectorELNS0_4arch9wavefront6targetE0EEEvS10_,comdat
	.protected	_ZN7rocprim17ROCPRIM_400000_NS6detail17trampoline_kernelINS0_14default_configENS1_21merge_config_selectorINS0_5tupleIJttEEENS0_10empty_typeEEEZNS1_10merge_implIS3_NS0_12zip_iteratorINS5_IJN6thrust23THRUST_200600_302600_NS6detail15normal_iteratorINSC_10device_ptrIKtEEEESI_EEEEESK_NSA_INS5_IJNSE_INSF_ItEEEESM_EEEEEPS7_SP_SP_NSC_11hip_rocprim7__merge17predicate_wrapperIttNSC_4lessItEEEEEE10hipError_tPvRmT0_T1_T2_T3_T4_T5_mmT6_P12ihipStream_tbEUlT_E0_NS1_11comp_targetILNS1_3genE10ELNS1_11target_archE1200ELNS1_3gpuE4ELNS1_3repE0EEENS1_30default_config_static_selectorELNS0_4arch9wavefront6targetE0EEEvS10_ ; -- Begin function _ZN7rocprim17ROCPRIM_400000_NS6detail17trampoline_kernelINS0_14default_configENS1_21merge_config_selectorINS0_5tupleIJttEEENS0_10empty_typeEEEZNS1_10merge_implIS3_NS0_12zip_iteratorINS5_IJN6thrust23THRUST_200600_302600_NS6detail15normal_iteratorINSC_10device_ptrIKtEEEESI_EEEEESK_NSA_INS5_IJNSE_INSF_ItEEEESM_EEEEEPS7_SP_SP_NSC_11hip_rocprim7__merge17predicate_wrapperIttNSC_4lessItEEEEEE10hipError_tPvRmT0_T1_T2_T3_T4_T5_mmT6_P12ihipStream_tbEUlT_E0_NS1_11comp_targetILNS1_3genE10ELNS1_11target_archE1200ELNS1_3gpuE4ELNS1_3repE0EEENS1_30default_config_static_selectorELNS0_4arch9wavefront6targetE0EEEvS10_
	.globl	_ZN7rocprim17ROCPRIM_400000_NS6detail17trampoline_kernelINS0_14default_configENS1_21merge_config_selectorINS0_5tupleIJttEEENS0_10empty_typeEEEZNS1_10merge_implIS3_NS0_12zip_iteratorINS5_IJN6thrust23THRUST_200600_302600_NS6detail15normal_iteratorINSC_10device_ptrIKtEEEESI_EEEEESK_NSA_INS5_IJNSE_INSF_ItEEEESM_EEEEEPS7_SP_SP_NSC_11hip_rocprim7__merge17predicate_wrapperIttNSC_4lessItEEEEEE10hipError_tPvRmT0_T1_T2_T3_T4_T5_mmT6_P12ihipStream_tbEUlT_E0_NS1_11comp_targetILNS1_3genE10ELNS1_11target_archE1200ELNS1_3gpuE4ELNS1_3repE0EEENS1_30default_config_static_selectorELNS0_4arch9wavefront6targetE0EEEvS10_
	.p2align	8
	.type	_ZN7rocprim17ROCPRIM_400000_NS6detail17trampoline_kernelINS0_14default_configENS1_21merge_config_selectorINS0_5tupleIJttEEENS0_10empty_typeEEEZNS1_10merge_implIS3_NS0_12zip_iteratorINS5_IJN6thrust23THRUST_200600_302600_NS6detail15normal_iteratorINSC_10device_ptrIKtEEEESI_EEEEESK_NSA_INS5_IJNSE_INSF_ItEEEESM_EEEEEPS7_SP_SP_NSC_11hip_rocprim7__merge17predicate_wrapperIttNSC_4lessItEEEEEE10hipError_tPvRmT0_T1_T2_T3_T4_T5_mmT6_P12ihipStream_tbEUlT_E0_NS1_11comp_targetILNS1_3genE10ELNS1_11target_archE1200ELNS1_3gpuE4ELNS1_3repE0EEENS1_30default_config_static_selectorELNS0_4arch9wavefront6targetE0EEEvS10_,@function
_ZN7rocprim17ROCPRIM_400000_NS6detail17trampoline_kernelINS0_14default_configENS1_21merge_config_selectorINS0_5tupleIJttEEENS0_10empty_typeEEEZNS1_10merge_implIS3_NS0_12zip_iteratorINS5_IJN6thrust23THRUST_200600_302600_NS6detail15normal_iteratorINSC_10device_ptrIKtEEEESI_EEEEESK_NSA_INS5_IJNSE_INSF_ItEEEESM_EEEEEPS7_SP_SP_NSC_11hip_rocprim7__merge17predicate_wrapperIttNSC_4lessItEEEEEE10hipError_tPvRmT0_T1_T2_T3_T4_T5_mmT6_P12ihipStream_tbEUlT_E0_NS1_11comp_targetILNS1_3genE10ELNS1_11target_archE1200ELNS1_3gpuE4ELNS1_3repE0EEENS1_30default_config_static_selectorELNS0_4arch9wavefront6targetE0EEEvS10_: ; @_ZN7rocprim17ROCPRIM_400000_NS6detail17trampoline_kernelINS0_14default_configENS1_21merge_config_selectorINS0_5tupleIJttEEENS0_10empty_typeEEEZNS1_10merge_implIS3_NS0_12zip_iteratorINS5_IJN6thrust23THRUST_200600_302600_NS6detail15normal_iteratorINSC_10device_ptrIKtEEEESI_EEEEESK_NSA_INS5_IJNSE_INSF_ItEEEESM_EEEEEPS7_SP_SP_NSC_11hip_rocprim7__merge17predicate_wrapperIttNSC_4lessItEEEEEE10hipError_tPvRmT0_T1_T2_T3_T4_T5_mmT6_P12ihipStream_tbEUlT_E0_NS1_11comp_targetILNS1_3genE10ELNS1_11target_archE1200ELNS1_3gpuE4ELNS1_3repE0EEENS1_30default_config_static_selectorELNS0_4arch9wavefront6targetE0EEEvS10_
; %bb.0:
	.section	.rodata,"a",@progbits
	.p2align	6, 0x0
	.amdhsa_kernel _ZN7rocprim17ROCPRIM_400000_NS6detail17trampoline_kernelINS0_14default_configENS1_21merge_config_selectorINS0_5tupleIJttEEENS0_10empty_typeEEEZNS1_10merge_implIS3_NS0_12zip_iteratorINS5_IJN6thrust23THRUST_200600_302600_NS6detail15normal_iteratorINSC_10device_ptrIKtEEEESI_EEEEESK_NSA_INS5_IJNSE_INSF_ItEEEESM_EEEEEPS7_SP_SP_NSC_11hip_rocprim7__merge17predicate_wrapperIttNSC_4lessItEEEEEE10hipError_tPvRmT0_T1_T2_T3_T4_T5_mmT6_P12ihipStream_tbEUlT_E0_NS1_11comp_targetILNS1_3genE10ELNS1_11target_archE1200ELNS1_3gpuE4ELNS1_3repE0EEENS1_30default_config_static_selectorELNS0_4arch9wavefront6targetE0EEEvS10_
		.amdhsa_group_segment_fixed_size 0
		.amdhsa_private_segment_fixed_size 0
		.amdhsa_kernarg_size 112
		.amdhsa_user_sgpr_count 2
		.amdhsa_user_sgpr_dispatch_ptr 0
		.amdhsa_user_sgpr_queue_ptr 0
		.amdhsa_user_sgpr_kernarg_segment_ptr 1
		.amdhsa_user_sgpr_dispatch_id 0
		.amdhsa_user_sgpr_kernarg_preload_length 0
		.amdhsa_user_sgpr_kernarg_preload_offset 0
		.amdhsa_user_sgpr_private_segment_size 0
		.amdhsa_wavefront_size32 1
		.amdhsa_uses_dynamic_stack 0
		.amdhsa_enable_private_segment 0
		.amdhsa_system_sgpr_workgroup_id_x 1
		.amdhsa_system_sgpr_workgroup_id_y 0
		.amdhsa_system_sgpr_workgroup_id_z 0
		.amdhsa_system_sgpr_workgroup_info 0
		.amdhsa_system_vgpr_workitem_id 0
		.amdhsa_next_free_vgpr 1
		.amdhsa_next_free_sgpr 1
		.amdhsa_named_barrier_count 0
		.amdhsa_reserve_vcc 0
		.amdhsa_float_round_mode_32 0
		.amdhsa_float_round_mode_16_64 0
		.amdhsa_float_denorm_mode_32 3
		.amdhsa_float_denorm_mode_16_64 3
		.amdhsa_fp16_overflow 0
		.amdhsa_memory_ordered 1
		.amdhsa_forward_progress 1
		.amdhsa_inst_pref_size 0
		.amdhsa_round_robin_scheduling 0
		.amdhsa_exception_fp_ieee_invalid_op 0
		.amdhsa_exception_fp_denorm_src 0
		.amdhsa_exception_fp_ieee_div_zero 0
		.amdhsa_exception_fp_ieee_overflow 0
		.amdhsa_exception_fp_ieee_underflow 0
		.amdhsa_exception_fp_ieee_inexact 0
		.amdhsa_exception_int_div_zero 0
	.end_amdhsa_kernel
	.section	.text._ZN7rocprim17ROCPRIM_400000_NS6detail17trampoline_kernelINS0_14default_configENS1_21merge_config_selectorINS0_5tupleIJttEEENS0_10empty_typeEEEZNS1_10merge_implIS3_NS0_12zip_iteratorINS5_IJN6thrust23THRUST_200600_302600_NS6detail15normal_iteratorINSC_10device_ptrIKtEEEESI_EEEEESK_NSA_INS5_IJNSE_INSF_ItEEEESM_EEEEEPS7_SP_SP_NSC_11hip_rocprim7__merge17predicate_wrapperIttNSC_4lessItEEEEEE10hipError_tPvRmT0_T1_T2_T3_T4_T5_mmT6_P12ihipStream_tbEUlT_E0_NS1_11comp_targetILNS1_3genE10ELNS1_11target_archE1200ELNS1_3gpuE4ELNS1_3repE0EEENS1_30default_config_static_selectorELNS0_4arch9wavefront6targetE0EEEvS10_,"axG",@progbits,_ZN7rocprim17ROCPRIM_400000_NS6detail17trampoline_kernelINS0_14default_configENS1_21merge_config_selectorINS0_5tupleIJttEEENS0_10empty_typeEEEZNS1_10merge_implIS3_NS0_12zip_iteratorINS5_IJN6thrust23THRUST_200600_302600_NS6detail15normal_iteratorINSC_10device_ptrIKtEEEESI_EEEEESK_NSA_INS5_IJNSE_INSF_ItEEEESM_EEEEEPS7_SP_SP_NSC_11hip_rocprim7__merge17predicate_wrapperIttNSC_4lessItEEEEEE10hipError_tPvRmT0_T1_T2_T3_T4_T5_mmT6_P12ihipStream_tbEUlT_E0_NS1_11comp_targetILNS1_3genE10ELNS1_11target_archE1200ELNS1_3gpuE4ELNS1_3repE0EEENS1_30default_config_static_selectorELNS0_4arch9wavefront6targetE0EEEvS10_,comdat
.Lfunc_end185:
	.size	_ZN7rocprim17ROCPRIM_400000_NS6detail17trampoline_kernelINS0_14default_configENS1_21merge_config_selectorINS0_5tupleIJttEEENS0_10empty_typeEEEZNS1_10merge_implIS3_NS0_12zip_iteratorINS5_IJN6thrust23THRUST_200600_302600_NS6detail15normal_iteratorINSC_10device_ptrIKtEEEESI_EEEEESK_NSA_INS5_IJNSE_INSF_ItEEEESM_EEEEEPS7_SP_SP_NSC_11hip_rocprim7__merge17predicate_wrapperIttNSC_4lessItEEEEEE10hipError_tPvRmT0_T1_T2_T3_T4_T5_mmT6_P12ihipStream_tbEUlT_E0_NS1_11comp_targetILNS1_3genE10ELNS1_11target_archE1200ELNS1_3gpuE4ELNS1_3repE0EEENS1_30default_config_static_selectorELNS0_4arch9wavefront6targetE0EEEvS10_, .Lfunc_end185-_ZN7rocprim17ROCPRIM_400000_NS6detail17trampoline_kernelINS0_14default_configENS1_21merge_config_selectorINS0_5tupleIJttEEENS0_10empty_typeEEEZNS1_10merge_implIS3_NS0_12zip_iteratorINS5_IJN6thrust23THRUST_200600_302600_NS6detail15normal_iteratorINSC_10device_ptrIKtEEEESI_EEEEESK_NSA_INS5_IJNSE_INSF_ItEEEESM_EEEEEPS7_SP_SP_NSC_11hip_rocprim7__merge17predicate_wrapperIttNSC_4lessItEEEEEE10hipError_tPvRmT0_T1_T2_T3_T4_T5_mmT6_P12ihipStream_tbEUlT_E0_NS1_11comp_targetILNS1_3genE10ELNS1_11target_archE1200ELNS1_3gpuE4ELNS1_3repE0EEENS1_30default_config_static_selectorELNS0_4arch9wavefront6targetE0EEEvS10_
                                        ; -- End function
	.set _ZN7rocprim17ROCPRIM_400000_NS6detail17trampoline_kernelINS0_14default_configENS1_21merge_config_selectorINS0_5tupleIJttEEENS0_10empty_typeEEEZNS1_10merge_implIS3_NS0_12zip_iteratorINS5_IJN6thrust23THRUST_200600_302600_NS6detail15normal_iteratorINSC_10device_ptrIKtEEEESI_EEEEESK_NSA_INS5_IJNSE_INSF_ItEEEESM_EEEEEPS7_SP_SP_NSC_11hip_rocprim7__merge17predicate_wrapperIttNSC_4lessItEEEEEE10hipError_tPvRmT0_T1_T2_T3_T4_T5_mmT6_P12ihipStream_tbEUlT_E0_NS1_11comp_targetILNS1_3genE10ELNS1_11target_archE1200ELNS1_3gpuE4ELNS1_3repE0EEENS1_30default_config_static_selectorELNS0_4arch9wavefront6targetE0EEEvS10_.num_vgpr, 0
	.set _ZN7rocprim17ROCPRIM_400000_NS6detail17trampoline_kernelINS0_14default_configENS1_21merge_config_selectorINS0_5tupleIJttEEENS0_10empty_typeEEEZNS1_10merge_implIS3_NS0_12zip_iteratorINS5_IJN6thrust23THRUST_200600_302600_NS6detail15normal_iteratorINSC_10device_ptrIKtEEEESI_EEEEESK_NSA_INS5_IJNSE_INSF_ItEEEESM_EEEEEPS7_SP_SP_NSC_11hip_rocprim7__merge17predicate_wrapperIttNSC_4lessItEEEEEE10hipError_tPvRmT0_T1_T2_T3_T4_T5_mmT6_P12ihipStream_tbEUlT_E0_NS1_11comp_targetILNS1_3genE10ELNS1_11target_archE1200ELNS1_3gpuE4ELNS1_3repE0EEENS1_30default_config_static_selectorELNS0_4arch9wavefront6targetE0EEEvS10_.num_agpr, 0
	.set _ZN7rocprim17ROCPRIM_400000_NS6detail17trampoline_kernelINS0_14default_configENS1_21merge_config_selectorINS0_5tupleIJttEEENS0_10empty_typeEEEZNS1_10merge_implIS3_NS0_12zip_iteratorINS5_IJN6thrust23THRUST_200600_302600_NS6detail15normal_iteratorINSC_10device_ptrIKtEEEESI_EEEEESK_NSA_INS5_IJNSE_INSF_ItEEEESM_EEEEEPS7_SP_SP_NSC_11hip_rocprim7__merge17predicate_wrapperIttNSC_4lessItEEEEEE10hipError_tPvRmT0_T1_T2_T3_T4_T5_mmT6_P12ihipStream_tbEUlT_E0_NS1_11comp_targetILNS1_3genE10ELNS1_11target_archE1200ELNS1_3gpuE4ELNS1_3repE0EEENS1_30default_config_static_selectorELNS0_4arch9wavefront6targetE0EEEvS10_.numbered_sgpr, 0
	.set _ZN7rocprim17ROCPRIM_400000_NS6detail17trampoline_kernelINS0_14default_configENS1_21merge_config_selectorINS0_5tupleIJttEEENS0_10empty_typeEEEZNS1_10merge_implIS3_NS0_12zip_iteratorINS5_IJN6thrust23THRUST_200600_302600_NS6detail15normal_iteratorINSC_10device_ptrIKtEEEESI_EEEEESK_NSA_INS5_IJNSE_INSF_ItEEEESM_EEEEEPS7_SP_SP_NSC_11hip_rocprim7__merge17predicate_wrapperIttNSC_4lessItEEEEEE10hipError_tPvRmT0_T1_T2_T3_T4_T5_mmT6_P12ihipStream_tbEUlT_E0_NS1_11comp_targetILNS1_3genE10ELNS1_11target_archE1200ELNS1_3gpuE4ELNS1_3repE0EEENS1_30default_config_static_selectorELNS0_4arch9wavefront6targetE0EEEvS10_.num_named_barrier, 0
	.set _ZN7rocprim17ROCPRIM_400000_NS6detail17trampoline_kernelINS0_14default_configENS1_21merge_config_selectorINS0_5tupleIJttEEENS0_10empty_typeEEEZNS1_10merge_implIS3_NS0_12zip_iteratorINS5_IJN6thrust23THRUST_200600_302600_NS6detail15normal_iteratorINSC_10device_ptrIKtEEEESI_EEEEESK_NSA_INS5_IJNSE_INSF_ItEEEESM_EEEEEPS7_SP_SP_NSC_11hip_rocprim7__merge17predicate_wrapperIttNSC_4lessItEEEEEE10hipError_tPvRmT0_T1_T2_T3_T4_T5_mmT6_P12ihipStream_tbEUlT_E0_NS1_11comp_targetILNS1_3genE10ELNS1_11target_archE1200ELNS1_3gpuE4ELNS1_3repE0EEENS1_30default_config_static_selectorELNS0_4arch9wavefront6targetE0EEEvS10_.private_seg_size, 0
	.set _ZN7rocprim17ROCPRIM_400000_NS6detail17trampoline_kernelINS0_14default_configENS1_21merge_config_selectorINS0_5tupleIJttEEENS0_10empty_typeEEEZNS1_10merge_implIS3_NS0_12zip_iteratorINS5_IJN6thrust23THRUST_200600_302600_NS6detail15normal_iteratorINSC_10device_ptrIKtEEEESI_EEEEESK_NSA_INS5_IJNSE_INSF_ItEEEESM_EEEEEPS7_SP_SP_NSC_11hip_rocprim7__merge17predicate_wrapperIttNSC_4lessItEEEEEE10hipError_tPvRmT0_T1_T2_T3_T4_T5_mmT6_P12ihipStream_tbEUlT_E0_NS1_11comp_targetILNS1_3genE10ELNS1_11target_archE1200ELNS1_3gpuE4ELNS1_3repE0EEENS1_30default_config_static_selectorELNS0_4arch9wavefront6targetE0EEEvS10_.uses_vcc, 0
	.set _ZN7rocprim17ROCPRIM_400000_NS6detail17trampoline_kernelINS0_14default_configENS1_21merge_config_selectorINS0_5tupleIJttEEENS0_10empty_typeEEEZNS1_10merge_implIS3_NS0_12zip_iteratorINS5_IJN6thrust23THRUST_200600_302600_NS6detail15normal_iteratorINSC_10device_ptrIKtEEEESI_EEEEESK_NSA_INS5_IJNSE_INSF_ItEEEESM_EEEEEPS7_SP_SP_NSC_11hip_rocprim7__merge17predicate_wrapperIttNSC_4lessItEEEEEE10hipError_tPvRmT0_T1_T2_T3_T4_T5_mmT6_P12ihipStream_tbEUlT_E0_NS1_11comp_targetILNS1_3genE10ELNS1_11target_archE1200ELNS1_3gpuE4ELNS1_3repE0EEENS1_30default_config_static_selectorELNS0_4arch9wavefront6targetE0EEEvS10_.uses_flat_scratch, 0
	.set _ZN7rocprim17ROCPRIM_400000_NS6detail17trampoline_kernelINS0_14default_configENS1_21merge_config_selectorINS0_5tupleIJttEEENS0_10empty_typeEEEZNS1_10merge_implIS3_NS0_12zip_iteratorINS5_IJN6thrust23THRUST_200600_302600_NS6detail15normal_iteratorINSC_10device_ptrIKtEEEESI_EEEEESK_NSA_INS5_IJNSE_INSF_ItEEEESM_EEEEEPS7_SP_SP_NSC_11hip_rocprim7__merge17predicate_wrapperIttNSC_4lessItEEEEEE10hipError_tPvRmT0_T1_T2_T3_T4_T5_mmT6_P12ihipStream_tbEUlT_E0_NS1_11comp_targetILNS1_3genE10ELNS1_11target_archE1200ELNS1_3gpuE4ELNS1_3repE0EEENS1_30default_config_static_selectorELNS0_4arch9wavefront6targetE0EEEvS10_.has_dyn_sized_stack, 0
	.set _ZN7rocprim17ROCPRIM_400000_NS6detail17trampoline_kernelINS0_14default_configENS1_21merge_config_selectorINS0_5tupleIJttEEENS0_10empty_typeEEEZNS1_10merge_implIS3_NS0_12zip_iteratorINS5_IJN6thrust23THRUST_200600_302600_NS6detail15normal_iteratorINSC_10device_ptrIKtEEEESI_EEEEESK_NSA_INS5_IJNSE_INSF_ItEEEESM_EEEEEPS7_SP_SP_NSC_11hip_rocprim7__merge17predicate_wrapperIttNSC_4lessItEEEEEE10hipError_tPvRmT0_T1_T2_T3_T4_T5_mmT6_P12ihipStream_tbEUlT_E0_NS1_11comp_targetILNS1_3genE10ELNS1_11target_archE1200ELNS1_3gpuE4ELNS1_3repE0EEENS1_30default_config_static_selectorELNS0_4arch9wavefront6targetE0EEEvS10_.has_recursion, 0
	.set _ZN7rocprim17ROCPRIM_400000_NS6detail17trampoline_kernelINS0_14default_configENS1_21merge_config_selectorINS0_5tupleIJttEEENS0_10empty_typeEEEZNS1_10merge_implIS3_NS0_12zip_iteratorINS5_IJN6thrust23THRUST_200600_302600_NS6detail15normal_iteratorINSC_10device_ptrIKtEEEESI_EEEEESK_NSA_INS5_IJNSE_INSF_ItEEEESM_EEEEEPS7_SP_SP_NSC_11hip_rocprim7__merge17predicate_wrapperIttNSC_4lessItEEEEEE10hipError_tPvRmT0_T1_T2_T3_T4_T5_mmT6_P12ihipStream_tbEUlT_E0_NS1_11comp_targetILNS1_3genE10ELNS1_11target_archE1200ELNS1_3gpuE4ELNS1_3repE0EEENS1_30default_config_static_selectorELNS0_4arch9wavefront6targetE0EEEvS10_.has_indirect_call, 0
	.section	.AMDGPU.csdata,"",@progbits
; Kernel info:
; codeLenInByte = 0
; TotalNumSgprs: 0
; NumVgprs: 0
; ScratchSize: 0
; MemoryBound: 0
; FloatMode: 240
; IeeeMode: 1
; LDSByteSize: 0 bytes/workgroup (compile time only)
; SGPRBlocks: 0
; VGPRBlocks: 0
; NumSGPRsForWavesPerEU: 1
; NumVGPRsForWavesPerEU: 1
; NamedBarCnt: 0
; Occupancy: 16
; WaveLimiterHint : 0
; COMPUTE_PGM_RSRC2:SCRATCH_EN: 0
; COMPUTE_PGM_RSRC2:USER_SGPR: 2
; COMPUTE_PGM_RSRC2:TRAP_HANDLER: 0
; COMPUTE_PGM_RSRC2:TGID_X_EN: 1
; COMPUTE_PGM_RSRC2:TGID_Y_EN: 0
; COMPUTE_PGM_RSRC2:TGID_Z_EN: 0
; COMPUTE_PGM_RSRC2:TIDIG_COMP_CNT: 0
	.section	.text._ZN7rocprim17ROCPRIM_400000_NS6detail17trampoline_kernelINS0_14default_configENS1_21merge_config_selectorINS0_5tupleIJttEEENS0_10empty_typeEEEZNS1_10merge_implIS3_NS0_12zip_iteratorINS5_IJN6thrust23THRUST_200600_302600_NS6detail15normal_iteratorINSC_10device_ptrIKtEEEESI_EEEEESK_NSA_INS5_IJNSE_INSF_ItEEEESM_EEEEEPS7_SP_SP_NSC_11hip_rocprim7__merge17predicate_wrapperIttNSC_4lessItEEEEEE10hipError_tPvRmT0_T1_T2_T3_T4_T5_mmT6_P12ihipStream_tbEUlT_E0_NS1_11comp_targetILNS1_3genE9ELNS1_11target_archE1100ELNS1_3gpuE3ELNS1_3repE0EEENS1_30default_config_static_selectorELNS0_4arch9wavefront6targetE0EEEvS10_,"axG",@progbits,_ZN7rocprim17ROCPRIM_400000_NS6detail17trampoline_kernelINS0_14default_configENS1_21merge_config_selectorINS0_5tupleIJttEEENS0_10empty_typeEEEZNS1_10merge_implIS3_NS0_12zip_iteratorINS5_IJN6thrust23THRUST_200600_302600_NS6detail15normal_iteratorINSC_10device_ptrIKtEEEESI_EEEEESK_NSA_INS5_IJNSE_INSF_ItEEEESM_EEEEEPS7_SP_SP_NSC_11hip_rocprim7__merge17predicate_wrapperIttNSC_4lessItEEEEEE10hipError_tPvRmT0_T1_T2_T3_T4_T5_mmT6_P12ihipStream_tbEUlT_E0_NS1_11comp_targetILNS1_3genE9ELNS1_11target_archE1100ELNS1_3gpuE3ELNS1_3repE0EEENS1_30default_config_static_selectorELNS0_4arch9wavefront6targetE0EEEvS10_,comdat
	.protected	_ZN7rocprim17ROCPRIM_400000_NS6detail17trampoline_kernelINS0_14default_configENS1_21merge_config_selectorINS0_5tupleIJttEEENS0_10empty_typeEEEZNS1_10merge_implIS3_NS0_12zip_iteratorINS5_IJN6thrust23THRUST_200600_302600_NS6detail15normal_iteratorINSC_10device_ptrIKtEEEESI_EEEEESK_NSA_INS5_IJNSE_INSF_ItEEEESM_EEEEEPS7_SP_SP_NSC_11hip_rocprim7__merge17predicate_wrapperIttNSC_4lessItEEEEEE10hipError_tPvRmT0_T1_T2_T3_T4_T5_mmT6_P12ihipStream_tbEUlT_E0_NS1_11comp_targetILNS1_3genE9ELNS1_11target_archE1100ELNS1_3gpuE3ELNS1_3repE0EEENS1_30default_config_static_selectorELNS0_4arch9wavefront6targetE0EEEvS10_ ; -- Begin function _ZN7rocprim17ROCPRIM_400000_NS6detail17trampoline_kernelINS0_14default_configENS1_21merge_config_selectorINS0_5tupleIJttEEENS0_10empty_typeEEEZNS1_10merge_implIS3_NS0_12zip_iteratorINS5_IJN6thrust23THRUST_200600_302600_NS6detail15normal_iteratorINSC_10device_ptrIKtEEEESI_EEEEESK_NSA_INS5_IJNSE_INSF_ItEEEESM_EEEEEPS7_SP_SP_NSC_11hip_rocprim7__merge17predicate_wrapperIttNSC_4lessItEEEEEE10hipError_tPvRmT0_T1_T2_T3_T4_T5_mmT6_P12ihipStream_tbEUlT_E0_NS1_11comp_targetILNS1_3genE9ELNS1_11target_archE1100ELNS1_3gpuE3ELNS1_3repE0EEENS1_30default_config_static_selectorELNS0_4arch9wavefront6targetE0EEEvS10_
	.globl	_ZN7rocprim17ROCPRIM_400000_NS6detail17trampoline_kernelINS0_14default_configENS1_21merge_config_selectorINS0_5tupleIJttEEENS0_10empty_typeEEEZNS1_10merge_implIS3_NS0_12zip_iteratorINS5_IJN6thrust23THRUST_200600_302600_NS6detail15normal_iteratorINSC_10device_ptrIKtEEEESI_EEEEESK_NSA_INS5_IJNSE_INSF_ItEEEESM_EEEEEPS7_SP_SP_NSC_11hip_rocprim7__merge17predicate_wrapperIttNSC_4lessItEEEEEE10hipError_tPvRmT0_T1_T2_T3_T4_T5_mmT6_P12ihipStream_tbEUlT_E0_NS1_11comp_targetILNS1_3genE9ELNS1_11target_archE1100ELNS1_3gpuE3ELNS1_3repE0EEENS1_30default_config_static_selectorELNS0_4arch9wavefront6targetE0EEEvS10_
	.p2align	8
	.type	_ZN7rocprim17ROCPRIM_400000_NS6detail17trampoline_kernelINS0_14default_configENS1_21merge_config_selectorINS0_5tupleIJttEEENS0_10empty_typeEEEZNS1_10merge_implIS3_NS0_12zip_iteratorINS5_IJN6thrust23THRUST_200600_302600_NS6detail15normal_iteratorINSC_10device_ptrIKtEEEESI_EEEEESK_NSA_INS5_IJNSE_INSF_ItEEEESM_EEEEEPS7_SP_SP_NSC_11hip_rocprim7__merge17predicate_wrapperIttNSC_4lessItEEEEEE10hipError_tPvRmT0_T1_T2_T3_T4_T5_mmT6_P12ihipStream_tbEUlT_E0_NS1_11comp_targetILNS1_3genE9ELNS1_11target_archE1100ELNS1_3gpuE3ELNS1_3repE0EEENS1_30default_config_static_selectorELNS0_4arch9wavefront6targetE0EEEvS10_,@function
_ZN7rocprim17ROCPRIM_400000_NS6detail17trampoline_kernelINS0_14default_configENS1_21merge_config_selectorINS0_5tupleIJttEEENS0_10empty_typeEEEZNS1_10merge_implIS3_NS0_12zip_iteratorINS5_IJN6thrust23THRUST_200600_302600_NS6detail15normal_iteratorINSC_10device_ptrIKtEEEESI_EEEEESK_NSA_INS5_IJNSE_INSF_ItEEEESM_EEEEEPS7_SP_SP_NSC_11hip_rocprim7__merge17predicate_wrapperIttNSC_4lessItEEEEEE10hipError_tPvRmT0_T1_T2_T3_T4_T5_mmT6_P12ihipStream_tbEUlT_E0_NS1_11comp_targetILNS1_3genE9ELNS1_11target_archE1100ELNS1_3gpuE3ELNS1_3repE0EEENS1_30default_config_static_selectorELNS0_4arch9wavefront6targetE0EEEvS10_: ; @_ZN7rocprim17ROCPRIM_400000_NS6detail17trampoline_kernelINS0_14default_configENS1_21merge_config_selectorINS0_5tupleIJttEEENS0_10empty_typeEEEZNS1_10merge_implIS3_NS0_12zip_iteratorINS5_IJN6thrust23THRUST_200600_302600_NS6detail15normal_iteratorINSC_10device_ptrIKtEEEESI_EEEEESK_NSA_INS5_IJNSE_INSF_ItEEEESM_EEEEEPS7_SP_SP_NSC_11hip_rocprim7__merge17predicate_wrapperIttNSC_4lessItEEEEEE10hipError_tPvRmT0_T1_T2_T3_T4_T5_mmT6_P12ihipStream_tbEUlT_E0_NS1_11comp_targetILNS1_3genE9ELNS1_11target_archE1100ELNS1_3gpuE3ELNS1_3repE0EEENS1_30default_config_static_selectorELNS0_4arch9wavefront6targetE0EEEvS10_
; %bb.0:
	.section	.rodata,"a",@progbits
	.p2align	6, 0x0
	.amdhsa_kernel _ZN7rocprim17ROCPRIM_400000_NS6detail17trampoline_kernelINS0_14default_configENS1_21merge_config_selectorINS0_5tupleIJttEEENS0_10empty_typeEEEZNS1_10merge_implIS3_NS0_12zip_iteratorINS5_IJN6thrust23THRUST_200600_302600_NS6detail15normal_iteratorINSC_10device_ptrIKtEEEESI_EEEEESK_NSA_INS5_IJNSE_INSF_ItEEEESM_EEEEEPS7_SP_SP_NSC_11hip_rocprim7__merge17predicate_wrapperIttNSC_4lessItEEEEEE10hipError_tPvRmT0_T1_T2_T3_T4_T5_mmT6_P12ihipStream_tbEUlT_E0_NS1_11comp_targetILNS1_3genE9ELNS1_11target_archE1100ELNS1_3gpuE3ELNS1_3repE0EEENS1_30default_config_static_selectorELNS0_4arch9wavefront6targetE0EEEvS10_
		.amdhsa_group_segment_fixed_size 0
		.amdhsa_private_segment_fixed_size 0
		.amdhsa_kernarg_size 112
		.amdhsa_user_sgpr_count 2
		.amdhsa_user_sgpr_dispatch_ptr 0
		.amdhsa_user_sgpr_queue_ptr 0
		.amdhsa_user_sgpr_kernarg_segment_ptr 1
		.amdhsa_user_sgpr_dispatch_id 0
		.amdhsa_user_sgpr_kernarg_preload_length 0
		.amdhsa_user_sgpr_kernarg_preload_offset 0
		.amdhsa_user_sgpr_private_segment_size 0
		.amdhsa_wavefront_size32 1
		.amdhsa_uses_dynamic_stack 0
		.amdhsa_enable_private_segment 0
		.amdhsa_system_sgpr_workgroup_id_x 1
		.amdhsa_system_sgpr_workgroup_id_y 0
		.amdhsa_system_sgpr_workgroup_id_z 0
		.amdhsa_system_sgpr_workgroup_info 0
		.amdhsa_system_vgpr_workitem_id 0
		.amdhsa_next_free_vgpr 1
		.amdhsa_next_free_sgpr 1
		.amdhsa_named_barrier_count 0
		.amdhsa_reserve_vcc 0
		.amdhsa_float_round_mode_32 0
		.amdhsa_float_round_mode_16_64 0
		.amdhsa_float_denorm_mode_32 3
		.amdhsa_float_denorm_mode_16_64 3
		.amdhsa_fp16_overflow 0
		.amdhsa_memory_ordered 1
		.amdhsa_forward_progress 1
		.amdhsa_inst_pref_size 0
		.amdhsa_round_robin_scheduling 0
		.amdhsa_exception_fp_ieee_invalid_op 0
		.amdhsa_exception_fp_denorm_src 0
		.amdhsa_exception_fp_ieee_div_zero 0
		.amdhsa_exception_fp_ieee_overflow 0
		.amdhsa_exception_fp_ieee_underflow 0
		.amdhsa_exception_fp_ieee_inexact 0
		.amdhsa_exception_int_div_zero 0
	.end_amdhsa_kernel
	.section	.text._ZN7rocprim17ROCPRIM_400000_NS6detail17trampoline_kernelINS0_14default_configENS1_21merge_config_selectorINS0_5tupleIJttEEENS0_10empty_typeEEEZNS1_10merge_implIS3_NS0_12zip_iteratorINS5_IJN6thrust23THRUST_200600_302600_NS6detail15normal_iteratorINSC_10device_ptrIKtEEEESI_EEEEESK_NSA_INS5_IJNSE_INSF_ItEEEESM_EEEEEPS7_SP_SP_NSC_11hip_rocprim7__merge17predicate_wrapperIttNSC_4lessItEEEEEE10hipError_tPvRmT0_T1_T2_T3_T4_T5_mmT6_P12ihipStream_tbEUlT_E0_NS1_11comp_targetILNS1_3genE9ELNS1_11target_archE1100ELNS1_3gpuE3ELNS1_3repE0EEENS1_30default_config_static_selectorELNS0_4arch9wavefront6targetE0EEEvS10_,"axG",@progbits,_ZN7rocprim17ROCPRIM_400000_NS6detail17trampoline_kernelINS0_14default_configENS1_21merge_config_selectorINS0_5tupleIJttEEENS0_10empty_typeEEEZNS1_10merge_implIS3_NS0_12zip_iteratorINS5_IJN6thrust23THRUST_200600_302600_NS6detail15normal_iteratorINSC_10device_ptrIKtEEEESI_EEEEESK_NSA_INS5_IJNSE_INSF_ItEEEESM_EEEEEPS7_SP_SP_NSC_11hip_rocprim7__merge17predicate_wrapperIttNSC_4lessItEEEEEE10hipError_tPvRmT0_T1_T2_T3_T4_T5_mmT6_P12ihipStream_tbEUlT_E0_NS1_11comp_targetILNS1_3genE9ELNS1_11target_archE1100ELNS1_3gpuE3ELNS1_3repE0EEENS1_30default_config_static_selectorELNS0_4arch9wavefront6targetE0EEEvS10_,comdat
.Lfunc_end186:
	.size	_ZN7rocprim17ROCPRIM_400000_NS6detail17trampoline_kernelINS0_14default_configENS1_21merge_config_selectorINS0_5tupleIJttEEENS0_10empty_typeEEEZNS1_10merge_implIS3_NS0_12zip_iteratorINS5_IJN6thrust23THRUST_200600_302600_NS6detail15normal_iteratorINSC_10device_ptrIKtEEEESI_EEEEESK_NSA_INS5_IJNSE_INSF_ItEEEESM_EEEEEPS7_SP_SP_NSC_11hip_rocprim7__merge17predicate_wrapperIttNSC_4lessItEEEEEE10hipError_tPvRmT0_T1_T2_T3_T4_T5_mmT6_P12ihipStream_tbEUlT_E0_NS1_11comp_targetILNS1_3genE9ELNS1_11target_archE1100ELNS1_3gpuE3ELNS1_3repE0EEENS1_30default_config_static_selectorELNS0_4arch9wavefront6targetE0EEEvS10_, .Lfunc_end186-_ZN7rocprim17ROCPRIM_400000_NS6detail17trampoline_kernelINS0_14default_configENS1_21merge_config_selectorINS0_5tupleIJttEEENS0_10empty_typeEEEZNS1_10merge_implIS3_NS0_12zip_iteratorINS5_IJN6thrust23THRUST_200600_302600_NS6detail15normal_iteratorINSC_10device_ptrIKtEEEESI_EEEEESK_NSA_INS5_IJNSE_INSF_ItEEEESM_EEEEEPS7_SP_SP_NSC_11hip_rocprim7__merge17predicate_wrapperIttNSC_4lessItEEEEEE10hipError_tPvRmT0_T1_T2_T3_T4_T5_mmT6_P12ihipStream_tbEUlT_E0_NS1_11comp_targetILNS1_3genE9ELNS1_11target_archE1100ELNS1_3gpuE3ELNS1_3repE0EEENS1_30default_config_static_selectorELNS0_4arch9wavefront6targetE0EEEvS10_
                                        ; -- End function
	.set _ZN7rocprim17ROCPRIM_400000_NS6detail17trampoline_kernelINS0_14default_configENS1_21merge_config_selectorINS0_5tupleIJttEEENS0_10empty_typeEEEZNS1_10merge_implIS3_NS0_12zip_iteratorINS5_IJN6thrust23THRUST_200600_302600_NS6detail15normal_iteratorINSC_10device_ptrIKtEEEESI_EEEEESK_NSA_INS5_IJNSE_INSF_ItEEEESM_EEEEEPS7_SP_SP_NSC_11hip_rocprim7__merge17predicate_wrapperIttNSC_4lessItEEEEEE10hipError_tPvRmT0_T1_T2_T3_T4_T5_mmT6_P12ihipStream_tbEUlT_E0_NS1_11comp_targetILNS1_3genE9ELNS1_11target_archE1100ELNS1_3gpuE3ELNS1_3repE0EEENS1_30default_config_static_selectorELNS0_4arch9wavefront6targetE0EEEvS10_.num_vgpr, 0
	.set _ZN7rocprim17ROCPRIM_400000_NS6detail17trampoline_kernelINS0_14default_configENS1_21merge_config_selectorINS0_5tupleIJttEEENS0_10empty_typeEEEZNS1_10merge_implIS3_NS0_12zip_iteratorINS5_IJN6thrust23THRUST_200600_302600_NS6detail15normal_iteratorINSC_10device_ptrIKtEEEESI_EEEEESK_NSA_INS5_IJNSE_INSF_ItEEEESM_EEEEEPS7_SP_SP_NSC_11hip_rocprim7__merge17predicate_wrapperIttNSC_4lessItEEEEEE10hipError_tPvRmT0_T1_T2_T3_T4_T5_mmT6_P12ihipStream_tbEUlT_E0_NS1_11comp_targetILNS1_3genE9ELNS1_11target_archE1100ELNS1_3gpuE3ELNS1_3repE0EEENS1_30default_config_static_selectorELNS0_4arch9wavefront6targetE0EEEvS10_.num_agpr, 0
	.set _ZN7rocprim17ROCPRIM_400000_NS6detail17trampoline_kernelINS0_14default_configENS1_21merge_config_selectorINS0_5tupleIJttEEENS0_10empty_typeEEEZNS1_10merge_implIS3_NS0_12zip_iteratorINS5_IJN6thrust23THRUST_200600_302600_NS6detail15normal_iteratorINSC_10device_ptrIKtEEEESI_EEEEESK_NSA_INS5_IJNSE_INSF_ItEEEESM_EEEEEPS7_SP_SP_NSC_11hip_rocprim7__merge17predicate_wrapperIttNSC_4lessItEEEEEE10hipError_tPvRmT0_T1_T2_T3_T4_T5_mmT6_P12ihipStream_tbEUlT_E0_NS1_11comp_targetILNS1_3genE9ELNS1_11target_archE1100ELNS1_3gpuE3ELNS1_3repE0EEENS1_30default_config_static_selectorELNS0_4arch9wavefront6targetE0EEEvS10_.numbered_sgpr, 0
	.set _ZN7rocprim17ROCPRIM_400000_NS6detail17trampoline_kernelINS0_14default_configENS1_21merge_config_selectorINS0_5tupleIJttEEENS0_10empty_typeEEEZNS1_10merge_implIS3_NS0_12zip_iteratorINS5_IJN6thrust23THRUST_200600_302600_NS6detail15normal_iteratorINSC_10device_ptrIKtEEEESI_EEEEESK_NSA_INS5_IJNSE_INSF_ItEEEESM_EEEEEPS7_SP_SP_NSC_11hip_rocprim7__merge17predicate_wrapperIttNSC_4lessItEEEEEE10hipError_tPvRmT0_T1_T2_T3_T4_T5_mmT6_P12ihipStream_tbEUlT_E0_NS1_11comp_targetILNS1_3genE9ELNS1_11target_archE1100ELNS1_3gpuE3ELNS1_3repE0EEENS1_30default_config_static_selectorELNS0_4arch9wavefront6targetE0EEEvS10_.num_named_barrier, 0
	.set _ZN7rocprim17ROCPRIM_400000_NS6detail17trampoline_kernelINS0_14default_configENS1_21merge_config_selectorINS0_5tupleIJttEEENS0_10empty_typeEEEZNS1_10merge_implIS3_NS0_12zip_iteratorINS5_IJN6thrust23THRUST_200600_302600_NS6detail15normal_iteratorINSC_10device_ptrIKtEEEESI_EEEEESK_NSA_INS5_IJNSE_INSF_ItEEEESM_EEEEEPS7_SP_SP_NSC_11hip_rocprim7__merge17predicate_wrapperIttNSC_4lessItEEEEEE10hipError_tPvRmT0_T1_T2_T3_T4_T5_mmT6_P12ihipStream_tbEUlT_E0_NS1_11comp_targetILNS1_3genE9ELNS1_11target_archE1100ELNS1_3gpuE3ELNS1_3repE0EEENS1_30default_config_static_selectorELNS0_4arch9wavefront6targetE0EEEvS10_.private_seg_size, 0
	.set _ZN7rocprim17ROCPRIM_400000_NS6detail17trampoline_kernelINS0_14default_configENS1_21merge_config_selectorINS0_5tupleIJttEEENS0_10empty_typeEEEZNS1_10merge_implIS3_NS0_12zip_iteratorINS5_IJN6thrust23THRUST_200600_302600_NS6detail15normal_iteratorINSC_10device_ptrIKtEEEESI_EEEEESK_NSA_INS5_IJNSE_INSF_ItEEEESM_EEEEEPS7_SP_SP_NSC_11hip_rocprim7__merge17predicate_wrapperIttNSC_4lessItEEEEEE10hipError_tPvRmT0_T1_T2_T3_T4_T5_mmT6_P12ihipStream_tbEUlT_E0_NS1_11comp_targetILNS1_3genE9ELNS1_11target_archE1100ELNS1_3gpuE3ELNS1_3repE0EEENS1_30default_config_static_selectorELNS0_4arch9wavefront6targetE0EEEvS10_.uses_vcc, 0
	.set _ZN7rocprim17ROCPRIM_400000_NS6detail17trampoline_kernelINS0_14default_configENS1_21merge_config_selectorINS0_5tupleIJttEEENS0_10empty_typeEEEZNS1_10merge_implIS3_NS0_12zip_iteratorINS5_IJN6thrust23THRUST_200600_302600_NS6detail15normal_iteratorINSC_10device_ptrIKtEEEESI_EEEEESK_NSA_INS5_IJNSE_INSF_ItEEEESM_EEEEEPS7_SP_SP_NSC_11hip_rocprim7__merge17predicate_wrapperIttNSC_4lessItEEEEEE10hipError_tPvRmT0_T1_T2_T3_T4_T5_mmT6_P12ihipStream_tbEUlT_E0_NS1_11comp_targetILNS1_3genE9ELNS1_11target_archE1100ELNS1_3gpuE3ELNS1_3repE0EEENS1_30default_config_static_selectorELNS0_4arch9wavefront6targetE0EEEvS10_.uses_flat_scratch, 0
	.set _ZN7rocprim17ROCPRIM_400000_NS6detail17trampoline_kernelINS0_14default_configENS1_21merge_config_selectorINS0_5tupleIJttEEENS0_10empty_typeEEEZNS1_10merge_implIS3_NS0_12zip_iteratorINS5_IJN6thrust23THRUST_200600_302600_NS6detail15normal_iteratorINSC_10device_ptrIKtEEEESI_EEEEESK_NSA_INS5_IJNSE_INSF_ItEEEESM_EEEEEPS7_SP_SP_NSC_11hip_rocprim7__merge17predicate_wrapperIttNSC_4lessItEEEEEE10hipError_tPvRmT0_T1_T2_T3_T4_T5_mmT6_P12ihipStream_tbEUlT_E0_NS1_11comp_targetILNS1_3genE9ELNS1_11target_archE1100ELNS1_3gpuE3ELNS1_3repE0EEENS1_30default_config_static_selectorELNS0_4arch9wavefront6targetE0EEEvS10_.has_dyn_sized_stack, 0
	.set _ZN7rocprim17ROCPRIM_400000_NS6detail17trampoline_kernelINS0_14default_configENS1_21merge_config_selectorINS0_5tupleIJttEEENS0_10empty_typeEEEZNS1_10merge_implIS3_NS0_12zip_iteratorINS5_IJN6thrust23THRUST_200600_302600_NS6detail15normal_iteratorINSC_10device_ptrIKtEEEESI_EEEEESK_NSA_INS5_IJNSE_INSF_ItEEEESM_EEEEEPS7_SP_SP_NSC_11hip_rocprim7__merge17predicate_wrapperIttNSC_4lessItEEEEEE10hipError_tPvRmT0_T1_T2_T3_T4_T5_mmT6_P12ihipStream_tbEUlT_E0_NS1_11comp_targetILNS1_3genE9ELNS1_11target_archE1100ELNS1_3gpuE3ELNS1_3repE0EEENS1_30default_config_static_selectorELNS0_4arch9wavefront6targetE0EEEvS10_.has_recursion, 0
	.set _ZN7rocprim17ROCPRIM_400000_NS6detail17trampoline_kernelINS0_14default_configENS1_21merge_config_selectorINS0_5tupleIJttEEENS0_10empty_typeEEEZNS1_10merge_implIS3_NS0_12zip_iteratorINS5_IJN6thrust23THRUST_200600_302600_NS6detail15normal_iteratorINSC_10device_ptrIKtEEEESI_EEEEESK_NSA_INS5_IJNSE_INSF_ItEEEESM_EEEEEPS7_SP_SP_NSC_11hip_rocprim7__merge17predicate_wrapperIttNSC_4lessItEEEEEE10hipError_tPvRmT0_T1_T2_T3_T4_T5_mmT6_P12ihipStream_tbEUlT_E0_NS1_11comp_targetILNS1_3genE9ELNS1_11target_archE1100ELNS1_3gpuE3ELNS1_3repE0EEENS1_30default_config_static_selectorELNS0_4arch9wavefront6targetE0EEEvS10_.has_indirect_call, 0
	.section	.AMDGPU.csdata,"",@progbits
; Kernel info:
; codeLenInByte = 0
; TotalNumSgprs: 0
; NumVgprs: 0
; ScratchSize: 0
; MemoryBound: 0
; FloatMode: 240
; IeeeMode: 1
; LDSByteSize: 0 bytes/workgroup (compile time only)
; SGPRBlocks: 0
; VGPRBlocks: 0
; NumSGPRsForWavesPerEU: 1
; NumVGPRsForWavesPerEU: 1
; NamedBarCnt: 0
; Occupancy: 16
; WaveLimiterHint : 0
; COMPUTE_PGM_RSRC2:SCRATCH_EN: 0
; COMPUTE_PGM_RSRC2:USER_SGPR: 2
; COMPUTE_PGM_RSRC2:TRAP_HANDLER: 0
; COMPUTE_PGM_RSRC2:TGID_X_EN: 1
; COMPUTE_PGM_RSRC2:TGID_Y_EN: 0
; COMPUTE_PGM_RSRC2:TGID_Z_EN: 0
; COMPUTE_PGM_RSRC2:TIDIG_COMP_CNT: 0
	.section	.text._ZN7rocprim17ROCPRIM_400000_NS6detail17trampoline_kernelINS0_14default_configENS1_21merge_config_selectorINS0_5tupleIJttEEENS0_10empty_typeEEEZNS1_10merge_implIS3_NS0_12zip_iteratorINS5_IJN6thrust23THRUST_200600_302600_NS6detail15normal_iteratorINSC_10device_ptrIKtEEEESI_EEEEESK_NSA_INS5_IJNSE_INSF_ItEEEESM_EEEEEPS7_SP_SP_NSC_11hip_rocprim7__merge17predicate_wrapperIttNSC_4lessItEEEEEE10hipError_tPvRmT0_T1_T2_T3_T4_T5_mmT6_P12ihipStream_tbEUlT_E0_NS1_11comp_targetILNS1_3genE8ELNS1_11target_archE1030ELNS1_3gpuE2ELNS1_3repE0EEENS1_30default_config_static_selectorELNS0_4arch9wavefront6targetE0EEEvS10_,"axG",@progbits,_ZN7rocprim17ROCPRIM_400000_NS6detail17trampoline_kernelINS0_14default_configENS1_21merge_config_selectorINS0_5tupleIJttEEENS0_10empty_typeEEEZNS1_10merge_implIS3_NS0_12zip_iteratorINS5_IJN6thrust23THRUST_200600_302600_NS6detail15normal_iteratorINSC_10device_ptrIKtEEEESI_EEEEESK_NSA_INS5_IJNSE_INSF_ItEEEESM_EEEEEPS7_SP_SP_NSC_11hip_rocprim7__merge17predicate_wrapperIttNSC_4lessItEEEEEE10hipError_tPvRmT0_T1_T2_T3_T4_T5_mmT6_P12ihipStream_tbEUlT_E0_NS1_11comp_targetILNS1_3genE8ELNS1_11target_archE1030ELNS1_3gpuE2ELNS1_3repE0EEENS1_30default_config_static_selectorELNS0_4arch9wavefront6targetE0EEEvS10_,comdat
	.protected	_ZN7rocprim17ROCPRIM_400000_NS6detail17trampoline_kernelINS0_14default_configENS1_21merge_config_selectorINS0_5tupleIJttEEENS0_10empty_typeEEEZNS1_10merge_implIS3_NS0_12zip_iteratorINS5_IJN6thrust23THRUST_200600_302600_NS6detail15normal_iteratorINSC_10device_ptrIKtEEEESI_EEEEESK_NSA_INS5_IJNSE_INSF_ItEEEESM_EEEEEPS7_SP_SP_NSC_11hip_rocprim7__merge17predicate_wrapperIttNSC_4lessItEEEEEE10hipError_tPvRmT0_T1_T2_T3_T4_T5_mmT6_P12ihipStream_tbEUlT_E0_NS1_11comp_targetILNS1_3genE8ELNS1_11target_archE1030ELNS1_3gpuE2ELNS1_3repE0EEENS1_30default_config_static_selectorELNS0_4arch9wavefront6targetE0EEEvS10_ ; -- Begin function _ZN7rocprim17ROCPRIM_400000_NS6detail17trampoline_kernelINS0_14default_configENS1_21merge_config_selectorINS0_5tupleIJttEEENS0_10empty_typeEEEZNS1_10merge_implIS3_NS0_12zip_iteratorINS5_IJN6thrust23THRUST_200600_302600_NS6detail15normal_iteratorINSC_10device_ptrIKtEEEESI_EEEEESK_NSA_INS5_IJNSE_INSF_ItEEEESM_EEEEEPS7_SP_SP_NSC_11hip_rocprim7__merge17predicate_wrapperIttNSC_4lessItEEEEEE10hipError_tPvRmT0_T1_T2_T3_T4_T5_mmT6_P12ihipStream_tbEUlT_E0_NS1_11comp_targetILNS1_3genE8ELNS1_11target_archE1030ELNS1_3gpuE2ELNS1_3repE0EEENS1_30default_config_static_selectorELNS0_4arch9wavefront6targetE0EEEvS10_
	.globl	_ZN7rocprim17ROCPRIM_400000_NS6detail17trampoline_kernelINS0_14default_configENS1_21merge_config_selectorINS0_5tupleIJttEEENS0_10empty_typeEEEZNS1_10merge_implIS3_NS0_12zip_iteratorINS5_IJN6thrust23THRUST_200600_302600_NS6detail15normal_iteratorINSC_10device_ptrIKtEEEESI_EEEEESK_NSA_INS5_IJNSE_INSF_ItEEEESM_EEEEEPS7_SP_SP_NSC_11hip_rocprim7__merge17predicate_wrapperIttNSC_4lessItEEEEEE10hipError_tPvRmT0_T1_T2_T3_T4_T5_mmT6_P12ihipStream_tbEUlT_E0_NS1_11comp_targetILNS1_3genE8ELNS1_11target_archE1030ELNS1_3gpuE2ELNS1_3repE0EEENS1_30default_config_static_selectorELNS0_4arch9wavefront6targetE0EEEvS10_
	.p2align	8
	.type	_ZN7rocprim17ROCPRIM_400000_NS6detail17trampoline_kernelINS0_14default_configENS1_21merge_config_selectorINS0_5tupleIJttEEENS0_10empty_typeEEEZNS1_10merge_implIS3_NS0_12zip_iteratorINS5_IJN6thrust23THRUST_200600_302600_NS6detail15normal_iteratorINSC_10device_ptrIKtEEEESI_EEEEESK_NSA_INS5_IJNSE_INSF_ItEEEESM_EEEEEPS7_SP_SP_NSC_11hip_rocprim7__merge17predicate_wrapperIttNSC_4lessItEEEEEE10hipError_tPvRmT0_T1_T2_T3_T4_T5_mmT6_P12ihipStream_tbEUlT_E0_NS1_11comp_targetILNS1_3genE8ELNS1_11target_archE1030ELNS1_3gpuE2ELNS1_3repE0EEENS1_30default_config_static_selectorELNS0_4arch9wavefront6targetE0EEEvS10_,@function
_ZN7rocprim17ROCPRIM_400000_NS6detail17trampoline_kernelINS0_14default_configENS1_21merge_config_selectorINS0_5tupleIJttEEENS0_10empty_typeEEEZNS1_10merge_implIS3_NS0_12zip_iteratorINS5_IJN6thrust23THRUST_200600_302600_NS6detail15normal_iteratorINSC_10device_ptrIKtEEEESI_EEEEESK_NSA_INS5_IJNSE_INSF_ItEEEESM_EEEEEPS7_SP_SP_NSC_11hip_rocprim7__merge17predicate_wrapperIttNSC_4lessItEEEEEE10hipError_tPvRmT0_T1_T2_T3_T4_T5_mmT6_P12ihipStream_tbEUlT_E0_NS1_11comp_targetILNS1_3genE8ELNS1_11target_archE1030ELNS1_3gpuE2ELNS1_3repE0EEENS1_30default_config_static_selectorELNS0_4arch9wavefront6targetE0EEEvS10_: ; @_ZN7rocprim17ROCPRIM_400000_NS6detail17trampoline_kernelINS0_14default_configENS1_21merge_config_selectorINS0_5tupleIJttEEENS0_10empty_typeEEEZNS1_10merge_implIS3_NS0_12zip_iteratorINS5_IJN6thrust23THRUST_200600_302600_NS6detail15normal_iteratorINSC_10device_ptrIKtEEEESI_EEEEESK_NSA_INS5_IJNSE_INSF_ItEEEESM_EEEEEPS7_SP_SP_NSC_11hip_rocprim7__merge17predicate_wrapperIttNSC_4lessItEEEEEE10hipError_tPvRmT0_T1_T2_T3_T4_T5_mmT6_P12ihipStream_tbEUlT_E0_NS1_11comp_targetILNS1_3genE8ELNS1_11target_archE1030ELNS1_3gpuE2ELNS1_3repE0EEENS1_30default_config_static_selectorELNS0_4arch9wavefront6targetE0EEEvS10_
; %bb.0:
	.section	.rodata,"a",@progbits
	.p2align	6, 0x0
	.amdhsa_kernel _ZN7rocprim17ROCPRIM_400000_NS6detail17trampoline_kernelINS0_14default_configENS1_21merge_config_selectorINS0_5tupleIJttEEENS0_10empty_typeEEEZNS1_10merge_implIS3_NS0_12zip_iteratorINS5_IJN6thrust23THRUST_200600_302600_NS6detail15normal_iteratorINSC_10device_ptrIKtEEEESI_EEEEESK_NSA_INS5_IJNSE_INSF_ItEEEESM_EEEEEPS7_SP_SP_NSC_11hip_rocprim7__merge17predicate_wrapperIttNSC_4lessItEEEEEE10hipError_tPvRmT0_T1_T2_T3_T4_T5_mmT6_P12ihipStream_tbEUlT_E0_NS1_11comp_targetILNS1_3genE8ELNS1_11target_archE1030ELNS1_3gpuE2ELNS1_3repE0EEENS1_30default_config_static_selectorELNS0_4arch9wavefront6targetE0EEEvS10_
		.amdhsa_group_segment_fixed_size 0
		.amdhsa_private_segment_fixed_size 0
		.amdhsa_kernarg_size 112
		.amdhsa_user_sgpr_count 2
		.amdhsa_user_sgpr_dispatch_ptr 0
		.amdhsa_user_sgpr_queue_ptr 0
		.amdhsa_user_sgpr_kernarg_segment_ptr 1
		.amdhsa_user_sgpr_dispatch_id 0
		.amdhsa_user_sgpr_kernarg_preload_length 0
		.amdhsa_user_sgpr_kernarg_preload_offset 0
		.amdhsa_user_sgpr_private_segment_size 0
		.amdhsa_wavefront_size32 1
		.amdhsa_uses_dynamic_stack 0
		.amdhsa_enable_private_segment 0
		.amdhsa_system_sgpr_workgroup_id_x 1
		.amdhsa_system_sgpr_workgroup_id_y 0
		.amdhsa_system_sgpr_workgroup_id_z 0
		.amdhsa_system_sgpr_workgroup_info 0
		.amdhsa_system_vgpr_workitem_id 0
		.amdhsa_next_free_vgpr 1
		.amdhsa_next_free_sgpr 1
		.amdhsa_named_barrier_count 0
		.amdhsa_reserve_vcc 0
		.amdhsa_float_round_mode_32 0
		.amdhsa_float_round_mode_16_64 0
		.amdhsa_float_denorm_mode_32 3
		.amdhsa_float_denorm_mode_16_64 3
		.amdhsa_fp16_overflow 0
		.amdhsa_memory_ordered 1
		.amdhsa_forward_progress 1
		.amdhsa_inst_pref_size 0
		.amdhsa_round_robin_scheduling 0
		.amdhsa_exception_fp_ieee_invalid_op 0
		.amdhsa_exception_fp_denorm_src 0
		.amdhsa_exception_fp_ieee_div_zero 0
		.amdhsa_exception_fp_ieee_overflow 0
		.amdhsa_exception_fp_ieee_underflow 0
		.amdhsa_exception_fp_ieee_inexact 0
		.amdhsa_exception_int_div_zero 0
	.end_amdhsa_kernel
	.section	.text._ZN7rocprim17ROCPRIM_400000_NS6detail17trampoline_kernelINS0_14default_configENS1_21merge_config_selectorINS0_5tupleIJttEEENS0_10empty_typeEEEZNS1_10merge_implIS3_NS0_12zip_iteratorINS5_IJN6thrust23THRUST_200600_302600_NS6detail15normal_iteratorINSC_10device_ptrIKtEEEESI_EEEEESK_NSA_INS5_IJNSE_INSF_ItEEEESM_EEEEEPS7_SP_SP_NSC_11hip_rocprim7__merge17predicate_wrapperIttNSC_4lessItEEEEEE10hipError_tPvRmT0_T1_T2_T3_T4_T5_mmT6_P12ihipStream_tbEUlT_E0_NS1_11comp_targetILNS1_3genE8ELNS1_11target_archE1030ELNS1_3gpuE2ELNS1_3repE0EEENS1_30default_config_static_selectorELNS0_4arch9wavefront6targetE0EEEvS10_,"axG",@progbits,_ZN7rocprim17ROCPRIM_400000_NS6detail17trampoline_kernelINS0_14default_configENS1_21merge_config_selectorINS0_5tupleIJttEEENS0_10empty_typeEEEZNS1_10merge_implIS3_NS0_12zip_iteratorINS5_IJN6thrust23THRUST_200600_302600_NS6detail15normal_iteratorINSC_10device_ptrIKtEEEESI_EEEEESK_NSA_INS5_IJNSE_INSF_ItEEEESM_EEEEEPS7_SP_SP_NSC_11hip_rocprim7__merge17predicate_wrapperIttNSC_4lessItEEEEEE10hipError_tPvRmT0_T1_T2_T3_T4_T5_mmT6_P12ihipStream_tbEUlT_E0_NS1_11comp_targetILNS1_3genE8ELNS1_11target_archE1030ELNS1_3gpuE2ELNS1_3repE0EEENS1_30default_config_static_selectorELNS0_4arch9wavefront6targetE0EEEvS10_,comdat
.Lfunc_end187:
	.size	_ZN7rocprim17ROCPRIM_400000_NS6detail17trampoline_kernelINS0_14default_configENS1_21merge_config_selectorINS0_5tupleIJttEEENS0_10empty_typeEEEZNS1_10merge_implIS3_NS0_12zip_iteratorINS5_IJN6thrust23THRUST_200600_302600_NS6detail15normal_iteratorINSC_10device_ptrIKtEEEESI_EEEEESK_NSA_INS5_IJNSE_INSF_ItEEEESM_EEEEEPS7_SP_SP_NSC_11hip_rocprim7__merge17predicate_wrapperIttNSC_4lessItEEEEEE10hipError_tPvRmT0_T1_T2_T3_T4_T5_mmT6_P12ihipStream_tbEUlT_E0_NS1_11comp_targetILNS1_3genE8ELNS1_11target_archE1030ELNS1_3gpuE2ELNS1_3repE0EEENS1_30default_config_static_selectorELNS0_4arch9wavefront6targetE0EEEvS10_, .Lfunc_end187-_ZN7rocprim17ROCPRIM_400000_NS6detail17trampoline_kernelINS0_14default_configENS1_21merge_config_selectorINS0_5tupleIJttEEENS0_10empty_typeEEEZNS1_10merge_implIS3_NS0_12zip_iteratorINS5_IJN6thrust23THRUST_200600_302600_NS6detail15normal_iteratorINSC_10device_ptrIKtEEEESI_EEEEESK_NSA_INS5_IJNSE_INSF_ItEEEESM_EEEEEPS7_SP_SP_NSC_11hip_rocprim7__merge17predicate_wrapperIttNSC_4lessItEEEEEE10hipError_tPvRmT0_T1_T2_T3_T4_T5_mmT6_P12ihipStream_tbEUlT_E0_NS1_11comp_targetILNS1_3genE8ELNS1_11target_archE1030ELNS1_3gpuE2ELNS1_3repE0EEENS1_30default_config_static_selectorELNS0_4arch9wavefront6targetE0EEEvS10_
                                        ; -- End function
	.set _ZN7rocprim17ROCPRIM_400000_NS6detail17trampoline_kernelINS0_14default_configENS1_21merge_config_selectorINS0_5tupleIJttEEENS0_10empty_typeEEEZNS1_10merge_implIS3_NS0_12zip_iteratorINS5_IJN6thrust23THRUST_200600_302600_NS6detail15normal_iteratorINSC_10device_ptrIKtEEEESI_EEEEESK_NSA_INS5_IJNSE_INSF_ItEEEESM_EEEEEPS7_SP_SP_NSC_11hip_rocprim7__merge17predicate_wrapperIttNSC_4lessItEEEEEE10hipError_tPvRmT0_T1_T2_T3_T4_T5_mmT6_P12ihipStream_tbEUlT_E0_NS1_11comp_targetILNS1_3genE8ELNS1_11target_archE1030ELNS1_3gpuE2ELNS1_3repE0EEENS1_30default_config_static_selectorELNS0_4arch9wavefront6targetE0EEEvS10_.num_vgpr, 0
	.set _ZN7rocprim17ROCPRIM_400000_NS6detail17trampoline_kernelINS0_14default_configENS1_21merge_config_selectorINS0_5tupleIJttEEENS0_10empty_typeEEEZNS1_10merge_implIS3_NS0_12zip_iteratorINS5_IJN6thrust23THRUST_200600_302600_NS6detail15normal_iteratorINSC_10device_ptrIKtEEEESI_EEEEESK_NSA_INS5_IJNSE_INSF_ItEEEESM_EEEEEPS7_SP_SP_NSC_11hip_rocprim7__merge17predicate_wrapperIttNSC_4lessItEEEEEE10hipError_tPvRmT0_T1_T2_T3_T4_T5_mmT6_P12ihipStream_tbEUlT_E0_NS1_11comp_targetILNS1_3genE8ELNS1_11target_archE1030ELNS1_3gpuE2ELNS1_3repE0EEENS1_30default_config_static_selectorELNS0_4arch9wavefront6targetE0EEEvS10_.num_agpr, 0
	.set _ZN7rocprim17ROCPRIM_400000_NS6detail17trampoline_kernelINS0_14default_configENS1_21merge_config_selectorINS0_5tupleIJttEEENS0_10empty_typeEEEZNS1_10merge_implIS3_NS0_12zip_iteratorINS5_IJN6thrust23THRUST_200600_302600_NS6detail15normal_iteratorINSC_10device_ptrIKtEEEESI_EEEEESK_NSA_INS5_IJNSE_INSF_ItEEEESM_EEEEEPS7_SP_SP_NSC_11hip_rocprim7__merge17predicate_wrapperIttNSC_4lessItEEEEEE10hipError_tPvRmT0_T1_T2_T3_T4_T5_mmT6_P12ihipStream_tbEUlT_E0_NS1_11comp_targetILNS1_3genE8ELNS1_11target_archE1030ELNS1_3gpuE2ELNS1_3repE0EEENS1_30default_config_static_selectorELNS0_4arch9wavefront6targetE0EEEvS10_.numbered_sgpr, 0
	.set _ZN7rocprim17ROCPRIM_400000_NS6detail17trampoline_kernelINS0_14default_configENS1_21merge_config_selectorINS0_5tupleIJttEEENS0_10empty_typeEEEZNS1_10merge_implIS3_NS0_12zip_iteratorINS5_IJN6thrust23THRUST_200600_302600_NS6detail15normal_iteratorINSC_10device_ptrIKtEEEESI_EEEEESK_NSA_INS5_IJNSE_INSF_ItEEEESM_EEEEEPS7_SP_SP_NSC_11hip_rocprim7__merge17predicate_wrapperIttNSC_4lessItEEEEEE10hipError_tPvRmT0_T1_T2_T3_T4_T5_mmT6_P12ihipStream_tbEUlT_E0_NS1_11comp_targetILNS1_3genE8ELNS1_11target_archE1030ELNS1_3gpuE2ELNS1_3repE0EEENS1_30default_config_static_selectorELNS0_4arch9wavefront6targetE0EEEvS10_.num_named_barrier, 0
	.set _ZN7rocprim17ROCPRIM_400000_NS6detail17trampoline_kernelINS0_14default_configENS1_21merge_config_selectorINS0_5tupleIJttEEENS0_10empty_typeEEEZNS1_10merge_implIS3_NS0_12zip_iteratorINS5_IJN6thrust23THRUST_200600_302600_NS6detail15normal_iteratorINSC_10device_ptrIKtEEEESI_EEEEESK_NSA_INS5_IJNSE_INSF_ItEEEESM_EEEEEPS7_SP_SP_NSC_11hip_rocprim7__merge17predicate_wrapperIttNSC_4lessItEEEEEE10hipError_tPvRmT0_T1_T2_T3_T4_T5_mmT6_P12ihipStream_tbEUlT_E0_NS1_11comp_targetILNS1_3genE8ELNS1_11target_archE1030ELNS1_3gpuE2ELNS1_3repE0EEENS1_30default_config_static_selectorELNS0_4arch9wavefront6targetE0EEEvS10_.private_seg_size, 0
	.set _ZN7rocprim17ROCPRIM_400000_NS6detail17trampoline_kernelINS0_14default_configENS1_21merge_config_selectorINS0_5tupleIJttEEENS0_10empty_typeEEEZNS1_10merge_implIS3_NS0_12zip_iteratorINS5_IJN6thrust23THRUST_200600_302600_NS6detail15normal_iteratorINSC_10device_ptrIKtEEEESI_EEEEESK_NSA_INS5_IJNSE_INSF_ItEEEESM_EEEEEPS7_SP_SP_NSC_11hip_rocprim7__merge17predicate_wrapperIttNSC_4lessItEEEEEE10hipError_tPvRmT0_T1_T2_T3_T4_T5_mmT6_P12ihipStream_tbEUlT_E0_NS1_11comp_targetILNS1_3genE8ELNS1_11target_archE1030ELNS1_3gpuE2ELNS1_3repE0EEENS1_30default_config_static_selectorELNS0_4arch9wavefront6targetE0EEEvS10_.uses_vcc, 0
	.set _ZN7rocprim17ROCPRIM_400000_NS6detail17trampoline_kernelINS0_14default_configENS1_21merge_config_selectorINS0_5tupleIJttEEENS0_10empty_typeEEEZNS1_10merge_implIS3_NS0_12zip_iteratorINS5_IJN6thrust23THRUST_200600_302600_NS6detail15normal_iteratorINSC_10device_ptrIKtEEEESI_EEEEESK_NSA_INS5_IJNSE_INSF_ItEEEESM_EEEEEPS7_SP_SP_NSC_11hip_rocprim7__merge17predicate_wrapperIttNSC_4lessItEEEEEE10hipError_tPvRmT0_T1_T2_T3_T4_T5_mmT6_P12ihipStream_tbEUlT_E0_NS1_11comp_targetILNS1_3genE8ELNS1_11target_archE1030ELNS1_3gpuE2ELNS1_3repE0EEENS1_30default_config_static_selectorELNS0_4arch9wavefront6targetE0EEEvS10_.uses_flat_scratch, 0
	.set _ZN7rocprim17ROCPRIM_400000_NS6detail17trampoline_kernelINS0_14default_configENS1_21merge_config_selectorINS0_5tupleIJttEEENS0_10empty_typeEEEZNS1_10merge_implIS3_NS0_12zip_iteratorINS5_IJN6thrust23THRUST_200600_302600_NS6detail15normal_iteratorINSC_10device_ptrIKtEEEESI_EEEEESK_NSA_INS5_IJNSE_INSF_ItEEEESM_EEEEEPS7_SP_SP_NSC_11hip_rocprim7__merge17predicate_wrapperIttNSC_4lessItEEEEEE10hipError_tPvRmT0_T1_T2_T3_T4_T5_mmT6_P12ihipStream_tbEUlT_E0_NS1_11comp_targetILNS1_3genE8ELNS1_11target_archE1030ELNS1_3gpuE2ELNS1_3repE0EEENS1_30default_config_static_selectorELNS0_4arch9wavefront6targetE0EEEvS10_.has_dyn_sized_stack, 0
	.set _ZN7rocprim17ROCPRIM_400000_NS6detail17trampoline_kernelINS0_14default_configENS1_21merge_config_selectorINS0_5tupleIJttEEENS0_10empty_typeEEEZNS1_10merge_implIS3_NS0_12zip_iteratorINS5_IJN6thrust23THRUST_200600_302600_NS6detail15normal_iteratorINSC_10device_ptrIKtEEEESI_EEEEESK_NSA_INS5_IJNSE_INSF_ItEEEESM_EEEEEPS7_SP_SP_NSC_11hip_rocprim7__merge17predicate_wrapperIttNSC_4lessItEEEEEE10hipError_tPvRmT0_T1_T2_T3_T4_T5_mmT6_P12ihipStream_tbEUlT_E0_NS1_11comp_targetILNS1_3genE8ELNS1_11target_archE1030ELNS1_3gpuE2ELNS1_3repE0EEENS1_30default_config_static_selectorELNS0_4arch9wavefront6targetE0EEEvS10_.has_recursion, 0
	.set _ZN7rocprim17ROCPRIM_400000_NS6detail17trampoline_kernelINS0_14default_configENS1_21merge_config_selectorINS0_5tupleIJttEEENS0_10empty_typeEEEZNS1_10merge_implIS3_NS0_12zip_iteratorINS5_IJN6thrust23THRUST_200600_302600_NS6detail15normal_iteratorINSC_10device_ptrIKtEEEESI_EEEEESK_NSA_INS5_IJNSE_INSF_ItEEEESM_EEEEEPS7_SP_SP_NSC_11hip_rocprim7__merge17predicate_wrapperIttNSC_4lessItEEEEEE10hipError_tPvRmT0_T1_T2_T3_T4_T5_mmT6_P12ihipStream_tbEUlT_E0_NS1_11comp_targetILNS1_3genE8ELNS1_11target_archE1030ELNS1_3gpuE2ELNS1_3repE0EEENS1_30default_config_static_selectorELNS0_4arch9wavefront6targetE0EEEvS10_.has_indirect_call, 0
	.section	.AMDGPU.csdata,"",@progbits
; Kernel info:
; codeLenInByte = 0
; TotalNumSgprs: 0
; NumVgprs: 0
; ScratchSize: 0
; MemoryBound: 0
; FloatMode: 240
; IeeeMode: 1
; LDSByteSize: 0 bytes/workgroup (compile time only)
; SGPRBlocks: 0
; VGPRBlocks: 0
; NumSGPRsForWavesPerEU: 1
; NumVGPRsForWavesPerEU: 1
; NamedBarCnt: 0
; Occupancy: 16
; WaveLimiterHint : 0
; COMPUTE_PGM_RSRC2:SCRATCH_EN: 0
; COMPUTE_PGM_RSRC2:USER_SGPR: 2
; COMPUTE_PGM_RSRC2:TRAP_HANDLER: 0
; COMPUTE_PGM_RSRC2:TGID_X_EN: 1
; COMPUTE_PGM_RSRC2:TGID_Y_EN: 0
; COMPUTE_PGM_RSRC2:TGID_Z_EN: 0
; COMPUTE_PGM_RSRC2:TIDIG_COMP_CNT: 0
	.section	.text._ZN7rocprim17ROCPRIM_400000_NS6detail17trampoline_kernelINS0_14default_configENS1_22reduce_config_selectorIN6thrust23THRUST_200600_302600_NS5tupleIblNS6_9null_typeES8_S8_S8_S8_S8_S8_S8_EEEEZNS1_11reduce_implILb1ES3_NS6_12zip_iteratorINS7_INS6_11hip_rocprim26transform_input_iterator_tIbNSD_35transform_pair_of_input_iterators_tIbNS6_6detail15normal_iteratorINS6_10device_ptrIKtEEEESL_NS6_8equal_toItEEEENSG_9not_fun_tINSD_8identityEEEEENSD_19counting_iterator_tIlEES8_S8_S8_S8_S8_S8_S8_S8_EEEEPS9_S9_NSD_9__find_if7functorIS9_EEEE10hipError_tPvRmT1_T2_T3_mT4_P12ihipStream_tbEUlT_E0_NS1_11comp_targetILNS1_3genE0ELNS1_11target_archE4294967295ELNS1_3gpuE0ELNS1_3repE0EEENS1_30default_config_static_selectorELNS0_4arch9wavefront6targetE0EEEvS14_,"axG",@progbits,_ZN7rocprim17ROCPRIM_400000_NS6detail17trampoline_kernelINS0_14default_configENS1_22reduce_config_selectorIN6thrust23THRUST_200600_302600_NS5tupleIblNS6_9null_typeES8_S8_S8_S8_S8_S8_S8_EEEEZNS1_11reduce_implILb1ES3_NS6_12zip_iteratorINS7_INS6_11hip_rocprim26transform_input_iterator_tIbNSD_35transform_pair_of_input_iterators_tIbNS6_6detail15normal_iteratorINS6_10device_ptrIKtEEEESL_NS6_8equal_toItEEEENSG_9not_fun_tINSD_8identityEEEEENSD_19counting_iterator_tIlEES8_S8_S8_S8_S8_S8_S8_S8_EEEEPS9_S9_NSD_9__find_if7functorIS9_EEEE10hipError_tPvRmT1_T2_T3_mT4_P12ihipStream_tbEUlT_E0_NS1_11comp_targetILNS1_3genE0ELNS1_11target_archE4294967295ELNS1_3gpuE0ELNS1_3repE0EEENS1_30default_config_static_selectorELNS0_4arch9wavefront6targetE0EEEvS14_,comdat
	.protected	_ZN7rocprim17ROCPRIM_400000_NS6detail17trampoline_kernelINS0_14default_configENS1_22reduce_config_selectorIN6thrust23THRUST_200600_302600_NS5tupleIblNS6_9null_typeES8_S8_S8_S8_S8_S8_S8_EEEEZNS1_11reduce_implILb1ES3_NS6_12zip_iteratorINS7_INS6_11hip_rocprim26transform_input_iterator_tIbNSD_35transform_pair_of_input_iterators_tIbNS6_6detail15normal_iteratorINS6_10device_ptrIKtEEEESL_NS6_8equal_toItEEEENSG_9not_fun_tINSD_8identityEEEEENSD_19counting_iterator_tIlEES8_S8_S8_S8_S8_S8_S8_S8_EEEEPS9_S9_NSD_9__find_if7functorIS9_EEEE10hipError_tPvRmT1_T2_T3_mT4_P12ihipStream_tbEUlT_E0_NS1_11comp_targetILNS1_3genE0ELNS1_11target_archE4294967295ELNS1_3gpuE0ELNS1_3repE0EEENS1_30default_config_static_selectorELNS0_4arch9wavefront6targetE0EEEvS14_ ; -- Begin function _ZN7rocprim17ROCPRIM_400000_NS6detail17trampoline_kernelINS0_14default_configENS1_22reduce_config_selectorIN6thrust23THRUST_200600_302600_NS5tupleIblNS6_9null_typeES8_S8_S8_S8_S8_S8_S8_EEEEZNS1_11reduce_implILb1ES3_NS6_12zip_iteratorINS7_INS6_11hip_rocprim26transform_input_iterator_tIbNSD_35transform_pair_of_input_iterators_tIbNS6_6detail15normal_iteratorINS6_10device_ptrIKtEEEESL_NS6_8equal_toItEEEENSG_9not_fun_tINSD_8identityEEEEENSD_19counting_iterator_tIlEES8_S8_S8_S8_S8_S8_S8_S8_EEEEPS9_S9_NSD_9__find_if7functorIS9_EEEE10hipError_tPvRmT1_T2_T3_mT4_P12ihipStream_tbEUlT_E0_NS1_11comp_targetILNS1_3genE0ELNS1_11target_archE4294967295ELNS1_3gpuE0ELNS1_3repE0EEENS1_30default_config_static_selectorELNS0_4arch9wavefront6targetE0EEEvS14_
	.globl	_ZN7rocprim17ROCPRIM_400000_NS6detail17trampoline_kernelINS0_14default_configENS1_22reduce_config_selectorIN6thrust23THRUST_200600_302600_NS5tupleIblNS6_9null_typeES8_S8_S8_S8_S8_S8_S8_EEEEZNS1_11reduce_implILb1ES3_NS6_12zip_iteratorINS7_INS6_11hip_rocprim26transform_input_iterator_tIbNSD_35transform_pair_of_input_iterators_tIbNS6_6detail15normal_iteratorINS6_10device_ptrIKtEEEESL_NS6_8equal_toItEEEENSG_9not_fun_tINSD_8identityEEEEENSD_19counting_iterator_tIlEES8_S8_S8_S8_S8_S8_S8_S8_EEEEPS9_S9_NSD_9__find_if7functorIS9_EEEE10hipError_tPvRmT1_T2_T3_mT4_P12ihipStream_tbEUlT_E0_NS1_11comp_targetILNS1_3genE0ELNS1_11target_archE4294967295ELNS1_3gpuE0ELNS1_3repE0EEENS1_30default_config_static_selectorELNS0_4arch9wavefront6targetE0EEEvS14_
	.p2align	8
	.type	_ZN7rocprim17ROCPRIM_400000_NS6detail17trampoline_kernelINS0_14default_configENS1_22reduce_config_selectorIN6thrust23THRUST_200600_302600_NS5tupleIblNS6_9null_typeES8_S8_S8_S8_S8_S8_S8_EEEEZNS1_11reduce_implILb1ES3_NS6_12zip_iteratorINS7_INS6_11hip_rocprim26transform_input_iterator_tIbNSD_35transform_pair_of_input_iterators_tIbNS6_6detail15normal_iteratorINS6_10device_ptrIKtEEEESL_NS6_8equal_toItEEEENSG_9not_fun_tINSD_8identityEEEEENSD_19counting_iterator_tIlEES8_S8_S8_S8_S8_S8_S8_S8_EEEEPS9_S9_NSD_9__find_if7functorIS9_EEEE10hipError_tPvRmT1_T2_T3_mT4_P12ihipStream_tbEUlT_E0_NS1_11comp_targetILNS1_3genE0ELNS1_11target_archE4294967295ELNS1_3gpuE0ELNS1_3repE0EEENS1_30default_config_static_selectorELNS0_4arch9wavefront6targetE0EEEvS14_,@function
_ZN7rocprim17ROCPRIM_400000_NS6detail17trampoline_kernelINS0_14default_configENS1_22reduce_config_selectorIN6thrust23THRUST_200600_302600_NS5tupleIblNS6_9null_typeES8_S8_S8_S8_S8_S8_S8_EEEEZNS1_11reduce_implILb1ES3_NS6_12zip_iteratorINS7_INS6_11hip_rocprim26transform_input_iterator_tIbNSD_35transform_pair_of_input_iterators_tIbNS6_6detail15normal_iteratorINS6_10device_ptrIKtEEEESL_NS6_8equal_toItEEEENSG_9not_fun_tINSD_8identityEEEEENSD_19counting_iterator_tIlEES8_S8_S8_S8_S8_S8_S8_S8_EEEEPS9_S9_NSD_9__find_if7functorIS9_EEEE10hipError_tPvRmT1_T2_T3_mT4_P12ihipStream_tbEUlT_E0_NS1_11comp_targetILNS1_3genE0ELNS1_11target_archE4294967295ELNS1_3gpuE0ELNS1_3repE0EEENS1_30default_config_static_selectorELNS0_4arch9wavefront6targetE0EEEvS14_: ; @_ZN7rocprim17ROCPRIM_400000_NS6detail17trampoline_kernelINS0_14default_configENS1_22reduce_config_selectorIN6thrust23THRUST_200600_302600_NS5tupleIblNS6_9null_typeES8_S8_S8_S8_S8_S8_S8_EEEEZNS1_11reduce_implILb1ES3_NS6_12zip_iteratorINS7_INS6_11hip_rocprim26transform_input_iterator_tIbNSD_35transform_pair_of_input_iterators_tIbNS6_6detail15normal_iteratorINS6_10device_ptrIKtEEEESL_NS6_8equal_toItEEEENSG_9not_fun_tINSD_8identityEEEEENSD_19counting_iterator_tIlEES8_S8_S8_S8_S8_S8_S8_S8_EEEEPS9_S9_NSD_9__find_if7functorIS9_EEEE10hipError_tPvRmT1_T2_T3_mT4_P12ihipStream_tbEUlT_E0_NS1_11comp_targetILNS1_3genE0ELNS1_11target_archE4294967295ELNS1_3gpuE0ELNS1_3repE0EEENS1_30default_config_static_selectorELNS0_4arch9wavefront6targetE0EEEvS14_
; %bb.0:
	s_clause 0x2
	s_load_b256 s[4:11], s[0:1], 0x20
	s_load_b128 s[24:27], s[0:1], 0x0
	s_load_b128 s[12:15], s[0:1], 0x40
	s_bfe_u32 s3, ttmp6, 0x4000c
	s_and_b32 s2, ttmp6, 15
	s_add_co_i32 s3, s3, 1
	s_getreg_b32 s16, hwreg(HW_REG_IB_STS2, 6, 4)
	s_mul_i32 s3, ttmp9, s3
	s_mov_b32 s23, 0
	s_add_co_i32 s20, s2, s3
	v_mbcnt_lo_u32_b32 v8, -1, 0
	s_mov_b32 s17, s23
	s_wait_kmcnt 0x0
	s_lshl_b64 s[2:3], s[6:7], 1
	s_cmp_eq_u32 s16, 0
	s_add_nc_u64 s[18:19], s[24:25], s[2:3]
	s_cselect_b32 s16, ttmp9, s20
	s_add_nc_u64 s[2:3], s[26:27], s[2:3]
	s_lshl_b32 s22, s16, 8
	s_lshr_b64 s[20:21], s[8:9], 8
	s_lshl_b64 s[24:25], s[22:23], 1
	s_add_nc_u64 s[4:5], s[4:5], s[22:23]
	s_cmp_lg_u64 s[20:21], s[16:17]
	s_add_nc_u64 s[18:19], s[18:19], s[24:25]
	s_add_nc_u64 s[20:21], s[2:3], s[24:25]
	;; [unrolled: 1-line block ×3, first 2 shown]
	s_cbranch_scc0 .LBB188_10
; %bb.1:
	s_clause 0x3
	global_load_u16 v6, v0, s[18:19] scale_offset
	global_load_u16 v7, v0, s[20:21] scale_offset
	global_load_u16 v9, v0, s[20:21] offset:256 scale_offset
	global_load_u16 v10, v0, s[18:19] offset:256 scale_offset
	s_wait_loadcnt 0x2
	v_cmp_ne_u16_e32 vcc_lo, v6, v7
	v_mov_b32_e32 v1, 0
	s_wait_loadcnt 0x0
	v_cmp_ne_u16_e64 s2, v10, v9
	s_delay_alu instid0(VALU_DEP_2) | instskip(NEXT) | instid1(VALU_DEP_1)
	v_add_nc_u64_e32 v[2:3], s[6:7], v[0:1]
	v_add_nc_u64_e32 v[4:5], 0x80, v[2:3]
	s_delay_alu instid0(VALU_DEP_1) | instskip(NEXT) | instid1(VALU_DEP_1)
	v_cndmask_b32_e32 v3, v5, v3, vcc_lo
	v_mov_b32_dpp v5, v3 quad_perm:[1,0,3,2] row_mask:0xf bank_mask:0xf
	s_delay_alu instid0(VALU_DEP_3) | instskip(SKIP_3) | instid1(VALU_DEP_2)
	v_cndmask_b32_e32 v2, v4, v2, vcc_lo
	s_or_b32 vcc_lo, vcc_lo, s2
	s_mov_b32 s2, exec_lo
	v_cndmask_b32_e64 v9, 0, 1, vcc_lo
	v_mov_b32_dpp v4, v2 quad_perm:[1,0,3,2] row_mask:0xf bank_mask:0xf
	s_delay_alu instid0(VALU_DEP_2) | instskip(NEXT) | instid1(VALU_DEP_2)
	v_mov_b32_dpp v10, v9 quad_perm:[1,0,3,2] row_mask:0xf bank_mask:0xf
	v_min_i64 v[6:7], v[2:3], v[4:5]
	s_delay_alu instid0(VALU_DEP_1) | instskip(NEXT) | instid1(VALU_DEP_2)
	v_dual_cndmask_b32 v5, v5, v7, vcc_lo :: v_dual_bitop2_b32 v10, 1, v10 bitop3:0x40
	v_cndmask_b32_e32 v4, v4, v6, vcc_lo
	s_delay_alu instid0(VALU_DEP_2) | instskip(SKIP_1) | instid1(VALU_DEP_4)
	v_cmp_eq_u32_e32 vcc_lo, 1, v10
	v_cndmask_b32_e64 v9, v9, 1, vcc_lo
	v_cndmask_b32_e32 v3, v3, v5, vcc_lo
	s_delay_alu instid0(VALU_DEP_2) | instskip(SKIP_2) | instid1(VALU_DEP_4)
	v_and_b32_e32 v10, 1, v9
	v_mov_b32_dpp v11, v9 quad_perm:[2,3,0,1] row_mask:0xf bank_mask:0xf
	v_cndmask_b32_e32 v2, v2, v4, vcc_lo
	v_mov_b32_dpp v5, v3 quad_perm:[2,3,0,1] row_mask:0xf bank_mask:0xf
	s_delay_alu instid0(VALU_DEP_4) | instskip(NEXT) | instid1(VALU_DEP_4)
	v_cmp_eq_u32_e32 vcc_lo, 1, v10
	v_and_b32_e32 v10, 1, v11
	s_delay_alu instid0(VALU_DEP_4) | instskip(NEXT) | instid1(VALU_DEP_1)
	v_mov_b32_dpp v4, v2 quad_perm:[2,3,0,1] row_mask:0xf bank_mask:0xf
	v_min_i64 v[6:7], v[2:3], v[4:5]
	s_delay_alu instid0(VALU_DEP_1) | instskip(NEXT) | instid1(VALU_DEP_4)
	v_dual_cndmask_b32 v4, v4, v6 :: v_dual_cndmask_b32 v5, v5, v7
	v_cmp_eq_u32_e32 vcc_lo, 1, v10
	s_delay_alu instid0(VALU_DEP_2) | instskip(SKIP_1) | instid1(VALU_DEP_2)
	v_dual_cndmask_b32 v3, v3, v5 :: v_dual_cndmask_b32 v2, v2, v4
	v_cndmask_b32_e64 v9, v9, 1, vcc_lo
	v_mov_b32_dpp v5, v3 row_ror:4 row_mask:0xf bank_mask:0xf
	s_delay_alu instid0(VALU_DEP_3) | instskip(NEXT) | instid1(VALU_DEP_3)
	v_mov_b32_dpp v4, v2 row_ror:4 row_mask:0xf bank_mask:0xf
	v_mov_b32_dpp v11, v9 row_ror:4 row_mask:0xf bank_mask:0xf
	s_delay_alu instid0(VALU_DEP_2) | instskip(SKIP_1) | instid1(VALU_DEP_1)
	v_min_i64 v[6:7], v[2:3], v[4:5]
	v_and_b32_e32 v10, 1, v9
	v_cmp_eq_u32_e32 vcc_lo, 1, v10
	s_delay_alu instid0(VALU_DEP_3) | instskip(SKIP_1) | instid1(VALU_DEP_1)
	v_dual_cndmask_b32 v4, v4, v6 :: v_dual_cndmask_b32 v5, v5, v7
	v_and_b32_e32 v10, 1, v11
	v_cmp_eq_u32_e32 vcc_lo, 1, v10
	s_delay_alu instid0(VALU_DEP_3) | instskip(SKIP_1) | instid1(VALU_DEP_2)
	v_dual_cndmask_b32 v2, v2, v4 :: v_dual_cndmask_b32 v3, v3, v5
	v_cndmask_b32_e64 v9, v9, 1, vcc_lo
	v_mov_b32_dpp v4, v2 row_ror:8 row_mask:0xf bank_mask:0xf
	s_delay_alu instid0(VALU_DEP_3) | instskip(NEXT) | instid1(VALU_DEP_3)
	v_mov_b32_dpp v5, v3 row_ror:8 row_mask:0xf bank_mask:0xf
	v_mov_b32_dpp v11, v9 row_ror:8 row_mask:0xf bank_mask:0xf
	s_delay_alu instid0(VALU_DEP_2) | instskip(SKIP_1) | instid1(VALU_DEP_1)
	v_min_i64 v[6:7], v[2:3], v[4:5]
	v_and_b32_e32 v10, 1, v9
	v_cmp_eq_u32_e32 vcc_lo, 1, v10
	s_delay_alu instid0(VALU_DEP_3) | instskip(SKIP_1) | instid1(VALU_DEP_1)
	v_dual_cndmask_b32 v4, v4, v6 :: v_dual_cndmask_b32 v5, v5, v7
	v_and_b32_e32 v10, 1, v11
	v_cmp_eq_u32_e32 vcc_lo, 1, v10
	s_delay_alu instid0(VALU_DEP_3)
	v_dual_cndmask_b32 v2, v2, v4 :: v_dual_cndmask_b32 v3, v3, v5
	v_cndmask_b32_e64 v9, v9, 1, vcc_lo
	ds_swizzle_b32 v4, v2 offset:swizzle(BROADCAST,32,15)
	ds_swizzle_b32 v5, v3 offset:swizzle(BROADCAST,32,15)
	;; [unrolled: 1-line block ×3, first 2 shown]
	s_wait_dscnt 0x1
	v_min_i64 v[6:7], v[2:3], v[4:5]
	v_and_b32_e32 v11, 1, v9
	s_delay_alu instid0(VALU_DEP_1) | instskip(SKIP_1) | instid1(VALU_DEP_3)
	v_cmp_eq_u32_e32 vcc_lo, 1, v11
	s_wait_dscnt 0x0
	v_dual_cndmask_b32 v5, v5, v7, vcc_lo :: v_dual_bitop2_b32 v10, 1, v10 bitop3:0x40
	s_delay_alu instid0(VALU_DEP_4) | instskip(NEXT) | instid1(VALU_DEP_2)
	v_cndmask_b32_e32 v4, v4, v6, vcc_lo
	v_cmp_eq_u32_e32 vcc_lo, 1, v10
	s_delay_alu instid0(VALU_DEP_2)
	v_dual_cndmask_b32 v3, v3, v5 :: v_dual_cndmask_b32 v2, v2, v4
	v_cndmask_b32_e64 v5, v9, 1, vcc_lo
	ds_bpermute_b32 v3, v1, v3 offset:124
	ds_bpermute_b32 v2, v1, v2 offset:124
	;; [unrolled: 1-line block ×3, first 2 shown]
	v_cmpx_eq_u32_e32 0, v8
	s_cbranch_execz .LBB188_3
; %bb.2:
	v_lshrrev_b32_e32 v1, 1, v0
	s_delay_alu instid0(VALU_DEP_1)
	v_and_b32_e32 v1, 48, v1
	s_wait_dscnt 0x0
	ds_store_b8 v1, v6
	ds_store_b64 v1, v[2:3] offset:8
.LBB188_3:
	s_or_b32 exec_lo, exec_lo, s2
	s_delay_alu instid0(SALU_CYCLE_1)
	s_mov_b32 s2, exec_lo
	s_wait_dscnt 0x0
	s_barrier_signal -1
	s_barrier_wait -1
	v_cmpx_gt_u32_e32 32, v0
	s_cbranch_execz .LBB188_9
; %bb.4:
	v_and_b32_e32 v2, 3, v8
	s_delay_alu instid0(VALU_DEP_1) | instskip(SKIP_2) | instid1(VALU_DEP_1)
	v_cmp_ne_u32_e32 vcc_lo, 3, v2
	v_lshlrev_b32_e32 v3, 4, v2
	v_add_co_ci_u32_e64 v2, null, 0, v8, vcc_lo
	v_lshlrev_b32_e32 v2, 2, v2
	ds_load_u8 v1, v3
	ds_load_b64 v[4:5], v3 offset:8
	s_wait_dscnt 0x1
	v_and_b32_e32 v3, 0xff, v1
	s_wait_dscnt 0x0
	ds_bpermute_b32 v6, v2, v4
	ds_bpermute_b32 v7, v2, v5
	;; [unrolled: 1-line block ×3, first 2 shown]
	s_wait_dscnt 0x0
	v_and_b32_e32 v2, v1, v9
	s_delay_alu instid0(VALU_DEP_1) | instskip(NEXT) | instid1(VALU_DEP_1)
	v_and_b32_e32 v2, 1, v2
	v_cmp_eq_u32_e32 vcc_lo, 1, v2
                                        ; implicit-def: $vgpr2_vgpr3
	s_and_saveexec_b32 s3, vcc_lo
	s_delay_alu instid0(SALU_CYCLE_1)
	s_xor_b32 s3, exec_lo, s3
; %bb.5:
	v_min_i64 v[2:3], v[6:7], v[4:5]
                                        ; implicit-def: $vgpr1
                                        ; implicit-def: $vgpr6_vgpr7
                                        ; implicit-def: $vgpr4_vgpr5
                                        ; implicit-def: $vgpr9
; %bb.6:
	s_or_saveexec_b32 s3, s3
	v_dual_mov_b32 v11, 1 :: v_dual_lshlrev_b32 v10, 2, v8
	s_xor_b32 exec_lo, exec_lo, s3
; %bb.7:
	v_and_b32_e32 v1, 1, v1
	s_delay_alu instid0(VALU_DEP_1) | instskip(SKIP_2) | instid1(VALU_DEP_2)
	v_cmp_eq_u32_e32 vcc_lo, 1, v1
	v_and_b32_e32 v1, 0xff, v9
	v_dual_cndmask_b32 v3, v7, v5 :: v_dual_cndmask_b32 v2, v6, v4
	v_cndmask_b32_e64 v11, v1, 1, vcc_lo
; %bb.8:
	s_or_b32 exec_lo, exec_lo, s3
	s_delay_alu instid0(VALU_DEP_1) | instskip(NEXT) | instid1(VALU_DEP_1)
	v_and_b32_e32 v6, 1, v11
	v_cmp_eq_u32_e32 vcc_lo, 1, v6
	v_or_b32_e32 v1, 8, v10
	ds_bpermute_b32 v4, v1, v2
	ds_bpermute_b32 v5, v1, v3
	s_wait_dscnt 0x0
	v_min_i64 v[12:13], v[4:5], v[2:3]
	v_cndmask_b32_e32 v3, v5, v3, vcc_lo
	ds_bpermute_b32 v1, v1, v11
	v_cndmask_b32_e32 v2, v4, v2, vcc_lo
	s_wait_dscnt 0x0
	v_bitop3_b32 v6, v11, 1, v1 bitop3:0x80
	v_cndmask_b32_e64 v1, v1, 1, vcc_lo
	s_delay_alu instid0(VALU_DEP_2) | instskip(NEXT) | instid1(VALU_DEP_2)
	v_cmp_eq_u32_e32 vcc_lo, 0, v6
	v_dual_cndmask_b32 v6, 1, v1 :: v_dual_cndmask_b32 v3, v13, v3
	v_cndmask_b32_e32 v2, v12, v2, vcc_lo
.LBB188_9:
	s_or_b32 exec_lo, exec_lo, s2
	s_load_b64 s[4:5], s[0:1], 0x58
	s_branch .LBB188_34
.LBB188_10:
                                        ; implicit-def: $vgpr2_vgpr3
                                        ; implicit-def: $vgpr6
	s_load_b64 s[4:5], s[0:1], 0x58
	s_cbranch_execz .LBB188_34
; %bb.11:
	v_mov_b64_e32 v[4:5], 0
	v_mov_b64_e32 v[2:3], 0
	v_dual_mov_b32 v7, 0 :: v_dual_mov_b32 v1, 0
	s_sub_co_i32 s22, s8, s22
	s_mov_b32 s2, exec_lo
	v_cmpx_gt_u32_e64 s22, v0
	s_cbranch_execz .LBB188_13
; %bb.12:
	s_clause 0x1
	global_load_u16 v6, v0, s[18:19] scale_offset
	global_load_u16 v9, v0, s[20:21] scale_offset
	v_mov_b32_e32 v1, 0
	s_delay_alu instid0(VALU_DEP_1)
	v_add_nc_u64_e32 v[2:3], s[6:7], v[0:1]
	s_wait_loadcnt 0x0
	v_cmp_ne_u16_e32 vcc_lo, v6, v9
	v_cndmask_b32_e64 v1, 0, 1, vcc_lo
.LBB188_13:
	s_or_b32 exec_lo, exec_lo, s2
	v_or_b32_e32 v6, 0x80, v0
	s_delay_alu instid0(VALU_DEP_1)
	v_cmp_gt_u32_e32 vcc_lo, s22, v6
	s_and_saveexec_b32 s3, vcc_lo
	s_cbranch_execz .LBB188_15
; %bb.14:
	s_clause 0x1
	global_load_u16 v9, v0, s[18:19] offset:256 scale_offset
	global_load_u16 v10, v0, s[20:21] offset:256 scale_offset
	v_mov_b32_e32 v7, 0
	s_delay_alu instid0(VALU_DEP_1) | instskip(SKIP_2) | instid1(VALU_DEP_1)
	v_add_nc_u64_e32 v[4:5], s[6:7], v[6:7]
	s_wait_loadcnt 0x0
	v_cmp_ne_u16_e64 s2, v9, v10
	v_cndmask_b32_e64 v7, 0, 1, s2
.LBB188_15:
	s_or_b32 exec_lo, exec_lo, s3
	s_delay_alu instid0(VALU_DEP_3) | instskip(NEXT) | instid1(VALU_DEP_2)
	v_min_i64 v[10:11], v[4:5], v[2:3]
	v_and_b32_e32 v6, 1, v7
	s_mov_b32 s6, exec_lo
	s_delay_alu instid0(VALU_DEP_1) | instskip(SKIP_3) | instid1(VALU_DEP_4)
	v_cmp_eq_u32_e64 s2, 1, v6
	v_and_b32_e32 v9, 1, v1
	v_and_b32_e32 v6, 0xffff, v7
	;; [unrolled: 1-line block ×3, first 2 shown]
	v_cndmask_b32_e64 v7, v3, v11, s2
	s_delay_alu instid0(VALU_DEP_4) | instskip(SKIP_2) | instid1(VALU_DEP_3)
	v_cmp_eq_u32_e64 s3, 1, v9
	v_cndmask_b32_e64 v9, v2, v10, s2
	v_cmp_ne_u32_e64 s2, 31, v8
	v_cndmask_b32_e64 v6, v6, 1, s3
	s_delay_alu instid0(VALU_DEP_3) | instskip(NEXT) | instid1(VALU_DEP_3)
	v_dual_cndmask_b32 v4, v4, v9, s3 :: v_dual_cndmask_b32 v5, v5, v7, s3
	v_add_co_ci_u32_e64 v10, null, 0, v8, s2
	s_delay_alu instid0(VALU_DEP_2) | instskip(NEXT) | instid1(VALU_DEP_2)
	v_dual_cndmask_b32 v6, v1, v6, vcc_lo :: v_dual_cndmask_b32 v2, v2, v4, vcc_lo
	v_dual_cndmask_b32 v3, v3, v5, vcc_lo :: v_dual_lshlrev_b32 v9, 2, v10
	v_and_b32_e32 v1, 0x60, v0
	s_min_u32 s3, s22, 0x80
	ds_bpermute_b32 v7, v9, v6
	ds_bpermute_b32 v4, v9, v2
	;; [unrolled: 1-line block ×3, first 2 shown]
	v_sub_nc_u32_e64 v1, s3, v1 clamp
	v_add_nc_u32_e32 v9, 1, v8
	s_delay_alu instid0(VALU_DEP_1)
	v_cmpx_lt_u32_e64 v9, v1
	s_cbranch_execz .LBB188_17
; %bb.16:
	s_wait_dscnt 0x0
	v_min_i64 v[10:11], v[4:5], v[2:3]
	v_and_b32_e32 v9, 1, v6
	s_delay_alu instid0(VALU_DEP_1) | instskip(SKIP_3) | instid1(VALU_DEP_3)
	v_cmp_eq_u32_e32 vcc_lo, 1, v9
	v_and_b32_e32 v6, v6, v7
	v_and_b32_e32 v7, 0xff, v7
	v_dual_cndmask_b32 v2, v4, v2 :: v_dual_cndmask_b32 v3, v5, v3
	v_cmp_eq_u32_e64 s2, 0, v6
	s_delay_alu instid0(VALU_DEP_3) | instskip(NEXT) | instid1(VALU_DEP_1)
	v_cndmask_b32_e64 v4, v7, 1, vcc_lo
	v_dual_cndmask_b32 v6, 1, v4, s2 :: v_dual_cndmask_b32 v3, v11, v3, s2
	s_delay_alu instid0(VALU_DEP_4)
	v_cndmask_b32_e64 v2, v10, v2, s2
.LBB188_17:
	s_or_b32 exec_lo, exec_lo, s6
	v_cmp_gt_u32_e32 vcc_lo, 30, v8
	v_add_nc_u32_e32 v9, 2, v8
	s_mov_b32 s6, exec_lo
	s_wait_dscnt 0x1
	v_cndmask_b32_e64 v4, 0, 2, vcc_lo
	s_wait_dscnt 0x0
	s_delay_alu instid0(VALU_DEP_1)
	v_add_lshl_u32 v5, v4, v8, 2
	ds_bpermute_b32 v7, v5, v6
	ds_bpermute_b32 v4, v5, v2
	ds_bpermute_b32 v5, v5, v3
	v_cmpx_lt_u32_e64 v9, v1
	s_cbranch_execz .LBB188_19
; %bb.18:
	s_wait_dscnt 0x0
	v_min_i64 v[10:11], v[4:5], v[2:3]
	v_and_b32_e32 v9, 1, v6
	v_bitop3_b32 v6, v6, 1, v7 bitop3:0x80
	v_and_b32_e32 v7, 0xff, v7
	s_delay_alu instid0(VALU_DEP_3) | instskip(NEXT) | instid1(VALU_DEP_3)
	v_cmp_eq_u32_e32 vcc_lo, 1, v9
	v_cmp_eq_u32_e64 s2, 0, v6
	v_dual_cndmask_b32 v3, v5, v3 :: v_dual_cndmask_b32 v2, v4, v2
	s_delay_alu instid0(VALU_DEP_4) | instskip(NEXT) | instid1(VALU_DEP_1)
	v_cndmask_b32_e64 v4, v7, 1, vcc_lo
	v_dual_cndmask_b32 v6, 1, v4, s2 :: v_dual_cndmask_b32 v3, v11, v3, s2
	s_delay_alu instid0(VALU_DEP_3)
	v_cndmask_b32_e64 v2, v10, v2, s2
.LBB188_19:
	s_or_b32 exec_lo, exec_lo, s6
	v_cmp_gt_u32_e32 vcc_lo, 28, v8
	v_add_nc_u32_e32 v9, 4, v8
	s_mov_b32 s6, exec_lo
	s_wait_dscnt 0x1
	v_cndmask_b32_e64 v4, 0, 4, vcc_lo
	s_wait_dscnt 0x0
	s_delay_alu instid0(VALU_DEP_1)
	v_add_lshl_u32 v5, v4, v8, 2
	ds_bpermute_b32 v7, v5, v6
	ds_bpermute_b32 v4, v5, v2
	ds_bpermute_b32 v5, v5, v3
	v_cmpx_lt_u32_e64 v9, v1
	s_cbranch_execz .LBB188_21
; %bb.20:
	s_wait_dscnt 0x0
	v_min_i64 v[10:11], v[4:5], v[2:3]
	v_and_b32_e32 v9, 1, v6
	v_bitop3_b32 v6, v6, 1, v7 bitop3:0x80
	v_and_b32_e32 v7, 0xff, v7
	s_delay_alu instid0(VALU_DEP_3) | instskip(NEXT) | instid1(VALU_DEP_3)
	v_cmp_eq_u32_e32 vcc_lo, 1, v9
	v_cmp_eq_u32_e64 s2, 0, v6
	v_dual_cndmask_b32 v3, v5, v3 :: v_dual_cndmask_b32 v2, v4, v2
	s_delay_alu instid0(VALU_DEP_4) | instskip(NEXT) | instid1(VALU_DEP_1)
	v_cndmask_b32_e64 v4, v7, 1, vcc_lo
	v_dual_cndmask_b32 v6, 1, v4, s2 :: v_dual_cndmask_b32 v3, v11, v3, s2
	s_delay_alu instid0(VALU_DEP_3)
	v_cndmask_b32_e64 v2, v10, v2, s2
.LBB188_21:
	;; [unrolled: 30-line block ×3, first 2 shown]
	s_or_b32 exec_lo, exec_lo, s6
	s_wait_dscnt 0x2
	v_dual_lshlrev_b32 v7, 2, v8 :: v_dual_add_nc_u32 v10, 16, v8
	s_wait_dscnt 0x0
	s_delay_alu instid0(VALU_DEP_1) | instskip(NEXT) | instid1(VALU_DEP_2)
	v_or_b32_e32 v5, 64, v7
	v_cmp_lt_u32_e32 vcc_lo, v10, v1
	v_mov_b32_e32 v1, v6
	ds_bpermute_b32 v9, v5, v6
	ds_bpermute_b32 v4, v5, v2
	;; [unrolled: 1-line block ×3, first 2 shown]
	s_and_saveexec_b32 s6, vcc_lo
	s_cbranch_execz .LBB188_25
; %bb.24:
	s_wait_dscnt 0x0
	v_min_i64 v[10:11], v[4:5], v[2:3]
	v_and_b32_e32 v1, 1, v6
	v_bitop3_b32 v6, v6, 1, v9 bitop3:0x80
	s_delay_alu instid0(VALU_DEP_2) | instskip(NEXT) | instid1(VALU_DEP_2)
	v_cmp_eq_u32_e32 vcc_lo, 1, v1
	v_cmp_eq_u32_e64 s2, 0, v6
	v_cndmask_b32_e64 v1, v9, 1, vcc_lo
	v_dual_cndmask_b32 v3, v5, v3 :: v_dual_cndmask_b32 v2, v4, v2
	s_delay_alu instid0(VALU_DEP_2) | instskip(NEXT) | instid1(VALU_DEP_1)
	v_cndmask_b32_e64 v1, 1, v1, s2
	v_and_b32_e32 v6, 0xff, v1
	s_delay_alu instid0(VALU_DEP_3)
	v_dual_cndmask_b32 v3, v11, v3, s2 :: v_dual_cndmask_b32 v2, v10, v2, s2
.LBB188_25:
	s_or_b32 exec_lo, exec_lo, s6
	s_delay_alu instid0(SALU_CYCLE_1)
	s_mov_b32 s2, exec_lo
	v_cmpx_eq_u32_e32 0, v8
	s_cbranch_execz .LBB188_27
; %bb.26:
	s_wait_dscnt 0x1
	v_lshrrev_b32_e32 v4, 1, v0
	s_delay_alu instid0(VALU_DEP_1)
	v_and_b32_e32 v4, 48, v4
	ds_store_b8 v4, v1 offset:64
	ds_store_b64 v4, v[2:3] offset:72
.LBB188_27:
	s_or_b32 exec_lo, exec_lo, s2
	s_delay_alu instid0(SALU_CYCLE_1)
	s_mov_b32 s6, exec_lo
	s_wait_dscnt 0x0
	s_barrier_signal -1
	s_barrier_wait -1
	v_cmpx_gt_u32_e32 4, v0
	s_cbranch_execz .LBB188_33
; %bb.28:
	v_lshlrev_b32_e32 v1, 4, v8
	s_add_co_i32 s3, s3, 31
	s_mov_b32 s7, exec_lo
	s_lshr_b32 s3, s3, 5
	ds_load_u8 v9, v1 offset:64
	ds_load_b64 v[2:3], v1 offset:72
	v_and_b32_e32 v1, 3, v8
	s_delay_alu instid0(VALU_DEP_1) | instskip(SKIP_2) | instid1(VALU_DEP_1)
	v_cmp_ne_u32_e32 vcc_lo, 3, v1
	v_add_nc_u32_e32 v10, 1, v1
	v_add_co_ci_u32_e64 v4, null, 0, v8, vcc_lo
	v_lshlrev_b32_e32 v5, 2, v4
	s_wait_dscnt 0x1
	v_and_b32_e32 v6, 0xff, v9
	s_wait_dscnt 0x0
	ds_bpermute_b32 v4, v5, v2
	ds_bpermute_b32 v8, v5, v6
	;; [unrolled: 1-line block ×3, first 2 shown]
	v_cmpx_gt_u32_e64 s3, v10
	s_cbranch_execz .LBB188_30
; %bb.29:
	s_wait_dscnt 0x0
	v_min_i64 v[10:11], v[4:5], v[2:3]
	v_and_b32_e32 v9, 1, v9
	v_bitop3_b32 v6, v6, 1, v8 bitop3:0x80
	v_and_b32_e32 v8, 0xff, v8
	s_delay_alu instid0(VALU_DEP_3) | instskip(NEXT) | instid1(VALU_DEP_3)
	v_cmp_eq_u32_e32 vcc_lo, 1, v9
	v_cmp_eq_u32_e64 s2, 0, v6
	v_dual_cndmask_b32 v2, v4, v2 :: v_dual_cndmask_b32 v3, v5, v3
	s_delay_alu instid0(VALU_DEP_4) | instskip(NEXT) | instid1(VALU_DEP_1)
	v_cndmask_b32_e64 v4, v8, 1, vcc_lo
	v_dual_cndmask_b32 v6, 1, v4, s2 :: v_dual_cndmask_b32 v2, v10, v2, s2
	s_delay_alu instid0(VALU_DEP_3)
	v_cndmask_b32_e64 v3, v11, v3, s2
.LBB188_30:
	s_or_b32 exec_lo, exec_lo, s7
	s_wait_dscnt 0x0
	v_dual_add_nc_u32 v1, 2, v1 :: v_dual_bitop2_b32 v5, 8, v7 bitop3:0x54
	ds_bpermute_b32 v7, v5, v6
	ds_bpermute_b32 v4, v5, v2
	;; [unrolled: 1-line block ×3, first 2 shown]
	v_cmp_gt_u32_e32 vcc_lo, s3, v1
	s_and_saveexec_b32 s3, vcc_lo
	s_cbranch_execz .LBB188_32
; %bb.31:
	s_wait_dscnt 0x0
	v_min_i64 v[8:9], v[4:5], v[2:3]
	v_and_b32_e32 v1, 1, v6
	s_delay_alu instid0(VALU_DEP_1) | instskip(SKIP_2) | instid1(VALU_DEP_2)
	v_cmp_eq_u32_e32 vcc_lo, 1, v1
	v_bitop3_b32 v1, v6, 1, v7 bitop3:0x80
	v_cndmask_b32_e32 v3, v5, v3, vcc_lo
	v_cmp_eq_u32_e64 s2, 0, v1
	v_cndmask_b32_e32 v2, v4, v2, vcc_lo
	v_cndmask_b32_e64 v1, v7, 1, vcc_lo
	s_delay_alu instid0(VALU_DEP_1) | instskip(NEXT) | instid1(VALU_DEP_3)
	v_dual_cndmask_b32 v6, 1, v1, s2 :: v_dual_cndmask_b32 v3, v9, v3, s2
	v_cndmask_b32_e64 v2, v8, v2, s2
.LBB188_32:
	s_or_b32 exec_lo, exec_lo, s3
.LBB188_33:
	s_delay_alu instid0(SALU_CYCLE_1)
	s_or_b32 exec_lo, exec_lo, s6
.LBB188_34:
	s_wait_xcnt 0x0
	s_load_b32 s0, s[0:1], 0x50
	s_wait_xcnt 0x0
	s_mov_b32 s1, exec_lo
	v_cmpx_eq_u32_e32 0, v0
	s_cbranch_execz .LBB188_36
; %bb.35:
	s_mul_u64 s[2:3], s[14:15], s[12:13]
	s_delay_alu instid0(SALU_CYCLE_1)
	s_lshl_b64 s[2:3], s[2:3], 4
	s_cmp_eq_u64 s[8:9], 0
	s_add_nc_u64 s[2:3], s[10:11], s[2:3]
	s_cselect_b32 s1, -1, 0
	s_wait_kmcnt 0x0
	v_cndmask_b32_e64 v1, v3, s5, s1
	v_cndmask_b32_e64 v0, v2, s4, s1
	;; [unrolled: 1-line block ×3, first 2 shown]
	v_mov_b32_e32 v3, 0
	s_lshl_b64 s[0:1], s[16:17], 4
	s_delay_alu instid0(SALU_CYCLE_1)
	s_add_nc_u64 s[0:1], s[2:3], s[0:1]
	s_clause 0x1
	global_store_b8 v3, v2, s[0:1]
	global_store_b64 v3, v[0:1], s[0:1] offset:8
.LBB188_36:
	s_endpgm
	.section	.rodata,"a",@progbits
	.p2align	6, 0x0
	.amdhsa_kernel _ZN7rocprim17ROCPRIM_400000_NS6detail17trampoline_kernelINS0_14default_configENS1_22reduce_config_selectorIN6thrust23THRUST_200600_302600_NS5tupleIblNS6_9null_typeES8_S8_S8_S8_S8_S8_S8_EEEEZNS1_11reduce_implILb1ES3_NS6_12zip_iteratorINS7_INS6_11hip_rocprim26transform_input_iterator_tIbNSD_35transform_pair_of_input_iterators_tIbNS6_6detail15normal_iteratorINS6_10device_ptrIKtEEEESL_NS6_8equal_toItEEEENSG_9not_fun_tINSD_8identityEEEEENSD_19counting_iterator_tIlEES8_S8_S8_S8_S8_S8_S8_S8_EEEEPS9_S9_NSD_9__find_if7functorIS9_EEEE10hipError_tPvRmT1_T2_T3_mT4_P12ihipStream_tbEUlT_E0_NS1_11comp_targetILNS1_3genE0ELNS1_11target_archE4294967295ELNS1_3gpuE0ELNS1_3repE0EEENS1_30default_config_static_selectorELNS0_4arch9wavefront6targetE0EEEvS14_
		.amdhsa_group_segment_fixed_size 128
		.amdhsa_private_segment_fixed_size 0
		.amdhsa_kernarg_size 104
		.amdhsa_user_sgpr_count 2
		.amdhsa_user_sgpr_dispatch_ptr 0
		.amdhsa_user_sgpr_queue_ptr 0
		.amdhsa_user_sgpr_kernarg_segment_ptr 1
		.amdhsa_user_sgpr_dispatch_id 0
		.amdhsa_user_sgpr_kernarg_preload_length 0
		.amdhsa_user_sgpr_kernarg_preload_offset 0
		.amdhsa_user_sgpr_private_segment_size 0
		.amdhsa_wavefront_size32 1
		.amdhsa_uses_dynamic_stack 0
		.amdhsa_enable_private_segment 0
		.amdhsa_system_sgpr_workgroup_id_x 1
		.amdhsa_system_sgpr_workgroup_id_y 0
		.amdhsa_system_sgpr_workgroup_id_z 0
		.amdhsa_system_sgpr_workgroup_info 0
		.amdhsa_system_vgpr_workitem_id 0
		.amdhsa_next_free_vgpr 14
		.amdhsa_next_free_sgpr 28
		.amdhsa_named_barrier_count 0
		.amdhsa_reserve_vcc 1
		.amdhsa_float_round_mode_32 0
		.amdhsa_float_round_mode_16_64 0
		.amdhsa_float_denorm_mode_32 3
		.amdhsa_float_denorm_mode_16_64 3
		.amdhsa_fp16_overflow 0
		.amdhsa_memory_ordered 1
		.amdhsa_forward_progress 1
		.amdhsa_inst_pref_size 23
		.amdhsa_round_robin_scheduling 0
		.amdhsa_exception_fp_ieee_invalid_op 0
		.amdhsa_exception_fp_denorm_src 0
		.amdhsa_exception_fp_ieee_div_zero 0
		.amdhsa_exception_fp_ieee_overflow 0
		.amdhsa_exception_fp_ieee_underflow 0
		.amdhsa_exception_fp_ieee_inexact 0
		.amdhsa_exception_int_div_zero 0
	.end_amdhsa_kernel
	.section	.text._ZN7rocprim17ROCPRIM_400000_NS6detail17trampoline_kernelINS0_14default_configENS1_22reduce_config_selectorIN6thrust23THRUST_200600_302600_NS5tupleIblNS6_9null_typeES8_S8_S8_S8_S8_S8_S8_EEEEZNS1_11reduce_implILb1ES3_NS6_12zip_iteratorINS7_INS6_11hip_rocprim26transform_input_iterator_tIbNSD_35transform_pair_of_input_iterators_tIbNS6_6detail15normal_iteratorINS6_10device_ptrIKtEEEESL_NS6_8equal_toItEEEENSG_9not_fun_tINSD_8identityEEEEENSD_19counting_iterator_tIlEES8_S8_S8_S8_S8_S8_S8_S8_EEEEPS9_S9_NSD_9__find_if7functorIS9_EEEE10hipError_tPvRmT1_T2_T3_mT4_P12ihipStream_tbEUlT_E0_NS1_11comp_targetILNS1_3genE0ELNS1_11target_archE4294967295ELNS1_3gpuE0ELNS1_3repE0EEENS1_30default_config_static_selectorELNS0_4arch9wavefront6targetE0EEEvS14_,"axG",@progbits,_ZN7rocprim17ROCPRIM_400000_NS6detail17trampoline_kernelINS0_14default_configENS1_22reduce_config_selectorIN6thrust23THRUST_200600_302600_NS5tupleIblNS6_9null_typeES8_S8_S8_S8_S8_S8_S8_EEEEZNS1_11reduce_implILb1ES3_NS6_12zip_iteratorINS7_INS6_11hip_rocprim26transform_input_iterator_tIbNSD_35transform_pair_of_input_iterators_tIbNS6_6detail15normal_iteratorINS6_10device_ptrIKtEEEESL_NS6_8equal_toItEEEENSG_9not_fun_tINSD_8identityEEEEENSD_19counting_iterator_tIlEES8_S8_S8_S8_S8_S8_S8_S8_EEEEPS9_S9_NSD_9__find_if7functorIS9_EEEE10hipError_tPvRmT1_T2_T3_mT4_P12ihipStream_tbEUlT_E0_NS1_11comp_targetILNS1_3genE0ELNS1_11target_archE4294967295ELNS1_3gpuE0ELNS1_3repE0EEENS1_30default_config_static_selectorELNS0_4arch9wavefront6targetE0EEEvS14_,comdat
.Lfunc_end188:
	.size	_ZN7rocprim17ROCPRIM_400000_NS6detail17trampoline_kernelINS0_14default_configENS1_22reduce_config_selectorIN6thrust23THRUST_200600_302600_NS5tupleIblNS6_9null_typeES8_S8_S8_S8_S8_S8_S8_EEEEZNS1_11reduce_implILb1ES3_NS6_12zip_iteratorINS7_INS6_11hip_rocprim26transform_input_iterator_tIbNSD_35transform_pair_of_input_iterators_tIbNS6_6detail15normal_iteratorINS6_10device_ptrIKtEEEESL_NS6_8equal_toItEEEENSG_9not_fun_tINSD_8identityEEEEENSD_19counting_iterator_tIlEES8_S8_S8_S8_S8_S8_S8_S8_EEEEPS9_S9_NSD_9__find_if7functorIS9_EEEE10hipError_tPvRmT1_T2_T3_mT4_P12ihipStream_tbEUlT_E0_NS1_11comp_targetILNS1_3genE0ELNS1_11target_archE4294967295ELNS1_3gpuE0ELNS1_3repE0EEENS1_30default_config_static_selectorELNS0_4arch9wavefront6targetE0EEEvS14_, .Lfunc_end188-_ZN7rocprim17ROCPRIM_400000_NS6detail17trampoline_kernelINS0_14default_configENS1_22reduce_config_selectorIN6thrust23THRUST_200600_302600_NS5tupleIblNS6_9null_typeES8_S8_S8_S8_S8_S8_S8_EEEEZNS1_11reduce_implILb1ES3_NS6_12zip_iteratorINS7_INS6_11hip_rocprim26transform_input_iterator_tIbNSD_35transform_pair_of_input_iterators_tIbNS6_6detail15normal_iteratorINS6_10device_ptrIKtEEEESL_NS6_8equal_toItEEEENSG_9not_fun_tINSD_8identityEEEEENSD_19counting_iterator_tIlEES8_S8_S8_S8_S8_S8_S8_S8_EEEEPS9_S9_NSD_9__find_if7functorIS9_EEEE10hipError_tPvRmT1_T2_T3_mT4_P12ihipStream_tbEUlT_E0_NS1_11comp_targetILNS1_3genE0ELNS1_11target_archE4294967295ELNS1_3gpuE0ELNS1_3repE0EEENS1_30default_config_static_selectorELNS0_4arch9wavefront6targetE0EEEvS14_
                                        ; -- End function
	.set _ZN7rocprim17ROCPRIM_400000_NS6detail17trampoline_kernelINS0_14default_configENS1_22reduce_config_selectorIN6thrust23THRUST_200600_302600_NS5tupleIblNS6_9null_typeES8_S8_S8_S8_S8_S8_S8_EEEEZNS1_11reduce_implILb1ES3_NS6_12zip_iteratorINS7_INS6_11hip_rocprim26transform_input_iterator_tIbNSD_35transform_pair_of_input_iterators_tIbNS6_6detail15normal_iteratorINS6_10device_ptrIKtEEEESL_NS6_8equal_toItEEEENSG_9not_fun_tINSD_8identityEEEEENSD_19counting_iterator_tIlEES8_S8_S8_S8_S8_S8_S8_S8_EEEEPS9_S9_NSD_9__find_if7functorIS9_EEEE10hipError_tPvRmT1_T2_T3_mT4_P12ihipStream_tbEUlT_E0_NS1_11comp_targetILNS1_3genE0ELNS1_11target_archE4294967295ELNS1_3gpuE0ELNS1_3repE0EEENS1_30default_config_static_selectorELNS0_4arch9wavefront6targetE0EEEvS14_.num_vgpr, 14
	.set _ZN7rocprim17ROCPRIM_400000_NS6detail17trampoline_kernelINS0_14default_configENS1_22reduce_config_selectorIN6thrust23THRUST_200600_302600_NS5tupleIblNS6_9null_typeES8_S8_S8_S8_S8_S8_S8_EEEEZNS1_11reduce_implILb1ES3_NS6_12zip_iteratorINS7_INS6_11hip_rocprim26transform_input_iterator_tIbNSD_35transform_pair_of_input_iterators_tIbNS6_6detail15normal_iteratorINS6_10device_ptrIKtEEEESL_NS6_8equal_toItEEEENSG_9not_fun_tINSD_8identityEEEEENSD_19counting_iterator_tIlEES8_S8_S8_S8_S8_S8_S8_S8_EEEEPS9_S9_NSD_9__find_if7functorIS9_EEEE10hipError_tPvRmT1_T2_T3_mT4_P12ihipStream_tbEUlT_E0_NS1_11comp_targetILNS1_3genE0ELNS1_11target_archE4294967295ELNS1_3gpuE0ELNS1_3repE0EEENS1_30default_config_static_selectorELNS0_4arch9wavefront6targetE0EEEvS14_.num_agpr, 0
	.set _ZN7rocprim17ROCPRIM_400000_NS6detail17trampoline_kernelINS0_14default_configENS1_22reduce_config_selectorIN6thrust23THRUST_200600_302600_NS5tupleIblNS6_9null_typeES8_S8_S8_S8_S8_S8_S8_EEEEZNS1_11reduce_implILb1ES3_NS6_12zip_iteratorINS7_INS6_11hip_rocprim26transform_input_iterator_tIbNSD_35transform_pair_of_input_iterators_tIbNS6_6detail15normal_iteratorINS6_10device_ptrIKtEEEESL_NS6_8equal_toItEEEENSG_9not_fun_tINSD_8identityEEEEENSD_19counting_iterator_tIlEES8_S8_S8_S8_S8_S8_S8_S8_EEEEPS9_S9_NSD_9__find_if7functorIS9_EEEE10hipError_tPvRmT1_T2_T3_mT4_P12ihipStream_tbEUlT_E0_NS1_11comp_targetILNS1_3genE0ELNS1_11target_archE4294967295ELNS1_3gpuE0ELNS1_3repE0EEENS1_30default_config_static_selectorELNS0_4arch9wavefront6targetE0EEEvS14_.numbered_sgpr, 28
	.set _ZN7rocprim17ROCPRIM_400000_NS6detail17trampoline_kernelINS0_14default_configENS1_22reduce_config_selectorIN6thrust23THRUST_200600_302600_NS5tupleIblNS6_9null_typeES8_S8_S8_S8_S8_S8_S8_EEEEZNS1_11reduce_implILb1ES3_NS6_12zip_iteratorINS7_INS6_11hip_rocprim26transform_input_iterator_tIbNSD_35transform_pair_of_input_iterators_tIbNS6_6detail15normal_iteratorINS6_10device_ptrIKtEEEESL_NS6_8equal_toItEEEENSG_9not_fun_tINSD_8identityEEEEENSD_19counting_iterator_tIlEES8_S8_S8_S8_S8_S8_S8_S8_EEEEPS9_S9_NSD_9__find_if7functorIS9_EEEE10hipError_tPvRmT1_T2_T3_mT4_P12ihipStream_tbEUlT_E0_NS1_11comp_targetILNS1_3genE0ELNS1_11target_archE4294967295ELNS1_3gpuE0ELNS1_3repE0EEENS1_30default_config_static_selectorELNS0_4arch9wavefront6targetE0EEEvS14_.num_named_barrier, 0
	.set _ZN7rocprim17ROCPRIM_400000_NS6detail17trampoline_kernelINS0_14default_configENS1_22reduce_config_selectorIN6thrust23THRUST_200600_302600_NS5tupleIblNS6_9null_typeES8_S8_S8_S8_S8_S8_S8_EEEEZNS1_11reduce_implILb1ES3_NS6_12zip_iteratorINS7_INS6_11hip_rocprim26transform_input_iterator_tIbNSD_35transform_pair_of_input_iterators_tIbNS6_6detail15normal_iteratorINS6_10device_ptrIKtEEEESL_NS6_8equal_toItEEEENSG_9not_fun_tINSD_8identityEEEEENSD_19counting_iterator_tIlEES8_S8_S8_S8_S8_S8_S8_S8_EEEEPS9_S9_NSD_9__find_if7functorIS9_EEEE10hipError_tPvRmT1_T2_T3_mT4_P12ihipStream_tbEUlT_E0_NS1_11comp_targetILNS1_3genE0ELNS1_11target_archE4294967295ELNS1_3gpuE0ELNS1_3repE0EEENS1_30default_config_static_selectorELNS0_4arch9wavefront6targetE0EEEvS14_.private_seg_size, 0
	.set _ZN7rocprim17ROCPRIM_400000_NS6detail17trampoline_kernelINS0_14default_configENS1_22reduce_config_selectorIN6thrust23THRUST_200600_302600_NS5tupleIblNS6_9null_typeES8_S8_S8_S8_S8_S8_S8_EEEEZNS1_11reduce_implILb1ES3_NS6_12zip_iteratorINS7_INS6_11hip_rocprim26transform_input_iterator_tIbNSD_35transform_pair_of_input_iterators_tIbNS6_6detail15normal_iteratorINS6_10device_ptrIKtEEEESL_NS6_8equal_toItEEEENSG_9not_fun_tINSD_8identityEEEEENSD_19counting_iterator_tIlEES8_S8_S8_S8_S8_S8_S8_S8_EEEEPS9_S9_NSD_9__find_if7functorIS9_EEEE10hipError_tPvRmT1_T2_T3_mT4_P12ihipStream_tbEUlT_E0_NS1_11comp_targetILNS1_3genE0ELNS1_11target_archE4294967295ELNS1_3gpuE0ELNS1_3repE0EEENS1_30default_config_static_selectorELNS0_4arch9wavefront6targetE0EEEvS14_.uses_vcc, 1
	.set _ZN7rocprim17ROCPRIM_400000_NS6detail17trampoline_kernelINS0_14default_configENS1_22reduce_config_selectorIN6thrust23THRUST_200600_302600_NS5tupleIblNS6_9null_typeES8_S8_S8_S8_S8_S8_S8_EEEEZNS1_11reduce_implILb1ES3_NS6_12zip_iteratorINS7_INS6_11hip_rocprim26transform_input_iterator_tIbNSD_35transform_pair_of_input_iterators_tIbNS6_6detail15normal_iteratorINS6_10device_ptrIKtEEEESL_NS6_8equal_toItEEEENSG_9not_fun_tINSD_8identityEEEEENSD_19counting_iterator_tIlEES8_S8_S8_S8_S8_S8_S8_S8_EEEEPS9_S9_NSD_9__find_if7functorIS9_EEEE10hipError_tPvRmT1_T2_T3_mT4_P12ihipStream_tbEUlT_E0_NS1_11comp_targetILNS1_3genE0ELNS1_11target_archE4294967295ELNS1_3gpuE0ELNS1_3repE0EEENS1_30default_config_static_selectorELNS0_4arch9wavefront6targetE0EEEvS14_.uses_flat_scratch, 0
	.set _ZN7rocprim17ROCPRIM_400000_NS6detail17trampoline_kernelINS0_14default_configENS1_22reduce_config_selectorIN6thrust23THRUST_200600_302600_NS5tupleIblNS6_9null_typeES8_S8_S8_S8_S8_S8_S8_EEEEZNS1_11reduce_implILb1ES3_NS6_12zip_iteratorINS7_INS6_11hip_rocprim26transform_input_iterator_tIbNSD_35transform_pair_of_input_iterators_tIbNS6_6detail15normal_iteratorINS6_10device_ptrIKtEEEESL_NS6_8equal_toItEEEENSG_9not_fun_tINSD_8identityEEEEENSD_19counting_iterator_tIlEES8_S8_S8_S8_S8_S8_S8_S8_EEEEPS9_S9_NSD_9__find_if7functorIS9_EEEE10hipError_tPvRmT1_T2_T3_mT4_P12ihipStream_tbEUlT_E0_NS1_11comp_targetILNS1_3genE0ELNS1_11target_archE4294967295ELNS1_3gpuE0ELNS1_3repE0EEENS1_30default_config_static_selectorELNS0_4arch9wavefront6targetE0EEEvS14_.has_dyn_sized_stack, 0
	.set _ZN7rocprim17ROCPRIM_400000_NS6detail17trampoline_kernelINS0_14default_configENS1_22reduce_config_selectorIN6thrust23THRUST_200600_302600_NS5tupleIblNS6_9null_typeES8_S8_S8_S8_S8_S8_S8_EEEEZNS1_11reduce_implILb1ES3_NS6_12zip_iteratorINS7_INS6_11hip_rocprim26transform_input_iterator_tIbNSD_35transform_pair_of_input_iterators_tIbNS6_6detail15normal_iteratorINS6_10device_ptrIKtEEEESL_NS6_8equal_toItEEEENSG_9not_fun_tINSD_8identityEEEEENSD_19counting_iterator_tIlEES8_S8_S8_S8_S8_S8_S8_S8_EEEEPS9_S9_NSD_9__find_if7functorIS9_EEEE10hipError_tPvRmT1_T2_T3_mT4_P12ihipStream_tbEUlT_E0_NS1_11comp_targetILNS1_3genE0ELNS1_11target_archE4294967295ELNS1_3gpuE0ELNS1_3repE0EEENS1_30default_config_static_selectorELNS0_4arch9wavefront6targetE0EEEvS14_.has_recursion, 0
	.set _ZN7rocprim17ROCPRIM_400000_NS6detail17trampoline_kernelINS0_14default_configENS1_22reduce_config_selectorIN6thrust23THRUST_200600_302600_NS5tupleIblNS6_9null_typeES8_S8_S8_S8_S8_S8_S8_EEEEZNS1_11reduce_implILb1ES3_NS6_12zip_iteratorINS7_INS6_11hip_rocprim26transform_input_iterator_tIbNSD_35transform_pair_of_input_iterators_tIbNS6_6detail15normal_iteratorINS6_10device_ptrIKtEEEESL_NS6_8equal_toItEEEENSG_9not_fun_tINSD_8identityEEEEENSD_19counting_iterator_tIlEES8_S8_S8_S8_S8_S8_S8_S8_EEEEPS9_S9_NSD_9__find_if7functorIS9_EEEE10hipError_tPvRmT1_T2_T3_mT4_P12ihipStream_tbEUlT_E0_NS1_11comp_targetILNS1_3genE0ELNS1_11target_archE4294967295ELNS1_3gpuE0ELNS1_3repE0EEENS1_30default_config_static_selectorELNS0_4arch9wavefront6targetE0EEEvS14_.has_indirect_call, 0
	.section	.AMDGPU.csdata,"",@progbits
; Kernel info:
; codeLenInByte = 2840
; TotalNumSgprs: 30
; NumVgprs: 14
; ScratchSize: 0
; MemoryBound: 0
; FloatMode: 240
; IeeeMode: 1
; LDSByteSize: 128 bytes/workgroup (compile time only)
; SGPRBlocks: 0
; VGPRBlocks: 0
; NumSGPRsForWavesPerEU: 30
; NumVGPRsForWavesPerEU: 14
; NamedBarCnt: 0
; Occupancy: 16
; WaveLimiterHint : 0
; COMPUTE_PGM_RSRC2:SCRATCH_EN: 0
; COMPUTE_PGM_RSRC2:USER_SGPR: 2
; COMPUTE_PGM_RSRC2:TRAP_HANDLER: 0
; COMPUTE_PGM_RSRC2:TGID_X_EN: 1
; COMPUTE_PGM_RSRC2:TGID_Y_EN: 0
; COMPUTE_PGM_RSRC2:TGID_Z_EN: 0
; COMPUTE_PGM_RSRC2:TIDIG_COMP_CNT: 0
	.section	.text._ZN7rocprim17ROCPRIM_400000_NS6detail17trampoline_kernelINS0_14default_configENS1_22reduce_config_selectorIN6thrust23THRUST_200600_302600_NS5tupleIblNS6_9null_typeES8_S8_S8_S8_S8_S8_S8_EEEEZNS1_11reduce_implILb1ES3_NS6_12zip_iteratorINS7_INS6_11hip_rocprim26transform_input_iterator_tIbNSD_35transform_pair_of_input_iterators_tIbNS6_6detail15normal_iteratorINS6_10device_ptrIKtEEEESL_NS6_8equal_toItEEEENSG_9not_fun_tINSD_8identityEEEEENSD_19counting_iterator_tIlEES8_S8_S8_S8_S8_S8_S8_S8_EEEEPS9_S9_NSD_9__find_if7functorIS9_EEEE10hipError_tPvRmT1_T2_T3_mT4_P12ihipStream_tbEUlT_E0_NS1_11comp_targetILNS1_3genE5ELNS1_11target_archE942ELNS1_3gpuE9ELNS1_3repE0EEENS1_30default_config_static_selectorELNS0_4arch9wavefront6targetE0EEEvS14_,"axG",@progbits,_ZN7rocprim17ROCPRIM_400000_NS6detail17trampoline_kernelINS0_14default_configENS1_22reduce_config_selectorIN6thrust23THRUST_200600_302600_NS5tupleIblNS6_9null_typeES8_S8_S8_S8_S8_S8_S8_EEEEZNS1_11reduce_implILb1ES3_NS6_12zip_iteratorINS7_INS6_11hip_rocprim26transform_input_iterator_tIbNSD_35transform_pair_of_input_iterators_tIbNS6_6detail15normal_iteratorINS6_10device_ptrIKtEEEESL_NS6_8equal_toItEEEENSG_9not_fun_tINSD_8identityEEEEENSD_19counting_iterator_tIlEES8_S8_S8_S8_S8_S8_S8_S8_EEEEPS9_S9_NSD_9__find_if7functorIS9_EEEE10hipError_tPvRmT1_T2_T3_mT4_P12ihipStream_tbEUlT_E0_NS1_11comp_targetILNS1_3genE5ELNS1_11target_archE942ELNS1_3gpuE9ELNS1_3repE0EEENS1_30default_config_static_selectorELNS0_4arch9wavefront6targetE0EEEvS14_,comdat
	.protected	_ZN7rocprim17ROCPRIM_400000_NS6detail17trampoline_kernelINS0_14default_configENS1_22reduce_config_selectorIN6thrust23THRUST_200600_302600_NS5tupleIblNS6_9null_typeES8_S8_S8_S8_S8_S8_S8_EEEEZNS1_11reduce_implILb1ES3_NS6_12zip_iteratorINS7_INS6_11hip_rocprim26transform_input_iterator_tIbNSD_35transform_pair_of_input_iterators_tIbNS6_6detail15normal_iteratorINS6_10device_ptrIKtEEEESL_NS6_8equal_toItEEEENSG_9not_fun_tINSD_8identityEEEEENSD_19counting_iterator_tIlEES8_S8_S8_S8_S8_S8_S8_S8_EEEEPS9_S9_NSD_9__find_if7functorIS9_EEEE10hipError_tPvRmT1_T2_T3_mT4_P12ihipStream_tbEUlT_E0_NS1_11comp_targetILNS1_3genE5ELNS1_11target_archE942ELNS1_3gpuE9ELNS1_3repE0EEENS1_30default_config_static_selectorELNS0_4arch9wavefront6targetE0EEEvS14_ ; -- Begin function _ZN7rocprim17ROCPRIM_400000_NS6detail17trampoline_kernelINS0_14default_configENS1_22reduce_config_selectorIN6thrust23THRUST_200600_302600_NS5tupleIblNS6_9null_typeES8_S8_S8_S8_S8_S8_S8_EEEEZNS1_11reduce_implILb1ES3_NS6_12zip_iteratorINS7_INS6_11hip_rocprim26transform_input_iterator_tIbNSD_35transform_pair_of_input_iterators_tIbNS6_6detail15normal_iteratorINS6_10device_ptrIKtEEEESL_NS6_8equal_toItEEEENSG_9not_fun_tINSD_8identityEEEEENSD_19counting_iterator_tIlEES8_S8_S8_S8_S8_S8_S8_S8_EEEEPS9_S9_NSD_9__find_if7functorIS9_EEEE10hipError_tPvRmT1_T2_T3_mT4_P12ihipStream_tbEUlT_E0_NS1_11comp_targetILNS1_3genE5ELNS1_11target_archE942ELNS1_3gpuE9ELNS1_3repE0EEENS1_30default_config_static_selectorELNS0_4arch9wavefront6targetE0EEEvS14_
	.globl	_ZN7rocprim17ROCPRIM_400000_NS6detail17trampoline_kernelINS0_14default_configENS1_22reduce_config_selectorIN6thrust23THRUST_200600_302600_NS5tupleIblNS6_9null_typeES8_S8_S8_S8_S8_S8_S8_EEEEZNS1_11reduce_implILb1ES3_NS6_12zip_iteratorINS7_INS6_11hip_rocprim26transform_input_iterator_tIbNSD_35transform_pair_of_input_iterators_tIbNS6_6detail15normal_iteratorINS6_10device_ptrIKtEEEESL_NS6_8equal_toItEEEENSG_9not_fun_tINSD_8identityEEEEENSD_19counting_iterator_tIlEES8_S8_S8_S8_S8_S8_S8_S8_EEEEPS9_S9_NSD_9__find_if7functorIS9_EEEE10hipError_tPvRmT1_T2_T3_mT4_P12ihipStream_tbEUlT_E0_NS1_11comp_targetILNS1_3genE5ELNS1_11target_archE942ELNS1_3gpuE9ELNS1_3repE0EEENS1_30default_config_static_selectorELNS0_4arch9wavefront6targetE0EEEvS14_
	.p2align	8
	.type	_ZN7rocprim17ROCPRIM_400000_NS6detail17trampoline_kernelINS0_14default_configENS1_22reduce_config_selectorIN6thrust23THRUST_200600_302600_NS5tupleIblNS6_9null_typeES8_S8_S8_S8_S8_S8_S8_EEEEZNS1_11reduce_implILb1ES3_NS6_12zip_iteratorINS7_INS6_11hip_rocprim26transform_input_iterator_tIbNSD_35transform_pair_of_input_iterators_tIbNS6_6detail15normal_iteratorINS6_10device_ptrIKtEEEESL_NS6_8equal_toItEEEENSG_9not_fun_tINSD_8identityEEEEENSD_19counting_iterator_tIlEES8_S8_S8_S8_S8_S8_S8_S8_EEEEPS9_S9_NSD_9__find_if7functorIS9_EEEE10hipError_tPvRmT1_T2_T3_mT4_P12ihipStream_tbEUlT_E0_NS1_11comp_targetILNS1_3genE5ELNS1_11target_archE942ELNS1_3gpuE9ELNS1_3repE0EEENS1_30default_config_static_selectorELNS0_4arch9wavefront6targetE0EEEvS14_,@function
_ZN7rocprim17ROCPRIM_400000_NS6detail17trampoline_kernelINS0_14default_configENS1_22reduce_config_selectorIN6thrust23THRUST_200600_302600_NS5tupleIblNS6_9null_typeES8_S8_S8_S8_S8_S8_S8_EEEEZNS1_11reduce_implILb1ES3_NS6_12zip_iteratorINS7_INS6_11hip_rocprim26transform_input_iterator_tIbNSD_35transform_pair_of_input_iterators_tIbNS6_6detail15normal_iteratorINS6_10device_ptrIKtEEEESL_NS6_8equal_toItEEEENSG_9not_fun_tINSD_8identityEEEEENSD_19counting_iterator_tIlEES8_S8_S8_S8_S8_S8_S8_S8_EEEEPS9_S9_NSD_9__find_if7functorIS9_EEEE10hipError_tPvRmT1_T2_T3_mT4_P12ihipStream_tbEUlT_E0_NS1_11comp_targetILNS1_3genE5ELNS1_11target_archE942ELNS1_3gpuE9ELNS1_3repE0EEENS1_30default_config_static_selectorELNS0_4arch9wavefront6targetE0EEEvS14_: ; @_ZN7rocprim17ROCPRIM_400000_NS6detail17trampoline_kernelINS0_14default_configENS1_22reduce_config_selectorIN6thrust23THRUST_200600_302600_NS5tupleIblNS6_9null_typeES8_S8_S8_S8_S8_S8_S8_EEEEZNS1_11reduce_implILb1ES3_NS6_12zip_iteratorINS7_INS6_11hip_rocprim26transform_input_iterator_tIbNSD_35transform_pair_of_input_iterators_tIbNS6_6detail15normal_iteratorINS6_10device_ptrIKtEEEESL_NS6_8equal_toItEEEENSG_9not_fun_tINSD_8identityEEEEENSD_19counting_iterator_tIlEES8_S8_S8_S8_S8_S8_S8_S8_EEEEPS9_S9_NSD_9__find_if7functorIS9_EEEE10hipError_tPvRmT1_T2_T3_mT4_P12ihipStream_tbEUlT_E0_NS1_11comp_targetILNS1_3genE5ELNS1_11target_archE942ELNS1_3gpuE9ELNS1_3repE0EEENS1_30default_config_static_selectorELNS0_4arch9wavefront6targetE0EEEvS14_
; %bb.0:
	.section	.rodata,"a",@progbits
	.p2align	6, 0x0
	.amdhsa_kernel _ZN7rocprim17ROCPRIM_400000_NS6detail17trampoline_kernelINS0_14default_configENS1_22reduce_config_selectorIN6thrust23THRUST_200600_302600_NS5tupleIblNS6_9null_typeES8_S8_S8_S8_S8_S8_S8_EEEEZNS1_11reduce_implILb1ES3_NS6_12zip_iteratorINS7_INS6_11hip_rocprim26transform_input_iterator_tIbNSD_35transform_pair_of_input_iterators_tIbNS6_6detail15normal_iteratorINS6_10device_ptrIKtEEEESL_NS6_8equal_toItEEEENSG_9not_fun_tINSD_8identityEEEEENSD_19counting_iterator_tIlEES8_S8_S8_S8_S8_S8_S8_S8_EEEEPS9_S9_NSD_9__find_if7functorIS9_EEEE10hipError_tPvRmT1_T2_T3_mT4_P12ihipStream_tbEUlT_E0_NS1_11comp_targetILNS1_3genE5ELNS1_11target_archE942ELNS1_3gpuE9ELNS1_3repE0EEENS1_30default_config_static_selectorELNS0_4arch9wavefront6targetE0EEEvS14_
		.amdhsa_group_segment_fixed_size 0
		.amdhsa_private_segment_fixed_size 0
		.amdhsa_kernarg_size 104
		.amdhsa_user_sgpr_count 2
		.amdhsa_user_sgpr_dispatch_ptr 0
		.amdhsa_user_sgpr_queue_ptr 0
		.amdhsa_user_sgpr_kernarg_segment_ptr 1
		.amdhsa_user_sgpr_dispatch_id 0
		.amdhsa_user_sgpr_kernarg_preload_length 0
		.amdhsa_user_sgpr_kernarg_preload_offset 0
		.amdhsa_user_sgpr_private_segment_size 0
		.amdhsa_wavefront_size32 1
		.amdhsa_uses_dynamic_stack 0
		.amdhsa_enable_private_segment 0
		.amdhsa_system_sgpr_workgroup_id_x 1
		.amdhsa_system_sgpr_workgroup_id_y 0
		.amdhsa_system_sgpr_workgroup_id_z 0
		.amdhsa_system_sgpr_workgroup_info 0
		.amdhsa_system_vgpr_workitem_id 0
		.amdhsa_next_free_vgpr 1
		.amdhsa_next_free_sgpr 1
		.amdhsa_named_barrier_count 0
		.amdhsa_reserve_vcc 0
		.amdhsa_float_round_mode_32 0
		.amdhsa_float_round_mode_16_64 0
		.amdhsa_float_denorm_mode_32 3
		.amdhsa_float_denorm_mode_16_64 3
		.amdhsa_fp16_overflow 0
		.amdhsa_memory_ordered 1
		.amdhsa_forward_progress 1
		.amdhsa_inst_pref_size 0
		.amdhsa_round_robin_scheduling 0
		.amdhsa_exception_fp_ieee_invalid_op 0
		.amdhsa_exception_fp_denorm_src 0
		.amdhsa_exception_fp_ieee_div_zero 0
		.amdhsa_exception_fp_ieee_overflow 0
		.amdhsa_exception_fp_ieee_underflow 0
		.amdhsa_exception_fp_ieee_inexact 0
		.amdhsa_exception_int_div_zero 0
	.end_amdhsa_kernel
	.section	.text._ZN7rocprim17ROCPRIM_400000_NS6detail17trampoline_kernelINS0_14default_configENS1_22reduce_config_selectorIN6thrust23THRUST_200600_302600_NS5tupleIblNS6_9null_typeES8_S8_S8_S8_S8_S8_S8_EEEEZNS1_11reduce_implILb1ES3_NS6_12zip_iteratorINS7_INS6_11hip_rocprim26transform_input_iterator_tIbNSD_35transform_pair_of_input_iterators_tIbNS6_6detail15normal_iteratorINS6_10device_ptrIKtEEEESL_NS6_8equal_toItEEEENSG_9not_fun_tINSD_8identityEEEEENSD_19counting_iterator_tIlEES8_S8_S8_S8_S8_S8_S8_S8_EEEEPS9_S9_NSD_9__find_if7functorIS9_EEEE10hipError_tPvRmT1_T2_T3_mT4_P12ihipStream_tbEUlT_E0_NS1_11comp_targetILNS1_3genE5ELNS1_11target_archE942ELNS1_3gpuE9ELNS1_3repE0EEENS1_30default_config_static_selectorELNS0_4arch9wavefront6targetE0EEEvS14_,"axG",@progbits,_ZN7rocprim17ROCPRIM_400000_NS6detail17trampoline_kernelINS0_14default_configENS1_22reduce_config_selectorIN6thrust23THRUST_200600_302600_NS5tupleIblNS6_9null_typeES8_S8_S8_S8_S8_S8_S8_EEEEZNS1_11reduce_implILb1ES3_NS6_12zip_iteratorINS7_INS6_11hip_rocprim26transform_input_iterator_tIbNSD_35transform_pair_of_input_iterators_tIbNS6_6detail15normal_iteratorINS6_10device_ptrIKtEEEESL_NS6_8equal_toItEEEENSG_9not_fun_tINSD_8identityEEEEENSD_19counting_iterator_tIlEES8_S8_S8_S8_S8_S8_S8_S8_EEEEPS9_S9_NSD_9__find_if7functorIS9_EEEE10hipError_tPvRmT1_T2_T3_mT4_P12ihipStream_tbEUlT_E0_NS1_11comp_targetILNS1_3genE5ELNS1_11target_archE942ELNS1_3gpuE9ELNS1_3repE0EEENS1_30default_config_static_selectorELNS0_4arch9wavefront6targetE0EEEvS14_,comdat
.Lfunc_end189:
	.size	_ZN7rocprim17ROCPRIM_400000_NS6detail17trampoline_kernelINS0_14default_configENS1_22reduce_config_selectorIN6thrust23THRUST_200600_302600_NS5tupleIblNS6_9null_typeES8_S8_S8_S8_S8_S8_S8_EEEEZNS1_11reduce_implILb1ES3_NS6_12zip_iteratorINS7_INS6_11hip_rocprim26transform_input_iterator_tIbNSD_35transform_pair_of_input_iterators_tIbNS6_6detail15normal_iteratorINS6_10device_ptrIKtEEEESL_NS6_8equal_toItEEEENSG_9not_fun_tINSD_8identityEEEEENSD_19counting_iterator_tIlEES8_S8_S8_S8_S8_S8_S8_S8_EEEEPS9_S9_NSD_9__find_if7functorIS9_EEEE10hipError_tPvRmT1_T2_T3_mT4_P12ihipStream_tbEUlT_E0_NS1_11comp_targetILNS1_3genE5ELNS1_11target_archE942ELNS1_3gpuE9ELNS1_3repE0EEENS1_30default_config_static_selectorELNS0_4arch9wavefront6targetE0EEEvS14_, .Lfunc_end189-_ZN7rocprim17ROCPRIM_400000_NS6detail17trampoline_kernelINS0_14default_configENS1_22reduce_config_selectorIN6thrust23THRUST_200600_302600_NS5tupleIblNS6_9null_typeES8_S8_S8_S8_S8_S8_S8_EEEEZNS1_11reduce_implILb1ES3_NS6_12zip_iteratorINS7_INS6_11hip_rocprim26transform_input_iterator_tIbNSD_35transform_pair_of_input_iterators_tIbNS6_6detail15normal_iteratorINS6_10device_ptrIKtEEEESL_NS6_8equal_toItEEEENSG_9not_fun_tINSD_8identityEEEEENSD_19counting_iterator_tIlEES8_S8_S8_S8_S8_S8_S8_S8_EEEEPS9_S9_NSD_9__find_if7functorIS9_EEEE10hipError_tPvRmT1_T2_T3_mT4_P12ihipStream_tbEUlT_E0_NS1_11comp_targetILNS1_3genE5ELNS1_11target_archE942ELNS1_3gpuE9ELNS1_3repE0EEENS1_30default_config_static_selectorELNS0_4arch9wavefront6targetE0EEEvS14_
                                        ; -- End function
	.set _ZN7rocprim17ROCPRIM_400000_NS6detail17trampoline_kernelINS0_14default_configENS1_22reduce_config_selectorIN6thrust23THRUST_200600_302600_NS5tupleIblNS6_9null_typeES8_S8_S8_S8_S8_S8_S8_EEEEZNS1_11reduce_implILb1ES3_NS6_12zip_iteratorINS7_INS6_11hip_rocprim26transform_input_iterator_tIbNSD_35transform_pair_of_input_iterators_tIbNS6_6detail15normal_iteratorINS6_10device_ptrIKtEEEESL_NS6_8equal_toItEEEENSG_9not_fun_tINSD_8identityEEEEENSD_19counting_iterator_tIlEES8_S8_S8_S8_S8_S8_S8_S8_EEEEPS9_S9_NSD_9__find_if7functorIS9_EEEE10hipError_tPvRmT1_T2_T3_mT4_P12ihipStream_tbEUlT_E0_NS1_11comp_targetILNS1_3genE5ELNS1_11target_archE942ELNS1_3gpuE9ELNS1_3repE0EEENS1_30default_config_static_selectorELNS0_4arch9wavefront6targetE0EEEvS14_.num_vgpr, 0
	.set _ZN7rocprim17ROCPRIM_400000_NS6detail17trampoline_kernelINS0_14default_configENS1_22reduce_config_selectorIN6thrust23THRUST_200600_302600_NS5tupleIblNS6_9null_typeES8_S8_S8_S8_S8_S8_S8_EEEEZNS1_11reduce_implILb1ES3_NS6_12zip_iteratorINS7_INS6_11hip_rocprim26transform_input_iterator_tIbNSD_35transform_pair_of_input_iterators_tIbNS6_6detail15normal_iteratorINS6_10device_ptrIKtEEEESL_NS6_8equal_toItEEEENSG_9not_fun_tINSD_8identityEEEEENSD_19counting_iterator_tIlEES8_S8_S8_S8_S8_S8_S8_S8_EEEEPS9_S9_NSD_9__find_if7functorIS9_EEEE10hipError_tPvRmT1_T2_T3_mT4_P12ihipStream_tbEUlT_E0_NS1_11comp_targetILNS1_3genE5ELNS1_11target_archE942ELNS1_3gpuE9ELNS1_3repE0EEENS1_30default_config_static_selectorELNS0_4arch9wavefront6targetE0EEEvS14_.num_agpr, 0
	.set _ZN7rocprim17ROCPRIM_400000_NS6detail17trampoline_kernelINS0_14default_configENS1_22reduce_config_selectorIN6thrust23THRUST_200600_302600_NS5tupleIblNS6_9null_typeES8_S8_S8_S8_S8_S8_S8_EEEEZNS1_11reduce_implILb1ES3_NS6_12zip_iteratorINS7_INS6_11hip_rocprim26transform_input_iterator_tIbNSD_35transform_pair_of_input_iterators_tIbNS6_6detail15normal_iteratorINS6_10device_ptrIKtEEEESL_NS6_8equal_toItEEEENSG_9not_fun_tINSD_8identityEEEEENSD_19counting_iterator_tIlEES8_S8_S8_S8_S8_S8_S8_S8_EEEEPS9_S9_NSD_9__find_if7functorIS9_EEEE10hipError_tPvRmT1_T2_T3_mT4_P12ihipStream_tbEUlT_E0_NS1_11comp_targetILNS1_3genE5ELNS1_11target_archE942ELNS1_3gpuE9ELNS1_3repE0EEENS1_30default_config_static_selectorELNS0_4arch9wavefront6targetE0EEEvS14_.numbered_sgpr, 0
	.set _ZN7rocprim17ROCPRIM_400000_NS6detail17trampoline_kernelINS0_14default_configENS1_22reduce_config_selectorIN6thrust23THRUST_200600_302600_NS5tupleIblNS6_9null_typeES8_S8_S8_S8_S8_S8_S8_EEEEZNS1_11reduce_implILb1ES3_NS6_12zip_iteratorINS7_INS6_11hip_rocprim26transform_input_iterator_tIbNSD_35transform_pair_of_input_iterators_tIbNS6_6detail15normal_iteratorINS6_10device_ptrIKtEEEESL_NS6_8equal_toItEEEENSG_9not_fun_tINSD_8identityEEEEENSD_19counting_iterator_tIlEES8_S8_S8_S8_S8_S8_S8_S8_EEEEPS9_S9_NSD_9__find_if7functorIS9_EEEE10hipError_tPvRmT1_T2_T3_mT4_P12ihipStream_tbEUlT_E0_NS1_11comp_targetILNS1_3genE5ELNS1_11target_archE942ELNS1_3gpuE9ELNS1_3repE0EEENS1_30default_config_static_selectorELNS0_4arch9wavefront6targetE0EEEvS14_.num_named_barrier, 0
	.set _ZN7rocprim17ROCPRIM_400000_NS6detail17trampoline_kernelINS0_14default_configENS1_22reduce_config_selectorIN6thrust23THRUST_200600_302600_NS5tupleIblNS6_9null_typeES8_S8_S8_S8_S8_S8_S8_EEEEZNS1_11reduce_implILb1ES3_NS6_12zip_iteratorINS7_INS6_11hip_rocprim26transform_input_iterator_tIbNSD_35transform_pair_of_input_iterators_tIbNS6_6detail15normal_iteratorINS6_10device_ptrIKtEEEESL_NS6_8equal_toItEEEENSG_9not_fun_tINSD_8identityEEEEENSD_19counting_iterator_tIlEES8_S8_S8_S8_S8_S8_S8_S8_EEEEPS9_S9_NSD_9__find_if7functorIS9_EEEE10hipError_tPvRmT1_T2_T3_mT4_P12ihipStream_tbEUlT_E0_NS1_11comp_targetILNS1_3genE5ELNS1_11target_archE942ELNS1_3gpuE9ELNS1_3repE0EEENS1_30default_config_static_selectorELNS0_4arch9wavefront6targetE0EEEvS14_.private_seg_size, 0
	.set _ZN7rocprim17ROCPRIM_400000_NS6detail17trampoline_kernelINS0_14default_configENS1_22reduce_config_selectorIN6thrust23THRUST_200600_302600_NS5tupleIblNS6_9null_typeES8_S8_S8_S8_S8_S8_S8_EEEEZNS1_11reduce_implILb1ES3_NS6_12zip_iteratorINS7_INS6_11hip_rocprim26transform_input_iterator_tIbNSD_35transform_pair_of_input_iterators_tIbNS6_6detail15normal_iteratorINS6_10device_ptrIKtEEEESL_NS6_8equal_toItEEEENSG_9not_fun_tINSD_8identityEEEEENSD_19counting_iterator_tIlEES8_S8_S8_S8_S8_S8_S8_S8_EEEEPS9_S9_NSD_9__find_if7functorIS9_EEEE10hipError_tPvRmT1_T2_T3_mT4_P12ihipStream_tbEUlT_E0_NS1_11comp_targetILNS1_3genE5ELNS1_11target_archE942ELNS1_3gpuE9ELNS1_3repE0EEENS1_30default_config_static_selectorELNS0_4arch9wavefront6targetE0EEEvS14_.uses_vcc, 0
	.set _ZN7rocprim17ROCPRIM_400000_NS6detail17trampoline_kernelINS0_14default_configENS1_22reduce_config_selectorIN6thrust23THRUST_200600_302600_NS5tupleIblNS6_9null_typeES8_S8_S8_S8_S8_S8_S8_EEEEZNS1_11reduce_implILb1ES3_NS6_12zip_iteratorINS7_INS6_11hip_rocprim26transform_input_iterator_tIbNSD_35transform_pair_of_input_iterators_tIbNS6_6detail15normal_iteratorINS6_10device_ptrIKtEEEESL_NS6_8equal_toItEEEENSG_9not_fun_tINSD_8identityEEEEENSD_19counting_iterator_tIlEES8_S8_S8_S8_S8_S8_S8_S8_EEEEPS9_S9_NSD_9__find_if7functorIS9_EEEE10hipError_tPvRmT1_T2_T3_mT4_P12ihipStream_tbEUlT_E0_NS1_11comp_targetILNS1_3genE5ELNS1_11target_archE942ELNS1_3gpuE9ELNS1_3repE0EEENS1_30default_config_static_selectorELNS0_4arch9wavefront6targetE0EEEvS14_.uses_flat_scratch, 0
	.set _ZN7rocprim17ROCPRIM_400000_NS6detail17trampoline_kernelINS0_14default_configENS1_22reduce_config_selectorIN6thrust23THRUST_200600_302600_NS5tupleIblNS6_9null_typeES8_S8_S8_S8_S8_S8_S8_EEEEZNS1_11reduce_implILb1ES3_NS6_12zip_iteratorINS7_INS6_11hip_rocprim26transform_input_iterator_tIbNSD_35transform_pair_of_input_iterators_tIbNS6_6detail15normal_iteratorINS6_10device_ptrIKtEEEESL_NS6_8equal_toItEEEENSG_9not_fun_tINSD_8identityEEEEENSD_19counting_iterator_tIlEES8_S8_S8_S8_S8_S8_S8_S8_EEEEPS9_S9_NSD_9__find_if7functorIS9_EEEE10hipError_tPvRmT1_T2_T3_mT4_P12ihipStream_tbEUlT_E0_NS1_11comp_targetILNS1_3genE5ELNS1_11target_archE942ELNS1_3gpuE9ELNS1_3repE0EEENS1_30default_config_static_selectorELNS0_4arch9wavefront6targetE0EEEvS14_.has_dyn_sized_stack, 0
	.set _ZN7rocprim17ROCPRIM_400000_NS6detail17trampoline_kernelINS0_14default_configENS1_22reduce_config_selectorIN6thrust23THRUST_200600_302600_NS5tupleIblNS6_9null_typeES8_S8_S8_S8_S8_S8_S8_EEEEZNS1_11reduce_implILb1ES3_NS6_12zip_iteratorINS7_INS6_11hip_rocprim26transform_input_iterator_tIbNSD_35transform_pair_of_input_iterators_tIbNS6_6detail15normal_iteratorINS6_10device_ptrIKtEEEESL_NS6_8equal_toItEEEENSG_9not_fun_tINSD_8identityEEEEENSD_19counting_iterator_tIlEES8_S8_S8_S8_S8_S8_S8_S8_EEEEPS9_S9_NSD_9__find_if7functorIS9_EEEE10hipError_tPvRmT1_T2_T3_mT4_P12ihipStream_tbEUlT_E0_NS1_11comp_targetILNS1_3genE5ELNS1_11target_archE942ELNS1_3gpuE9ELNS1_3repE0EEENS1_30default_config_static_selectorELNS0_4arch9wavefront6targetE0EEEvS14_.has_recursion, 0
	.set _ZN7rocprim17ROCPRIM_400000_NS6detail17trampoline_kernelINS0_14default_configENS1_22reduce_config_selectorIN6thrust23THRUST_200600_302600_NS5tupleIblNS6_9null_typeES8_S8_S8_S8_S8_S8_S8_EEEEZNS1_11reduce_implILb1ES3_NS6_12zip_iteratorINS7_INS6_11hip_rocprim26transform_input_iterator_tIbNSD_35transform_pair_of_input_iterators_tIbNS6_6detail15normal_iteratorINS6_10device_ptrIKtEEEESL_NS6_8equal_toItEEEENSG_9not_fun_tINSD_8identityEEEEENSD_19counting_iterator_tIlEES8_S8_S8_S8_S8_S8_S8_S8_EEEEPS9_S9_NSD_9__find_if7functorIS9_EEEE10hipError_tPvRmT1_T2_T3_mT4_P12ihipStream_tbEUlT_E0_NS1_11comp_targetILNS1_3genE5ELNS1_11target_archE942ELNS1_3gpuE9ELNS1_3repE0EEENS1_30default_config_static_selectorELNS0_4arch9wavefront6targetE0EEEvS14_.has_indirect_call, 0
	.section	.AMDGPU.csdata,"",@progbits
; Kernel info:
; codeLenInByte = 0
; TotalNumSgprs: 0
; NumVgprs: 0
; ScratchSize: 0
; MemoryBound: 0
; FloatMode: 240
; IeeeMode: 1
; LDSByteSize: 0 bytes/workgroup (compile time only)
; SGPRBlocks: 0
; VGPRBlocks: 0
; NumSGPRsForWavesPerEU: 1
; NumVGPRsForWavesPerEU: 1
; NamedBarCnt: 0
; Occupancy: 16
; WaveLimiterHint : 0
; COMPUTE_PGM_RSRC2:SCRATCH_EN: 0
; COMPUTE_PGM_RSRC2:USER_SGPR: 2
; COMPUTE_PGM_RSRC2:TRAP_HANDLER: 0
; COMPUTE_PGM_RSRC2:TGID_X_EN: 1
; COMPUTE_PGM_RSRC2:TGID_Y_EN: 0
; COMPUTE_PGM_RSRC2:TGID_Z_EN: 0
; COMPUTE_PGM_RSRC2:TIDIG_COMP_CNT: 0
	.section	.text._ZN7rocprim17ROCPRIM_400000_NS6detail17trampoline_kernelINS0_14default_configENS1_22reduce_config_selectorIN6thrust23THRUST_200600_302600_NS5tupleIblNS6_9null_typeES8_S8_S8_S8_S8_S8_S8_EEEEZNS1_11reduce_implILb1ES3_NS6_12zip_iteratorINS7_INS6_11hip_rocprim26transform_input_iterator_tIbNSD_35transform_pair_of_input_iterators_tIbNS6_6detail15normal_iteratorINS6_10device_ptrIKtEEEESL_NS6_8equal_toItEEEENSG_9not_fun_tINSD_8identityEEEEENSD_19counting_iterator_tIlEES8_S8_S8_S8_S8_S8_S8_S8_EEEEPS9_S9_NSD_9__find_if7functorIS9_EEEE10hipError_tPvRmT1_T2_T3_mT4_P12ihipStream_tbEUlT_E0_NS1_11comp_targetILNS1_3genE4ELNS1_11target_archE910ELNS1_3gpuE8ELNS1_3repE0EEENS1_30default_config_static_selectorELNS0_4arch9wavefront6targetE0EEEvS14_,"axG",@progbits,_ZN7rocprim17ROCPRIM_400000_NS6detail17trampoline_kernelINS0_14default_configENS1_22reduce_config_selectorIN6thrust23THRUST_200600_302600_NS5tupleIblNS6_9null_typeES8_S8_S8_S8_S8_S8_S8_EEEEZNS1_11reduce_implILb1ES3_NS6_12zip_iteratorINS7_INS6_11hip_rocprim26transform_input_iterator_tIbNSD_35transform_pair_of_input_iterators_tIbNS6_6detail15normal_iteratorINS6_10device_ptrIKtEEEESL_NS6_8equal_toItEEEENSG_9not_fun_tINSD_8identityEEEEENSD_19counting_iterator_tIlEES8_S8_S8_S8_S8_S8_S8_S8_EEEEPS9_S9_NSD_9__find_if7functorIS9_EEEE10hipError_tPvRmT1_T2_T3_mT4_P12ihipStream_tbEUlT_E0_NS1_11comp_targetILNS1_3genE4ELNS1_11target_archE910ELNS1_3gpuE8ELNS1_3repE0EEENS1_30default_config_static_selectorELNS0_4arch9wavefront6targetE0EEEvS14_,comdat
	.protected	_ZN7rocprim17ROCPRIM_400000_NS6detail17trampoline_kernelINS0_14default_configENS1_22reduce_config_selectorIN6thrust23THRUST_200600_302600_NS5tupleIblNS6_9null_typeES8_S8_S8_S8_S8_S8_S8_EEEEZNS1_11reduce_implILb1ES3_NS6_12zip_iteratorINS7_INS6_11hip_rocprim26transform_input_iterator_tIbNSD_35transform_pair_of_input_iterators_tIbNS6_6detail15normal_iteratorINS6_10device_ptrIKtEEEESL_NS6_8equal_toItEEEENSG_9not_fun_tINSD_8identityEEEEENSD_19counting_iterator_tIlEES8_S8_S8_S8_S8_S8_S8_S8_EEEEPS9_S9_NSD_9__find_if7functorIS9_EEEE10hipError_tPvRmT1_T2_T3_mT4_P12ihipStream_tbEUlT_E0_NS1_11comp_targetILNS1_3genE4ELNS1_11target_archE910ELNS1_3gpuE8ELNS1_3repE0EEENS1_30default_config_static_selectorELNS0_4arch9wavefront6targetE0EEEvS14_ ; -- Begin function _ZN7rocprim17ROCPRIM_400000_NS6detail17trampoline_kernelINS0_14default_configENS1_22reduce_config_selectorIN6thrust23THRUST_200600_302600_NS5tupleIblNS6_9null_typeES8_S8_S8_S8_S8_S8_S8_EEEEZNS1_11reduce_implILb1ES3_NS6_12zip_iteratorINS7_INS6_11hip_rocprim26transform_input_iterator_tIbNSD_35transform_pair_of_input_iterators_tIbNS6_6detail15normal_iteratorINS6_10device_ptrIKtEEEESL_NS6_8equal_toItEEEENSG_9not_fun_tINSD_8identityEEEEENSD_19counting_iterator_tIlEES8_S8_S8_S8_S8_S8_S8_S8_EEEEPS9_S9_NSD_9__find_if7functorIS9_EEEE10hipError_tPvRmT1_T2_T3_mT4_P12ihipStream_tbEUlT_E0_NS1_11comp_targetILNS1_3genE4ELNS1_11target_archE910ELNS1_3gpuE8ELNS1_3repE0EEENS1_30default_config_static_selectorELNS0_4arch9wavefront6targetE0EEEvS14_
	.globl	_ZN7rocprim17ROCPRIM_400000_NS6detail17trampoline_kernelINS0_14default_configENS1_22reduce_config_selectorIN6thrust23THRUST_200600_302600_NS5tupleIblNS6_9null_typeES8_S8_S8_S8_S8_S8_S8_EEEEZNS1_11reduce_implILb1ES3_NS6_12zip_iteratorINS7_INS6_11hip_rocprim26transform_input_iterator_tIbNSD_35transform_pair_of_input_iterators_tIbNS6_6detail15normal_iteratorINS6_10device_ptrIKtEEEESL_NS6_8equal_toItEEEENSG_9not_fun_tINSD_8identityEEEEENSD_19counting_iterator_tIlEES8_S8_S8_S8_S8_S8_S8_S8_EEEEPS9_S9_NSD_9__find_if7functorIS9_EEEE10hipError_tPvRmT1_T2_T3_mT4_P12ihipStream_tbEUlT_E0_NS1_11comp_targetILNS1_3genE4ELNS1_11target_archE910ELNS1_3gpuE8ELNS1_3repE0EEENS1_30default_config_static_selectorELNS0_4arch9wavefront6targetE0EEEvS14_
	.p2align	8
	.type	_ZN7rocprim17ROCPRIM_400000_NS6detail17trampoline_kernelINS0_14default_configENS1_22reduce_config_selectorIN6thrust23THRUST_200600_302600_NS5tupleIblNS6_9null_typeES8_S8_S8_S8_S8_S8_S8_EEEEZNS1_11reduce_implILb1ES3_NS6_12zip_iteratorINS7_INS6_11hip_rocprim26transform_input_iterator_tIbNSD_35transform_pair_of_input_iterators_tIbNS6_6detail15normal_iteratorINS6_10device_ptrIKtEEEESL_NS6_8equal_toItEEEENSG_9not_fun_tINSD_8identityEEEEENSD_19counting_iterator_tIlEES8_S8_S8_S8_S8_S8_S8_S8_EEEEPS9_S9_NSD_9__find_if7functorIS9_EEEE10hipError_tPvRmT1_T2_T3_mT4_P12ihipStream_tbEUlT_E0_NS1_11comp_targetILNS1_3genE4ELNS1_11target_archE910ELNS1_3gpuE8ELNS1_3repE0EEENS1_30default_config_static_selectorELNS0_4arch9wavefront6targetE0EEEvS14_,@function
_ZN7rocprim17ROCPRIM_400000_NS6detail17trampoline_kernelINS0_14default_configENS1_22reduce_config_selectorIN6thrust23THRUST_200600_302600_NS5tupleIblNS6_9null_typeES8_S8_S8_S8_S8_S8_S8_EEEEZNS1_11reduce_implILb1ES3_NS6_12zip_iteratorINS7_INS6_11hip_rocprim26transform_input_iterator_tIbNSD_35transform_pair_of_input_iterators_tIbNS6_6detail15normal_iteratorINS6_10device_ptrIKtEEEESL_NS6_8equal_toItEEEENSG_9not_fun_tINSD_8identityEEEEENSD_19counting_iterator_tIlEES8_S8_S8_S8_S8_S8_S8_S8_EEEEPS9_S9_NSD_9__find_if7functorIS9_EEEE10hipError_tPvRmT1_T2_T3_mT4_P12ihipStream_tbEUlT_E0_NS1_11comp_targetILNS1_3genE4ELNS1_11target_archE910ELNS1_3gpuE8ELNS1_3repE0EEENS1_30default_config_static_selectorELNS0_4arch9wavefront6targetE0EEEvS14_: ; @_ZN7rocprim17ROCPRIM_400000_NS6detail17trampoline_kernelINS0_14default_configENS1_22reduce_config_selectorIN6thrust23THRUST_200600_302600_NS5tupleIblNS6_9null_typeES8_S8_S8_S8_S8_S8_S8_EEEEZNS1_11reduce_implILb1ES3_NS6_12zip_iteratorINS7_INS6_11hip_rocprim26transform_input_iterator_tIbNSD_35transform_pair_of_input_iterators_tIbNS6_6detail15normal_iteratorINS6_10device_ptrIKtEEEESL_NS6_8equal_toItEEEENSG_9not_fun_tINSD_8identityEEEEENSD_19counting_iterator_tIlEES8_S8_S8_S8_S8_S8_S8_S8_EEEEPS9_S9_NSD_9__find_if7functorIS9_EEEE10hipError_tPvRmT1_T2_T3_mT4_P12ihipStream_tbEUlT_E0_NS1_11comp_targetILNS1_3genE4ELNS1_11target_archE910ELNS1_3gpuE8ELNS1_3repE0EEENS1_30default_config_static_selectorELNS0_4arch9wavefront6targetE0EEEvS14_
; %bb.0:
	.section	.rodata,"a",@progbits
	.p2align	6, 0x0
	.amdhsa_kernel _ZN7rocprim17ROCPRIM_400000_NS6detail17trampoline_kernelINS0_14default_configENS1_22reduce_config_selectorIN6thrust23THRUST_200600_302600_NS5tupleIblNS6_9null_typeES8_S8_S8_S8_S8_S8_S8_EEEEZNS1_11reduce_implILb1ES3_NS6_12zip_iteratorINS7_INS6_11hip_rocprim26transform_input_iterator_tIbNSD_35transform_pair_of_input_iterators_tIbNS6_6detail15normal_iteratorINS6_10device_ptrIKtEEEESL_NS6_8equal_toItEEEENSG_9not_fun_tINSD_8identityEEEEENSD_19counting_iterator_tIlEES8_S8_S8_S8_S8_S8_S8_S8_EEEEPS9_S9_NSD_9__find_if7functorIS9_EEEE10hipError_tPvRmT1_T2_T3_mT4_P12ihipStream_tbEUlT_E0_NS1_11comp_targetILNS1_3genE4ELNS1_11target_archE910ELNS1_3gpuE8ELNS1_3repE0EEENS1_30default_config_static_selectorELNS0_4arch9wavefront6targetE0EEEvS14_
		.amdhsa_group_segment_fixed_size 0
		.amdhsa_private_segment_fixed_size 0
		.amdhsa_kernarg_size 104
		.amdhsa_user_sgpr_count 2
		.amdhsa_user_sgpr_dispatch_ptr 0
		.amdhsa_user_sgpr_queue_ptr 0
		.amdhsa_user_sgpr_kernarg_segment_ptr 1
		.amdhsa_user_sgpr_dispatch_id 0
		.amdhsa_user_sgpr_kernarg_preload_length 0
		.amdhsa_user_sgpr_kernarg_preload_offset 0
		.amdhsa_user_sgpr_private_segment_size 0
		.amdhsa_wavefront_size32 1
		.amdhsa_uses_dynamic_stack 0
		.amdhsa_enable_private_segment 0
		.amdhsa_system_sgpr_workgroup_id_x 1
		.amdhsa_system_sgpr_workgroup_id_y 0
		.amdhsa_system_sgpr_workgroup_id_z 0
		.amdhsa_system_sgpr_workgroup_info 0
		.amdhsa_system_vgpr_workitem_id 0
		.amdhsa_next_free_vgpr 1
		.amdhsa_next_free_sgpr 1
		.amdhsa_named_barrier_count 0
		.amdhsa_reserve_vcc 0
		.amdhsa_float_round_mode_32 0
		.amdhsa_float_round_mode_16_64 0
		.amdhsa_float_denorm_mode_32 3
		.amdhsa_float_denorm_mode_16_64 3
		.amdhsa_fp16_overflow 0
		.amdhsa_memory_ordered 1
		.amdhsa_forward_progress 1
		.amdhsa_inst_pref_size 0
		.amdhsa_round_robin_scheduling 0
		.amdhsa_exception_fp_ieee_invalid_op 0
		.amdhsa_exception_fp_denorm_src 0
		.amdhsa_exception_fp_ieee_div_zero 0
		.amdhsa_exception_fp_ieee_overflow 0
		.amdhsa_exception_fp_ieee_underflow 0
		.amdhsa_exception_fp_ieee_inexact 0
		.amdhsa_exception_int_div_zero 0
	.end_amdhsa_kernel
	.section	.text._ZN7rocprim17ROCPRIM_400000_NS6detail17trampoline_kernelINS0_14default_configENS1_22reduce_config_selectorIN6thrust23THRUST_200600_302600_NS5tupleIblNS6_9null_typeES8_S8_S8_S8_S8_S8_S8_EEEEZNS1_11reduce_implILb1ES3_NS6_12zip_iteratorINS7_INS6_11hip_rocprim26transform_input_iterator_tIbNSD_35transform_pair_of_input_iterators_tIbNS6_6detail15normal_iteratorINS6_10device_ptrIKtEEEESL_NS6_8equal_toItEEEENSG_9not_fun_tINSD_8identityEEEEENSD_19counting_iterator_tIlEES8_S8_S8_S8_S8_S8_S8_S8_EEEEPS9_S9_NSD_9__find_if7functorIS9_EEEE10hipError_tPvRmT1_T2_T3_mT4_P12ihipStream_tbEUlT_E0_NS1_11comp_targetILNS1_3genE4ELNS1_11target_archE910ELNS1_3gpuE8ELNS1_3repE0EEENS1_30default_config_static_selectorELNS0_4arch9wavefront6targetE0EEEvS14_,"axG",@progbits,_ZN7rocprim17ROCPRIM_400000_NS6detail17trampoline_kernelINS0_14default_configENS1_22reduce_config_selectorIN6thrust23THRUST_200600_302600_NS5tupleIblNS6_9null_typeES8_S8_S8_S8_S8_S8_S8_EEEEZNS1_11reduce_implILb1ES3_NS6_12zip_iteratorINS7_INS6_11hip_rocprim26transform_input_iterator_tIbNSD_35transform_pair_of_input_iterators_tIbNS6_6detail15normal_iteratorINS6_10device_ptrIKtEEEESL_NS6_8equal_toItEEEENSG_9not_fun_tINSD_8identityEEEEENSD_19counting_iterator_tIlEES8_S8_S8_S8_S8_S8_S8_S8_EEEEPS9_S9_NSD_9__find_if7functorIS9_EEEE10hipError_tPvRmT1_T2_T3_mT4_P12ihipStream_tbEUlT_E0_NS1_11comp_targetILNS1_3genE4ELNS1_11target_archE910ELNS1_3gpuE8ELNS1_3repE0EEENS1_30default_config_static_selectorELNS0_4arch9wavefront6targetE0EEEvS14_,comdat
.Lfunc_end190:
	.size	_ZN7rocprim17ROCPRIM_400000_NS6detail17trampoline_kernelINS0_14default_configENS1_22reduce_config_selectorIN6thrust23THRUST_200600_302600_NS5tupleIblNS6_9null_typeES8_S8_S8_S8_S8_S8_S8_EEEEZNS1_11reduce_implILb1ES3_NS6_12zip_iteratorINS7_INS6_11hip_rocprim26transform_input_iterator_tIbNSD_35transform_pair_of_input_iterators_tIbNS6_6detail15normal_iteratorINS6_10device_ptrIKtEEEESL_NS6_8equal_toItEEEENSG_9not_fun_tINSD_8identityEEEEENSD_19counting_iterator_tIlEES8_S8_S8_S8_S8_S8_S8_S8_EEEEPS9_S9_NSD_9__find_if7functorIS9_EEEE10hipError_tPvRmT1_T2_T3_mT4_P12ihipStream_tbEUlT_E0_NS1_11comp_targetILNS1_3genE4ELNS1_11target_archE910ELNS1_3gpuE8ELNS1_3repE0EEENS1_30default_config_static_selectorELNS0_4arch9wavefront6targetE0EEEvS14_, .Lfunc_end190-_ZN7rocprim17ROCPRIM_400000_NS6detail17trampoline_kernelINS0_14default_configENS1_22reduce_config_selectorIN6thrust23THRUST_200600_302600_NS5tupleIblNS6_9null_typeES8_S8_S8_S8_S8_S8_S8_EEEEZNS1_11reduce_implILb1ES3_NS6_12zip_iteratorINS7_INS6_11hip_rocprim26transform_input_iterator_tIbNSD_35transform_pair_of_input_iterators_tIbNS6_6detail15normal_iteratorINS6_10device_ptrIKtEEEESL_NS6_8equal_toItEEEENSG_9not_fun_tINSD_8identityEEEEENSD_19counting_iterator_tIlEES8_S8_S8_S8_S8_S8_S8_S8_EEEEPS9_S9_NSD_9__find_if7functorIS9_EEEE10hipError_tPvRmT1_T2_T3_mT4_P12ihipStream_tbEUlT_E0_NS1_11comp_targetILNS1_3genE4ELNS1_11target_archE910ELNS1_3gpuE8ELNS1_3repE0EEENS1_30default_config_static_selectorELNS0_4arch9wavefront6targetE0EEEvS14_
                                        ; -- End function
	.set _ZN7rocprim17ROCPRIM_400000_NS6detail17trampoline_kernelINS0_14default_configENS1_22reduce_config_selectorIN6thrust23THRUST_200600_302600_NS5tupleIblNS6_9null_typeES8_S8_S8_S8_S8_S8_S8_EEEEZNS1_11reduce_implILb1ES3_NS6_12zip_iteratorINS7_INS6_11hip_rocprim26transform_input_iterator_tIbNSD_35transform_pair_of_input_iterators_tIbNS6_6detail15normal_iteratorINS6_10device_ptrIKtEEEESL_NS6_8equal_toItEEEENSG_9not_fun_tINSD_8identityEEEEENSD_19counting_iterator_tIlEES8_S8_S8_S8_S8_S8_S8_S8_EEEEPS9_S9_NSD_9__find_if7functorIS9_EEEE10hipError_tPvRmT1_T2_T3_mT4_P12ihipStream_tbEUlT_E0_NS1_11comp_targetILNS1_3genE4ELNS1_11target_archE910ELNS1_3gpuE8ELNS1_3repE0EEENS1_30default_config_static_selectorELNS0_4arch9wavefront6targetE0EEEvS14_.num_vgpr, 0
	.set _ZN7rocprim17ROCPRIM_400000_NS6detail17trampoline_kernelINS0_14default_configENS1_22reduce_config_selectorIN6thrust23THRUST_200600_302600_NS5tupleIblNS6_9null_typeES8_S8_S8_S8_S8_S8_S8_EEEEZNS1_11reduce_implILb1ES3_NS6_12zip_iteratorINS7_INS6_11hip_rocprim26transform_input_iterator_tIbNSD_35transform_pair_of_input_iterators_tIbNS6_6detail15normal_iteratorINS6_10device_ptrIKtEEEESL_NS6_8equal_toItEEEENSG_9not_fun_tINSD_8identityEEEEENSD_19counting_iterator_tIlEES8_S8_S8_S8_S8_S8_S8_S8_EEEEPS9_S9_NSD_9__find_if7functorIS9_EEEE10hipError_tPvRmT1_T2_T3_mT4_P12ihipStream_tbEUlT_E0_NS1_11comp_targetILNS1_3genE4ELNS1_11target_archE910ELNS1_3gpuE8ELNS1_3repE0EEENS1_30default_config_static_selectorELNS0_4arch9wavefront6targetE0EEEvS14_.num_agpr, 0
	.set _ZN7rocprim17ROCPRIM_400000_NS6detail17trampoline_kernelINS0_14default_configENS1_22reduce_config_selectorIN6thrust23THRUST_200600_302600_NS5tupleIblNS6_9null_typeES8_S8_S8_S8_S8_S8_S8_EEEEZNS1_11reduce_implILb1ES3_NS6_12zip_iteratorINS7_INS6_11hip_rocprim26transform_input_iterator_tIbNSD_35transform_pair_of_input_iterators_tIbNS6_6detail15normal_iteratorINS6_10device_ptrIKtEEEESL_NS6_8equal_toItEEEENSG_9not_fun_tINSD_8identityEEEEENSD_19counting_iterator_tIlEES8_S8_S8_S8_S8_S8_S8_S8_EEEEPS9_S9_NSD_9__find_if7functorIS9_EEEE10hipError_tPvRmT1_T2_T3_mT4_P12ihipStream_tbEUlT_E0_NS1_11comp_targetILNS1_3genE4ELNS1_11target_archE910ELNS1_3gpuE8ELNS1_3repE0EEENS1_30default_config_static_selectorELNS0_4arch9wavefront6targetE0EEEvS14_.numbered_sgpr, 0
	.set _ZN7rocprim17ROCPRIM_400000_NS6detail17trampoline_kernelINS0_14default_configENS1_22reduce_config_selectorIN6thrust23THRUST_200600_302600_NS5tupleIblNS6_9null_typeES8_S8_S8_S8_S8_S8_S8_EEEEZNS1_11reduce_implILb1ES3_NS6_12zip_iteratorINS7_INS6_11hip_rocprim26transform_input_iterator_tIbNSD_35transform_pair_of_input_iterators_tIbNS6_6detail15normal_iteratorINS6_10device_ptrIKtEEEESL_NS6_8equal_toItEEEENSG_9not_fun_tINSD_8identityEEEEENSD_19counting_iterator_tIlEES8_S8_S8_S8_S8_S8_S8_S8_EEEEPS9_S9_NSD_9__find_if7functorIS9_EEEE10hipError_tPvRmT1_T2_T3_mT4_P12ihipStream_tbEUlT_E0_NS1_11comp_targetILNS1_3genE4ELNS1_11target_archE910ELNS1_3gpuE8ELNS1_3repE0EEENS1_30default_config_static_selectorELNS0_4arch9wavefront6targetE0EEEvS14_.num_named_barrier, 0
	.set _ZN7rocprim17ROCPRIM_400000_NS6detail17trampoline_kernelINS0_14default_configENS1_22reduce_config_selectorIN6thrust23THRUST_200600_302600_NS5tupleIblNS6_9null_typeES8_S8_S8_S8_S8_S8_S8_EEEEZNS1_11reduce_implILb1ES3_NS6_12zip_iteratorINS7_INS6_11hip_rocprim26transform_input_iterator_tIbNSD_35transform_pair_of_input_iterators_tIbNS6_6detail15normal_iteratorINS6_10device_ptrIKtEEEESL_NS6_8equal_toItEEEENSG_9not_fun_tINSD_8identityEEEEENSD_19counting_iterator_tIlEES8_S8_S8_S8_S8_S8_S8_S8_EEEEPS9_S9_NSD_9__find_if7functorIS9_EEEE10hipError_tPvRmT1_T2_T3_mT4_P12ihipStream_tbEUlT_E0_NS1_11comp_targetILNS1_3genE4ELNS1_11target_archE910ELNS1_3gpuE8ELNS1_3repE0EEENS1_30default_config_static_selectorELNS0_4arch9wavefront6targetE0EEEvS14_.private_seg_size, 0
	.set _ZN7rocprim17ROCPRIM_400000_NS6detail17trampoline_kernelINS0_14default_configENS1_22reduce_config_selectorIN6thrust23THRUST_200600_302600_NS5tupleIblNS6_9null_typeES8_S8_S8_S8_S8_S8_S8_EEEEZNS1_11reduce_implILb1ES3_NS6_12zip_iteratorINS7_INS6_11hip_rocprim26transform_input_iterator_tIbNSD_35transform_pair_of_input_iterators_tIbNS6_6detail15normal_iteratorINS6_10device_ptrIKtEEEESL_NS6_8equal_toItEEEENSG_9not_fun_tINSD_8identityEEEEENSD_19counting_iterator_tIlEES8_S8_S8_S8_S8_S8_S8_S8_EEEEPS9_S9_NSD_9__find_if7functorIS9_EEEE10hipError_tPvRmT1_T2_T3_mT4_P12ihipStream_tbEUlT_E0_NS1_11comp_targetILNS1_3genE4ELNS1_11target_archE910ELNS1_3gpuE8ELNS1_3repE0EEENS1_30default_config_static_selectorELNS0_4arch9wavefront6targetE0EEEvS14_.uses_vcc, 0
	.set _ZN7rocprim17ROCPRIM_400000_NS6detail17trampoline_kernelINS0_14default_configENS1_22reduce_config_selectorIN6thrust23THRUST_200600_302600_NS5tupleIblNS6_9null_typeES8_S8_S8_S8_S8_S8_S8_EEEEZNS1_11reduce_implILb1ES3_NS6_12zip_iteratorINS7_INS6_11hip_rocprim26transform_input_iterator_tIbNSD_35transform_pair_of_input_iterators_tIbNS6_6detail15normal_iteratorINS6_10device_ptrIKtEEEESL_NS6_8equal_toItEEEENSG_9not_fun_tINSD_8identityEEEEENSD_19counting_iterator_tIlEES8_S8_S8_S8_S8_S8_S8_S8_EEEEPS9_S9_NSD_9__find_if7functorIS9_EEEE10hipError_tPvRmT1_T2_T3_mT4_P12ihipStream_tbEUlT_E0_NS1_11comp_targetILNS1_3genE4ELNS1_11target_archE910ELNS1_3gpuE8ELNS1_3repE0EEENS1_30default_config_static_selectorELNS0_4arch9wavefront6targetE0EEEvS14_.uses_flat_scratch, 0
	.set _ZN7rocprim17ROCPRIM_400000_NS6detail17trampoline_kernelINS0_14default_configENS1_22reduce_config_selectorIN6thrust23THRUST_200600_302600_NS5tupleIblNS6_9null_typeES8_S8_S8_S8_S8_S8_S8_EEEEZNS1_11reduce_implILb1ES3_NS6_12zip_iteratorINS7_INS6_11hip_rocprim26transform_input_iterator_tIbNSD_35transform_pair_of_input_iterators_tIbNS6_6detail15normal_iteratorINS6_10device_ptrIKtEEEESL_NS6_8equal_toItEEEENSG_9not_fun_tINSD_8identityEEEEENSD_19counting_iterator_tIlEES8_S8_S8_S8_S8_S8_S8_S8_EEEEPS9_S9_NSD_9__find_if7functorIS9_EEEE10hipError_tPvRmT1_T2_T3_mT4_P12ihipStream_tbEUlT_E0_NS1_11comp_targetILNS1_3genE4ELNS1_11target_archE910ELNS1_3gpuE8ELNS1_3repE0EEENS1_30default_config_static_selectorELNS0_4arch9wavefront6targetE0EEEvS14_.has_dyn_sized_stack, 0
	.set _ZN7rocprim17ROCPRIM_400000_NS6detail17trampoline_kernelINS0_14default_configENS1_22reduce_config_selectorIN6thrust23THRUST_200600_302600_NS5tupleIblNS6_9null_typeES8_S8_S8_S8_S8_S8_S8_EEEEZNS1_11reduce_implILb1ES3_NS6_12zip_iteratorINS7_INS6_11hip_rocprim26transform_input_iterator_tIbNSD_35transform_pair_of_input_iterators_tIbNS6_6detail15normal_iteratorINS6_10device_ptrIKtEEEESL_NS6_8equal_toItEEEENSG_9not_fun_tINSD_8identityEEEEENSD_19counting_iterator_tIlEES8_S8_S8_S8_S8_S8_S8_S8_EEEEPS9_S9_NSD_9__find_if7functorIS9_EEEE10hipError_tPvRmT1_T2_T3_mT4_P12ihipStream_tbEUlT_E0_NS1_11comp_targetILNS1_3genE4ELNS1_11target_archE910ELNS1_3gpuE8ELNS1_3repE0EEENS1_30default_config_static_selectorELNS0_4arch9wavefront6targetE0EEEvS14_.has_recursion, 0
	.set _ZN7rocprim17ROCPRIM_400000_NS6detail17trampoline_kernelINS0_14default_configENS1_22reduce_config_selectorIN6thrust23THRUST_200600_302600_NS5tupleIblNS6_9null_typeES8_S8_S8_S8_S8_S8_S8_EEEEZNS1_11reduce_implILb1ES3_NS6_12zip_iteratorINS7_INS6_11hip_rocprim26transform_input_iterator_tIbNSD_35transform_pair_of_input_iterators_tIbNS6_6detail15normal_iteratorINS6_10device_ptrIKtEEEESL_NS6_8equal_toItEEEENSG_9not_fun_tINSD_8identityEEEEENSD_19counting_iterator_tIlEES8_S8_S8_S8_S8_S8_S8_S8_EEEEPS9_S9_NSD_9__find_if7functorIS9_EEEE10hipError_tPvRmT1_T2_T3_mT4_P12ihipStream_tbEUlT_E0_NS1_11comp_targetILNS1_3genE4ELNS1_11target_archE910ELNS1_3gpuE8ELNS1_3repE0EEENS1_30default_config_static_selectorELNS0_4arch9wavefront6targetE0EEEvS14_.has_indirect_call, 0
	.section	.AMDGPU.csdata,"",@progbits
; Kernel info:
; codeLenInByte = 0
; TotalNumSgprs: 0
; NumVgprs: 0
; ScratchSize: 0
; MemoryBound: 0
; FloatMode: 240
; IeeeMode: 1
; LDSByteSize: 0 bytes/workgroup (compile time only)
; SGPRBlocks: 0
; VGPRBlocks: 0
; NumSGPRsForWavesPerEU: 1
; NumVGPRsForWavesPerEU: 1
; NamedBarCnt: 0
; Occupancy: 16
; WaveLimiterHint : 0
; COMPUTE_PGM_RSRC2:SCRATCH_EN: 0
; COMPUTE_PGM_RSRC2:USER_SGPR: 2
; COMPUTE_PGM_RSRC2:TRAP_HANDLER: 0
; COMPUTE_PGM_RSRC2:TGID_X_EN: 1
; COMPUTE_PGM_RSRC2:TGID_Y_EN: 0
; COMPUTE_PGM_RSRC2:TGID_Z_EN: 0
; COMPUTE_PGM_RSRC2:TIDIG_COMP_CNT: 0
	.section	.text._ZN7rocprim17ROCPRIM_400000_NS6detail17trampoline_kernelINS0_14default_configENS1_22reduce_config_selectorIN6thrust23THRUST_200600_302600_NS5tupleIblNS6_9null_typeES8_S8_S8_S8_S8_S8_S8_EEEEZNS1_11reduce_implILb1ES3_NS6_12zip_iteratorINS7_INS6_11hip_rocprim26transform_input_iterator_tIbNSD_35transform_pair_of_input_iterators_tIbNS6_6detail15normal_iteratorINS6_10device_ptrIKtEEEESL_NS6_8equal_toItEEEENSG_9not_fun_tINSD_8identityEEEEENSD_19counting_iterator_tIlEES8_S8_S8_S8_S8_S8_S8_S8_EEEEPS9_S9_NSD_9__find_if7functorIS9_EEEE10hipError_tPvRmT1_T2_T3_mT4_P12ihipStream_tbEUlT_E0_NS1_11comp_targetILNS1_3genE3ELNS1_11target_archE908ELNS1_3gpuE7ELNS1_3repE0EEENS1_30default_config_static_selectorELNS0_4arch9wavefront6targetE0EEEvS14_,"axG",@progbits,_ZN7rocprim17ROCPRIM_400000_NS6detail17trampoline_kernelINS0_14default_configENS1_22reduce_config_selectorIN6thrust23THRUST_200600_302600_NS5tupleIblNS6_9null_typeES8_S8_S8_S8_S8_S8_S8_EEEEZNS1_11reduce_implILb1ES3_NS6_12zip_iteratorINS7_INS6_11hip_rocprim26transform_input_iterator_tIbNSD_35transform_pair_of_input_iterators_tIbNS6_6detail15normal_iteratorINS6_10device_ptrIKtEEEESL_NS6_8equal_toItEEEENSG_9not_fun_tINSD_8identityEEEEENSD_19counting_iterator_tIlEES8_S8_S8_S8_S8_S8_S8_S8_EEEEPS9_S9_NSD_9__find_if7functorIS9_EEEE10hipError_tPvRmT1_T2_T3_mT4_P12ihipStream_tbEUlT_E0_NS1_11comp_targetILNS1_3genE3ELNS1_11target_archE908ELNS1_3gpuE7ELNS1_3repE0EEENS1_30default_config_static_selectorELNS0_4arch9wavefront6targetE0EEEvS14_,comdat
	.protected	_ZN7rocprim17ROCPRIM_400000_NS6detail17trampoline_kernelINS0_14default_configENS1_22reduce_config_selectorIN6thrust23THRUST_200600_302600_NS5tupleIblNS6_9null_typeES8_S8_S8_S8_S8_S8_S8_EEEEZNS1_11reduce_implILb1ES3_NS6_12zip_iteratorINS7_INS6_11hip_rocprim26transform_input_iterator_tIbNSD_35transform_pair_of_input_iterators_tIbNS6_6detail15normal_iteratorINS6_10device_ptrIKtEEEESL_NS6_8equal_toItEEEENSG_9not_fun_tINSD_8identityEEEEENSD_19counting_iterator_tIlEES8_S8_S8_S8_S8_S8_S8_S8_EEEEPS9_S9_NSD_9__find_if7functorIS9_EEEE10hipError_tPvRmT1_T2_T3_mT4_P12ihipStream_tbEUlT_E0_NS1_11comp_targetILNS1_3genE3ELNS1_11target_archE908ELNS1_3gpuE7ELNS1_3repE0EEENS1_30default_config_static_selectorELNS0_4arch9wavefront6targetE0EEEvS14_ ; -- Begin function _ZN7rocprim17ROCPRIM_400000_NS6detail17trampoline_kernelINS0_14default_configENS1_22reduce_config_selectorIN6thrust23THRUST_200600_302600_NS5tupleIblNS6_9null_typeES8_S8_S8_S8_S8_S8_S8_EEEEZNS1_11reduce_implILb1ES3_NS6_12zip_iteratorINS7_INS6_11hip_rocprim26transform_input_iterator_tIbNSD_35transform_pair_of_input_iterators_tIbNS6_6detail15normal_iteratorINS6_10device_ptrIKtEEEESL_NS6_8equal_toItEEEENSG_9not_fun_tINSD_8identityEEEEENSD_19counting_iterator_tIlEES8_S8_S8_S8_S8_S8_S8_S8_EEEEPS9_S9_NSD_9__find_if7functorIS9_EEEE10hipError_tPvRmT1_T2_T3_mT4_P12ihipStream_tbEUlT_E0_NS1_11comp_targetILNS1_3genE3ELNS1_11target_archE908ELNS1_3gpuE7ELNS1_3repE0EEENS1_30default_config_static_selectorELNS0_4arch9wavefront6targetE0EEEvS14_
	.globl	_ZN7rocprim17ROCPRIM_400000_NS6detail17trampoline_kernelINS0_14default_configENS1_22reduce_config_selectorIN6thrust23THRUST_200600_302600_NS5tupleIblNS6_9null_typeES8_S8_S8_S8_S8_S8_S8_EEEEZNS1_11reduce_implILb1ES3_NS6_12zip_iteratorINS7_INS6_11hip_rocprim26transform_input_iterator_tIbNSD_35transform_pair_of_input_iterators_tIbNS6_6detail15normal_iteratorINS6_10device_ptrIKtEEEESL_NS6_8equal_toItEEEENSG_9not_fun_tINSD_8identityEEEEENSD_19counting_iterator_tIlEES8_S8_S8_S8_S8_S8_S8_S8_EEEEPS9_S9_NSD_9__find_if7functorIS9_EEEE10hipError_tPvRmT1_T2_T3_mT4_P12ihipStream_tbEUlT_E0_NS1_11comp_targetILNS1_3genE3ELNS1_11target_archE908ELNS1_3gpuE7ELNS1_3repE0EEENS1_30default_config_static_selectorELNS0_4arch9wavefront6targetE0EEEvS14_
	.p2align	8
	.type	_ZN7rocprim17ROCPRIM_400000_NS6detail17trampoline_kernelINS0_14default_configENS1_22reduce_config_selectorIN6thrust23THRUST_200600_302600_NS5tupleIblNS6_9null_typeES8_S8_S8_S8_S8_S8_S8_EEEEZNS1_11reduce_implILb1ES3_NS6_12zip_iteratorINS7_INS6_11hip_rocprim26transform_input_iterator_tIbNSD_35transform_pair_of_input_iterators_tIbNS6_6detail15normal_iteratorINS6_10device_ptrIKtEEEESL_NS6_8equal_toItEEEENSG_9not_fun_tINSD_8identityEEEEENSD_19counting_iterator_tIlEES8_S8_S8_S8_S8_S8_S8_S8_EEEEPS9_S9_NSD_9__find_if7functorIS9_EEEE10hipError_tPvRmT1_T2_T3_mT4_P12ihipStream_tbEUlT_E0_NS1_11comp_targetILNS1_3genE3ELNS1_11target_archE908ELNS1_3gpuE7ELNS1_3repE0EEENS1_30default_config_static_selectorELNS0_4arch9wavefront6targetE0EEEvS14_,@function
_ZN7rocprim17ROCPRIM_400000_NS6detail17trampoline_kernelINS0_14default_configENS1_22reduce_config_selectorIN6thrust23THRUST_200600_302600_NS5tupleIblNS6_9null_typeES8_S8_S8_S8_S8_S8_S8_EEEEZNS1_11reduce_implILb1ES3_NS6_12zip_iteratorINS7_INS6_11hip_rocprim26transform_input_iterator_tIbNSD_35transform_pair_of_input_iterators_tIbNS6_6detail15normal_iteratorINS6_10device_ptrIKtEEEESL_NS6_8equal_toItEEEENSG_9not_fun_tINSD_8identityEEEEENSD_19counting_iterator_tIlEES8_S8_S8_S8_S8_S8_S8_S8_EEEEPS9_S9_NSD_9__find_if7functorIS9_EEEE10hipError_tPvRmT1_T2_T3_mT4_P12ihipStream_tbEUlT_E0_NS1_11comp_targetILNS1_3genE3ELNS1_11target_archE908ELNS1_3gpuE7ELNS1_3repE0EEENS1_30default_config_static_selectorELNS0_4arch9wavefront6targetE0EEEvS14_: ; @_ZN7rocprim17ROCPRIM_400000_NS6detail17trampoline_kernelINS0_14default_configENS1_22reduce_config_selectorIN6thrust23THRUST_200600_302600_NS5tupleIblNS6_9null_typeES8_S8_S8_S8_S8_S8_S8_EEEEZNS1_11reduce_implILb1ES3_NS6_12zip_iteratorINS7_INS6_11hip_rocprim26transform_input_iterator_tIbNSD_35transform_pair_of_input_iterators_tIbNS6_6detail15normal_iteratorINS6_10device_ptrIKtEEEESL_NS6_8equal_toItEEEENSG_9not_fun_tINSD_8identityEEEEENSD_19counting_iterator_tIlEES8_S8_S8_S8_S8_S8_S8_S8_EEEEPS9_S9_NSD_9__find_if7functorIS9_EEEE10hipError_tPvRmT1_T2_T3_mT4_P12ihipStream_tbEUlT_E0_NS1_11comp_targetILNS1_3genE3ELNS1_11target_archE908ELNS1_3gpuE7ELNS1_3repE0EEENS1_30default_config_static_selectorELNS0_4arch9wavefront6targetE0EEEvS14_
; %bb.0:
	.section	.rodata,"a",@progbits
	.p2align	6, 0x0
	.amdhsa_kernel _ZN7rocprim17ROCPRIM_400000_NS6detail17trampoline_kernelINS0_14default_configENS1_22reduce_config_selectorIN6thrust23THRUST_200600_302600_NS5tupleIblNS6_9null_typeES8_S8_S8_S8_S8_S8_S8_EEEEZNS1_11reduce_implILb1ES3_NS6_12zip_iteratorINS7_INS6_11hip_rocprim26transform_input_iterator_tIbNSD_35transform_pair_of_input_iterators_tIbNS6_6detail15normal_iteratorINS6_10device_ptrIKtEEEESL_NS6_8equal_toItEEEENSG_9not_fun_tINSD_8identityEEEEENSD_19counting_iterator_tIlEES8_S8_S8_S8_S8_S8_S8_S8_EEEEPS9_S9_NSD_9__find_if7functorIS9_EEEE10hipError_tPvRmT1_T2_T3_mT4_P12ihipStream_tbEUlT_E0_NS1_11comp_targetILNS1_3genE3ELNS1_11target_archE908ELNS1_3gpuE7ELNS1_3repE0EEENS1_30default_config_static_selectorELNS0_4arch9wavefront6targetE0EEEvS14_
		.amdhsa_group_segment_fixed_size 0
		.amdhsa_private_segment_fixed_size 0
		.amdhsa_kernarg_size 104
		.amdhsa_user_sgpr_count 2
		.amdhsa_user_sgpr_dispatch_ptr 0
		.amdhsa_user_sgpr_queue_ptr 0
		.amdhsa_user_sgpr_kernarg_segment_ptr 1
		.amdhsa_user_sgpr_dispatch_id 0
		.amdhsa_user_sgpr_kernarg_preload_length 0
		.amdhsa_user_sgpr_kernarg_preload_offset 0
		.amdhsa_user_sgpr_private_segment_size 0
		.amdhsa_wavefront_size32 1
		.amdhsa_uses_dynamic_stack 0
		.amdhsa_enable_private_segment 0
		.amdhsa_system_sgpr_workgroup_id_x 1
		.amdhsa_system_sgpr_workgroup_id_y 0
		.amdhsa_system_sgpr_workgroup_id_z 0
		.amdhsa_system_sgpr_workgroup_info 0
		.amdhsa_system_vgpr_workitem_id 0
		.amdhsa_next_free_vgpr 1
		.amdhsa_next_free_sgpr 1
		.amdhsa_named_barrier_count 0
		.amdhsa_reserve_vcc 0
		.amdhsa_float_round_mode_32 0
		.amdhsa_float_round_mode_16_64 0
		.amdhsa_float_denorm_mode_32 3
		.amdhsa_float_denorm_mode_16_64 3
		.amdhsa_fp16_overflow 0
		.amdhsa_memory_ordered 1
		.amdhsa_forward_progress 1
		.amdhsa_inst_pref_size 0
		.amdhsa_round_robin_scheduling 0
		.amdhsa_exception_fp_ieee_invalid_op 0
		.amdhsa_exception_fp_denorm_src 0
		.amdhsa_exception_fp_ieee_div_zero 0
		.amdhsa_exception_fp_ieee_overflow 0
		.amdhsa_exception_fp_ieee_underflow 0
		.amdhsa_exception_fp_ieee_inexact 0
		.amdhsa_exception_int_div_zero 0
	.end_amdhsa_kernel
	.section	.text._ZN7rocprim17ROCPRIM_400000_NS6detail17trampoline_kernelINS0_14default_configENS1_22reduce_config_selectorIN6thrust23THRUST_200600_302600_NS5tupleIblNS6_9null_typeES8_S8_S8_S8_S8_S8_S8_EEEEZNS1_11reduce_implILb1ES3_NS6_12zip_iteratorINS7_INS6_11hip_rocprim26transform_input_iterator_tIbNSD_35transform_pair_of_input_iterators_tIbNS6_6detail15normal_iteratorINS6_10device_ptrIKtEEEESL_NS6_8equal_toItEEEENSG_9not_fun_tINSD_8identityEEEEENSD_19counting_iterator_tIlEES8_S8_S8_S8_S8_S8_S8_S8_EEEEPS9_S9_NSD_9__find_if7functorIS9_EEEE10hipError_tPvRmT1_T2_T3_mT4_P12ihipStream_tbEUlT_E0_NS1_11comp_targetILNS1_3genE3ELNS1_11target_archE908ELNS1_3gpuE7ELNS1_3repE0EEENS1_30default_config_static_selectorELNS0_4arch9wavefront6targetE0EEEvS14_,"axG",@progbits,_ZN7rocprim17ROCPRIM_400000_NS6detail17trampoline_kernelINS0_14default_configENS1_22reduce_config_selectorIN6thrust23THRUST_200600_302600_NS5tupleIblNS6_9null_typeES8_S8_S8_S8_S8_S8_S8_EEEEZNS1_11reduce_implILb1ES3_NS6_12zip_iteratorINS7_INS6_11hip_rocprim26transform_input_iterator_tIbNSD_35transform_pair_of_input_iterators_tIbNS6_6detail15normal_iteratorINS6_10device_ptrIKtEEEESL_NS6_8equal_toItEEEENSG_9not_fun_tINSD_8identityEEEEENSD_19counting_iterator_tIlEES8_S8_S8_S8_S8_S8_S8_S8_EEEEPS9_S9_NSD_9__find_if7functorIS9_EEEE10hipError_tPvRmT1_T2_T3_mT4_P12ihipStream_tbEUlT_E0_NS1_11comp_targetILNS1_3genE3ELNS1_11target_archE908ELNS1_3gpuE7ELNS1_3repE0EEENS1_30default_config_static_selectorELNS0_4arch9wavefront6targetE0EEEvS14_,comdat
.Lfunc_end191:
	.size	_ZN7rocprim17ROCPRIM_400000_NS6detail17trampoline_kernelINS0_14default_configENS1_22reduce_config_selectorIN6thrust23THRUST_200600_302600_NS5tupleIblNS6_9null_typeES8_S8_S8_S8_S8_S8_S8_EEEEZNS1_11reduce_implILb1ES3_NS6_12zip_iteratorINS7_INS6_11hip_rocprim26transform_input_iterator_tIbNSD_35transform_pair_of_input_iterators_tIbNS6_6detail15normal_iteratorINS6_10device_ptrIKtEEEESL_NS6_8equal_toItEEEENSG_9not_fun_tINSD_8identityEEEEENSD_19counting_iterator_tIlEES8_S8_S8_S8_S8_S8_S8_S8_EEEEPS9_S9_NSD_9__find_if7functorIS9_EEEE10hipError_tPvRmT1_T2_T3_mT4_P12ihipStream_tbEUlT_E0_NS1_11comp_targetILNS1_3genE3ELNS1_11target_archE908ELNS1_3gpuE7ELNS1_3repE0EEENS1_30default_config_static_selectorELNS0_4arch9wavefront6targetE0EEEvS14_, .Lfunc_end191-_ZN7rocprim17ROCPRIM_400000_NS6detail17trampoline_kernelINS0_14default_configENS1_22reduce_config_selectorIN6thrust23THRUST_200600_302600_NS5tupleIblNS6_9null_typeES8_S8_S8_S8_S8_S8_S8_EEEEZNS1_11reduce_implILb1ES3_NS6_12zip_iteratorINS7_INS6_11hip_rocprim26transform_input_iterator_tIbNSD_35transform_pair_of_input_iterators_tIbNS6_6detail15normal_iteratorINS6_10device_ptrIKtEEEESL_NS6_8equal_toItEEEENSG_9not_fun_tINSD_8identityEEEEENSD_19counting_iterator_tIlEES8_S8_S8_S8_S8_S8_S8_S8_EEEEPS9_S9_NSD_9__find_if7functorIS9_EEEE10hipError_tPvRmT1_T2_T3_mT4_P12ihipStream_tbEUlT_E0_NS1_11comp_targetILNS1_3genE3ELNS1_11target_archE908ELNS1_3gpuE7ELNS1_3repE0EEENS1_30default_config_static_selectorELNS0_4arch9wavefront6targetE0EEEvS14_
                                        ; -- End function
	.set _ZN7rocprim17ROCPRIM_400000_NS6detail17trampoline_kernelINS0_14default_configENS1_22reduce_config_selectorIN6thrust23THRUST_200600_302600_NS5tupleIblNS6_9null_typeES8_S8_S8_S8_S8_S8_S8_EEEEZNS1_11reduce_implILb1ES3_NS6_12zip_iteratorINS7_INS6_11hip_rocprim26transform_input_iterator_tIbNSD_35transform_pair_of_input_iterators_tIbNS6_6detail15normal_iteratorINS6_10device_ptrIKtEEEESL_NS6_8equal_toItEEEENSG_9not_fun_tINSD_8identityEEEEENSD_19counting_iterator_tIlEES8_S8_S8_S8_S8_S8_S8_S8_EEEEPS9_S9_NSD_9__find_if7functorIS9_EEEE10hipError_tPvRmT1_T2_T3_mT4_P12ihipStream_tbEUlT_E0_NS1_11comp_targetILNS1_3genE3ELNS1_11target_archE908ELNS1_3gpuE7ELNS1_3repE0EEENS1_30default_config_static_selectorELNS0_4arch9wavefront6targetE0EEEvS14_.num_vgpr, 0
	.set _ZN7rocprim17ROCPRIM_400000_NS6detail17trampoline_kernelINS0_14default_configENS1_22reduce_config_selectorIN6thrust23THRUST_200600_302600_NS5tupleIblNS6_9null_typeES8_S8_S8_S8_S8_S8_S8_EEEEZNS1_11reduce_implILb1ES3_NS6_12zip_iteratorINS7_INS6_11hip_rocprim26transform_input_iterator_tIbNSD_35transform_pair_of_input_iterators_tIbNS6_6detail15normal_iteratorINS6_10device_ptrIKtEEEESL_NS6_8equal_toItEEEENSG_9not_fun_tINSD_8identityEEEEENSD_19counting_iterator_tIlEES8_S8_S8_S8_S8_S8_S8_S8_EEEEPS9_S9_NSD_9__find_if7functorIS9_EEEE10hipError_tPvRmT1_T2_T3_mT4_P12ihipStream_tbEUlT_E0_NS1_11comp_targetILNS1_3genE3ELNS1_11target_archE908ELNS1_3gpuE7ELNS1_3repE0EEENS1_30default_config_static_selectorELNS0_4arch9wavefront6targetE0EEEvS14_.num_agpr, 0
	.set _ZN7rocprim17ROCPRIM_400000_NS6detail17trampoline_kernelINS0_14default_configENS1_22reduce_config_selectorIN6thrust23THRUST_200600_302600_NS5tupleIblNS6_9null_typeES8_S8_S8_S8_S8_S8_S8_EEEEZNS1_11reduce_implILb1ES3_NS6_12zip_iteratorINS7_INS6_11hip_rocprim26transform_input_iterator_tIbNSD_35transform_pair_of_input_iterators_tIbNS6_6detail15normal_iteratorINS6_10device_ptrIKtEEEESL_NS6_8equal_toItEEEENSG_9not_fun_tINSD_8identityEEEEENSD_19counting_iterator_tIlEES8_S8_S8_S8_S8_S8_S8_S8_EEEEPS9_S9_NSD_9__find_if7functorIS9_EEEE10hipError_tPvRmT1_T2_T3_mT4_P12ihipStream_tbEUlT_E0_NS1_11comp_targetILNS1_3genE3ELNS1_11target_archE908ELNS1_3gpuE7ELNS1_3repE0EEENS1_30default_config_static_selectorELNS0_4arch9wavefront6targetE0EEEvS14_.numbered_sgpr, 0
	.set _ZN7rocprim17ROCPRIM_400000_NS6detail17trampoline_kernelINS0_14default_configENS1_22reduce_config_selectorIN6thrust23THRUST_200600_302600_NS5tupleIblNS6_9null_typeES8_S8_S8_S8_S8_S8_S8_EEEEZNS1_11reduce_implILb1ES3_NS6_12zip_iteratorINS7_INS6_11hip_rocprim26transform_input_iterator_tIbNSD_35transform_pair_of_input_iterators_tIbNS6_6detail15normal_iteratorINS6_10device_ptrIKtEEEESL_NS6_8equal_toItEEEENSG_9not_fun_tINSD_8identityEEEEENSD_19counting_iterator_tIlEES8_S8_S8_S8_S8_S8_S8_S8_EEEEPS9_S9_NSD_9__find_if7functorIS9_EEEE10hipError_tPvRmT1_T2_T3_mT4_P12ihipStream_tbEUlT_E0_NS1_11comp_targetILNS1_3genE3ELNS1_11target_archE908ELNS1_3gpuE7ELNS1_3repE0EEENS1_30default_config_static_selectorELNS0_4arch9wavefront6targetE0EEEvS14_.num_named_barrier, 0
	.set _ZN7rocprim17ROCPRIM_400000_NS6detail17trampoline_kernelINS0_14default_configENS1_22reduce_config_selectorIN6thrust23THRUST_200600_302600_NS5tupleIblNS6_9null_typeES8_S8_S8_S8_S8_S8_S8_EEEEZNS1_11reduce_implILb1ES3_NS6_12zip_iteratorINS7_INS6_11hip_rocprim26transform_input_iterator_tIbNSD_35transform_pair_of_input_iterators_tIbNS6_6detail15normal_iteratorINS6_10device_ptrIKtEEEESL_NS6_8equal_toItEEEENSG_9not_fun_tINSD_8identityEEEEENSD_19counting_iterator_tIlEES8_S8_S8_S8_S8_S8_S8_S8_EEEEPS9_S9_NSD_9__find_if7functorIS9_EEEE10hipError_tPvRmT1_T2_T3_mT4_P12ihipStream_tbEUlT_E0_NS1_11comp_targetILNS1_3genE3ELNS1_11target_archE908ELNS1_3gpuE7ELNS1_3repE0EEENS1_30default_config_static_selectorELNS0_4arch9wavefront6targetE0EEEvS14_.private_seg_size, 0
	.set _ZN7rocprim17ROCPRIM_400000_NS6detail17trampoline_kernelINS0_14default_configENS1_22reduce_config_selectorIN6thrust23THRUST_200600_302600_NS5tupleIblNS6_9null_typeES8_S8_S8_S8_S8_S8_S8_EEEEZNS1_11reduce_implILb1ES3_NS6_12zip_iteratorINS7_INS6_11hip_rocprim26transform_input_iterator_tIbNSD_35transform_pair_of_input_iterators_tIbNS6_6detail15normal_iteratorINS6_10device_ptrIKtEEEESL_NS6_8equal_toItEEEENSG_9not_fun_tINSD_8identityEEEEENSD_19counting_iterator_tIlEES8_S8_S8_S8_S8_S8_S8_S8_EEEEPS9_S9_NSD_9__find_if7functorIS9_EEEE10hipError_tPvRmT1_T2_T3_mT4_P12ihipStream_tbEUlT_E0_NS1_11comp_targetILNS1_3genE3ELNS1_11target_archE908ELNS1_3gpuE7ELNS1_3repE0EEENS1_30default_config_static_selectorELNS0_4arch9wavefront6targetE0EEEvS14_.uses_vcc, 0
	.set _ZN7rocprim17ROCPRIM_400000_NS6detail17trampoline_kernelINS0_14default_configENS1_22reduce_config_selectorIN6thrust23THRUST_200600_302600_NS5tupleIblNS6_9null_typeES8_S8_S8_S8_S8_S8_S8_EEEEZNS1_11reduce_implILb1ES3_NS6_12zip_iteratorINS7_INS6_11hip_rocprim26transform_input_iterator_tIbNSD_35transform_pair_of_input_iterators_tIbNS6_6detail15normal_iteratorINS6_10device_ptrIKtEEEESL_NS6_8equal_toItEEEENSG_9not_fun_tINSD_8identityEEEEENSD_19counting_iterator_tIlEES8_S8_S8_S8_S8_S8_S8_S8_EEEEPS9_S9_NSD_9__find_if7functorIS9_EEEE10hipError_tPvRmT1_T2_T3_mT4_P12ihipStream_tbEUlT_E0_NS1_11comp_targetILNS1_3genE3ELNS1_11target_archE908ELNS1_3gpuE7ELNS1_3repE0EEENS1_30default_config_static_selectorELNS0_4arch9wavefront6targetE0EEEvS14_.uses_flat_scratch, 0
	.set _ZN7rocprim17ROCPRIM_400000_NS6detail17trampoline_kernelINS0_14default_configENS1_22reduce_config_selectorIN6thrust23THRUST_200600_302600_NS5tupleIblNS6_9null_typeES8_S8_S8_S8_S8_S8_S8_EEEEZNS1_11reduce_implILb1ES3_NS6_12zip_iteratorINS7_INS6_11hip_rocprim26transform_input_iterator_tIbNSD_35transform_pair_of_input_iterators_tIbNS6_6detail15normal_iteratorINS6_10device_ptrIKtEEEESL_NS6_8equal_toItEEEENSG_9not_fun_tINSD_8identityEEEEENSD_19counting_iterator_tIlEES8_S8_S8_S8_S8_S8_S8_S8_EEEEPS9_S9_NSD_9__find_if7functorIS9_EEEE10hipError_tPvRmT1_T2_T3_mT4_P12ihipStream_tbEUlT_E0_NS1_11comp_targetILNS1_3genE3ELNS1_11target_archE908ELNS1_3gpuE7ELNS1_3repE0EEENS1_30default_config_static_selectorELNS0_4arch9wavefront6targetE0EEEvS14_.has_dyn_sized_stack, 0
	.set _ZN7rocprim17ROCPRIM_400000_NS6detail17trampoline_kernelINS0_14default_configENS1_22reduce_config_selectorIN6thrust23THRUST_200600_302600_NS5tupleIblNS6_9null_typeES8_S8_S8_S8_S8_S8_S8_EEEEZNS1_11reduce_implILb1ES3_NS6_12zip_iteratorINS7_INS6_11hip_rocprim26transform_input_iterator_tIbNSD_35transform_pair_of_input_iterators_tIbNS6_6detail15normal_iteratorINS6_10device_ptrIKtEEEESL_NS6_8equal_toItEEEENSG_9not_fun_tINSD_8identityEEEEENSD_19counting_iterator_tIlEES8_S8_S8_S8_S8_S8_S8_S8_EEEEPS9_S9_NSD_9__find_if7functorIS9_EEEE10hipError_tPvRmT1_T2_T3_mT4_P12ihipStream_tbEUlT_E0_NS1_11comp_targetILNS1_3genE3ELNS1_11target_archE908ELNS1_3gpuE7ELNS1_3repE0EEENS1_30default_config_static_selectorELNS0_4arch9wavefront6targetE0EEEvS14_.has_recursion, 0
	.set _ZN7rocprim17ROCPRIM_400000_NS6detail17trampoline_kernelINS0_14default_configENS1_22reduce_config_selectorIN6thrust23THRUST_200600_302600_NS5tupleIblNS6_9null_typeES8_S8_S8_S8_S8_S8_S8_EEEEZNS1_11reduce_implILb1ES3_NS6_12zip_iteratorINS7_INS6_11hip_rocprim26transform_input_iterator_tIbNSD_35transform_pair_of_input_iterators_tIbNS6_6detail15normal_iteratorINS6_10device_ptrIKtEEEESL_NS6_8equal_toItEEEENSG_9not_fun_tINSD_8identityEEEEENSD_19counting_iterator_tIlEES8_S8_S8_S8_S8_S8_S8_S8_EEEEPS9_S9_NSD_9__find_if7functorIS9_EEEE10hipError_tPvRmT1_T2_T3_mT4_P12ihipStream_tbEUlT_E0_NS1_11comp_targetILNS1_3genE3ELNS1_11target_archE908ELNS1_3gpuE7ELNS1_3repE0EEENS1_30default_config_static_selectorELNS0_4arch9wavefront6targetE0EEEvS14_.has_indirect_call, 0
	.section	.AMDGPU.csdata,"",@progbits
; Kernel info:
; codeLenInByte = 0
; TotalNumSgprs: 0
; NumVgprs: 0
; ScratchSize: 0
; MemoryBound: 0
; FloatMode: 240
; IeeeMode: 1
; LDSByteSize: 0 bytes/workgroup (compile time only)
; SGPRBlocks: 0
; VGPRBlocks: 0
; NumSGPRsForWavesPerEU: 1
; NumVGPRsForWavesPerEU: 1
; NamedBarCnt: 0
; Occupancy: 16
; WaveLimiterHint : 0
; COMPUTE_PGM_RSRC2:SCRATCH_EN: 0
; COMPUTE_PGM_RSRC2:USER_SGPR: 2
; COMPUTE_PGM_RSRC2:TRAP_HANDLER: 0
; COMPUTE_PGM_RSRC2:TGID_X_EN: 1
; COMPUTE_PGM_RSRC2:TGID_Y_EN: 0
; COMPUTE_PGM_RSRC2:TGID_Z_EN: 0
; COMPUTE_PGM_RSRC2:TIDIG_COMP_CNT: 0
	.section	.text._ZN7rocprim17ROCPRIM_400000_NS6detail17trampoline_kernelINS0_14default_configENS1_22reduce_config_selectorIN6thrust23THRUST_200600_302600_NS5tupleIblNS6_9null_typeES8_S8_S8_S8_S8_S8_S8_EEEEZNS1_11reduce_implILb1ES3_NS6_12zip_iteratorINS7_INS6_11hip_rocprim26transform_input_iterator_tIbNSD_35transform_pair_of_input_iterators_tIbNS6_6detail15normal_iteratorINS6_10device_ptrIKtEEEESL_NS6_8equal_toItEEEENSG_9not_fun_tINSD_8identityEEEEENSD_19counting_iterator_tIlEES8_S8_S8_S8_S8_S8_S8_S8_EEEEPS9_S9_NSD_9__find_if7functorIS9_EEEE10hipError_tPvRmT1_T2_T3_mT4_P12ihipStream_tbEUlT_E0_NS1_11comp_targetILNS1_3genE2ELNS1_11target_archE906ELNS1_3gpuE6ELNS1_3repE0EEENS1_30default_config_static_selectorELNS0_4arch9wavefront6targetE0EEEvS14_,"axG",@progbits,_ZN7rocprim17ROCPRIM_400000_NS6detail17trampoline_kernelINS0_14default_configENS1_22reduce_config_selectorIN6thrust23THRUST_200600_302600_NS5tupleIblNS6_9null_typeES8_S8_S8_S8_S8_S8_S8_EEEEZNS1_11reduce_implILb1ES3_NS6_12zip_iteratorINS7_INS6_11hip_rocprim26transform_input_iterator_tIbNSD_35transform_pair_of_input_iterators_tIbNS6_6detail15normal_iteratorINS6_10device_ptrIKtEEEESL_NS6_8equal_toItEEEENSG_9not_fun_tINSD_8identityEEEEENSD_19counting_iterator_tIlEES8_S8_S8_S8_S8_S8_S8_S8_EEEEPS9_S9_NSD_9__find_if7functorIS9_EEEE10hipError_tPvRmT1_T2_T3_mT4_P12ihipStream_tbEUlT_E0_NS1_11comp_targetILNS1_3genE2ELNS1_11target_archE906ELNS1_3gpuE6ELNS1_3repE0EEENS1_30default_config_static_selectorELNS0_4arch9wavefront6targetE0EEEvS14_,comdat
	.protected	_ZN7rocprim17ROCPRIM_400000_NS6detail17trampoline_kernelINS0_14default_configENS1_22reduce_config_selectorIN6thrust23THRUST_200600_302600_NS5tupleIblNS6_9null_typeES8_S8_S8_S8_S8_S8_S8_EEEEZNS1_11reduce_implILb1ES3_NS6_12zip_iteratorINS7_INS6_11hip_rocprim26transform_input_iterator_tIbNSD_35transform_pair_of_input_iterators_tIbNS6_6detail15normal_iteratorINS6_10device_ptrIKtEEEESL_NS6_8equal_toItEEEENSG_9not_fun_tINSD_8identityEEEEENSD_19counting_iterator_tIlEES8_S8_S8_S8_S8_S8_S8_S8_EEEEPS9_S9_NSD_9__find_if7functorIS9_EEEE10hipError_tPvRmT1_T2_T3_mT4_P12ihipStream_tbEUlT_E0_NS1_11comp_targetILNS1_3genE2ELNS1_11target_archE906ELNS1_3gpuE6ELNS1_3repE0EEENS1_30default_config_static_selectorELNS0_4arch9wavefront6targetE0EEEvS14_ ; -- Begin function _ZN7rocprim17ROCPRIM_400000_NS6detail17trampoline_kernelINS0_14default_configENS1_22reduce_config_selectorIN6thrust23THRUST_200600_302600_NS5tupleIblNS6_9null_typeES8_S8_S8_S8_S8_S8_S8_EEEEZNS1_11reduce_implILb1ES3_NS6_12zip_iteratorINS7_INS6_11hip_rocprim26transform_input_iterator_tIbNSD_35transform_pair_of_input_iterators_tIbNS6_6detail15normal_iteratorINS6_10device_ptrIKtEEEESL_NS6_8equal_toItEEEENSG_9not_fun_tINSD_8identityEEEEENSD_19counting_iterator_tIlEES8_S8_S8_S8_S8_S8_S8_S8_EEEEPS9_S9_NSD_9__find_if7functorIS9_EEEE10hipError_tPvRmT1_T2_T3_mT4_P12ihipStream_tbEUlT_E0_NS1_11comp_targetILNS1_3genE2ELNS1_11target_archE906ELNS1_3gpuE6ELNS1_3repE0EEENS1_30default_config_static_selectorELNS0_4arch9wavefront6targetE0EEEvS14_
	.globl	_ZN7rocprim17ROCPRIM_400000_NS6detail17trampoline_kernelINS0_14default_configENS1_22reduce_config_selectorIN6thrust23THRUST_200600_302600_NS5tupleIblNS6_9null_typeES8_S8_S8_S8_S8_S8_S8_EEEEZNS1_11reduce_implILb1ES3_NS6_12zip_iteratorINS7_INS6_11hip_rocprim26transform_input_iterator_tIbNSD_35transform_pair_of_input_iterators_tIbNS6_6detail15normal_iteratorINS6_10device_ptrIKtEEEESL_NS6_8equal_toItEEEENSG_9not_fun_tINSD_8identityEEEEENSD_19counting_iterator_tIlEES8_S8_S8_S8_S8_S8_S8_S8_EEEEPS9_S9_NSD_9__find_if7functorIS9_EEEE10hipError_tPvRmT1_T2_T3_mT4_P12ihipStream_tbEUlT_E0_NS1_11comp_targetILNS1_3genE2ELNS1_11target_archE906ELNS1_3gpuE6ELNS1_3repE0EEENS1_30default_config_static_selectorELNS0_4arch9wavefront6targetE0EEEvS14_
	.p2align	8
	.type	_ZN7rocprim17ROCPRIM_400000_NS6detail17trampoline_kernelINS0_14default_configENS1_22reduce_config_selectorIN6thrust23THRUST_200600_302600_NS5tupleIblNS6_9null_typeES8_S8_S8_S8_S8_S8_S8_EEEEZNS1_11reduce_implILb1ES3_NS6_12zip_iteratorINS7_INS6_11hip_rocprim26transform_input_iterator_tIbNSD_35transform_pair_of_input_iterators_tIbNS6_6detail15normal_iteratorINS6_10device_ptrIKtEEEESL_NS6_8equal_toItEEEENSG_9not_fun_tINSD_8identityEEEEENSD_19counting_iterator_tIlEES8_S8_S8_S8_S8_S8_S8_S8_EEEEPS9_S9_NSD_9__find_if7functorIS9_EEEE10hipError_tPvRmT1_T2_T3_mT4_P12ihipStream_tbEUlT_E0_NS1_11comp_targetILNS1_3genE2ELNS1_11target_archE906ELNS1_3gpuE6ELNS1_3repE0EEENS1_30default_config_static_selectorELNS0_4arch9wavefront6targetE0EEEvS14_,@function
_ZN7rocprim17ROCPRIM_400000_NS6detail17trampoline_kernelINS0_14default_configENS1_22reduce_config_selectorIN6thrust23THRUST_200600_302600_NS5tupleIblNS6_9null_typeES8_S8_S8_S8_S8_S8_S8_EEEEZNS1_11reduce_implILb1ES3_NS6_12zip_iteratorINS7_INS6_11hip_rocprim26transform_input_iterator_tIbNSD_35transform_pair_of_input_iterators_tIbNS6_6detail15normal_iteratorINS6_10device_ptrIKtEEEESL_NS6_8equal_toItEEEENSG_9not_fun_tINSD_8identityEEEEENSD_19counting_iterator_tIlEES8_S8_S8_S8_S8_S8_S8_S8_EEEEPS9_S9_NSD_9__find_if7functorIS9_EEEE10hipError_tPvRmT1_T2_T3_mT4_P12ihipStream_tbEUlT_E0_NS1_11comp_targetILNS1_3genE2ELNS1_11target_archE906ELNS1_3gpuE6ELNS1_3repE0EEENS1_30default_config_static_selectorELNS0_4arch9wavefront6targetE0EEEvS14_: ; @_ZN7rocprim17ROCPRIM_400000_NS6detail17trampoline_kernelINS0_14default_configENS1_22reduce_config_selectorIN6thrust23THRUST_200600_302600_NS5tupleIblNS6_9null_typeES8_S8_S8_S8_S8_S8_S8_EEEEZNS1_11reduce_implILb1ES3_NS6_12zip_iteratorINS7_INS6_11hip_rocprim26transform_input_iterator_tIbNSD_35transform_pair_of_input_iterators_tIbNS6_6detail15normal_iteratorINS6_10device_ptrIKtEEEESL_NS6_8equal_toItEEEENSG_9not_fun_tINSD_8identityEEEEENSD_19counting_iterator_tIlEES8_S8_S8_S8_S8_S8_S8_S8_EEEEPS9_S9_NSD_9__find_if7functorIS9_EEEE10hipError_tPvRmT1_T2_T3_mT4_P12ihipStream_tbEUlT_E0_NS1_11comp_targetILNS1_3genE2ELNS1_11target_archE906ELNS1_3gpuE6ELNS1_3repE0EEENS1_30default_config_static_selectorELNS0_4arch9wavefront6targetE0EEEvS14_
; %bb.0:
	.section	.rodata,"a",@progbits
	.p2align	6, 0x0
	.amdhsa_kernel _ZN7rocprim17ROCPRIM_400000_NS6detail17trampoline_kernelINS0_14default_configENS1_22reduce_config_selectorIN6thrust23THRUST_200600_302600_NS5tupleIblNS6_9null_typeES8_S8_S8_S8_S8_S8_S8_EEEEZNS1_11reduce_implILb1ES3_NS6_12zip_iteratorINS7_INS6_11hip_rocprim26transform_input_iterator_tIbNSD_35transform_pair_of_input_iterators_tIbNS6_6detail15normal_iteratorINS6_10device_ptrIKtEEEESL_NS6_8equal_toItEEEENSG_9not_fun_tINSD_8identityEEEEENSD_19counting_iterator_tIlEES8_S8_S8_S8_S8_S8_S8_S8_EEEEPS9_S9_NSD_9__find_if7functorIS9_EEEE10hipError_tPvRmT1_T2_T3_mT4_P12ihipStream_tbEUlT_E0_NS1_11comp_targetILNS1_3genE2ELNS1_11target_archE906ELNS1_3gpuE6ELNS1_3repE0EEENS1_30default_config_static_selectorELNS0_4arch9wavefront6targetE0EEEvS14_
		.amdhsa_group_segment_fixed_size 0
		.amdhsa_private_segment_fixed_size 0
		.amdhsa_kernarg_size 104
		.amdhsa_user_sgpr_count 2
		.amdhsa_user_sgpr_dispatch_ptr 0
		.amdhsa_user_sgpr_queue_ptr 0
		.amdhsa_user_sgpr_kernarg_segment_ptr 1
		.amdhsa_user_sgpr_dispatch_id 0
		.amdhsa_user_sgpr_kernarg_preload_length 0
		.amdhsa_user_sgpr_kernarg_preload_offset 0
		.amdhsa_user_sgpr_private_segment_size 0
		.amdhsa_wavefront_size32 1
		.amdhsa_uses_dynamic_stack 0
		.amdhsa_enable_private_segment 0
		.amdhsa_system_sgpr_workgroup_id_x 1
		.amdhsa_system_sgpr_workgroup_id_y 0
		.amdhsa_system_sgpr_workgroup_id_z 0
		.amdhsa_system_sgpr_workgroup_info 0
		.amdhsa_system_vgpr_workitem_id 0
		.amdhsa_next_free_vgpr 1
		.amdhsa_next_free_sgpr 1
		.amdhsa_named_barrier_count 0
		.amdhsa_reserve_vcc 0
		.amdhsa_float_round_mode_32 0
		.amdhsa_float_round_mode_16_64 0
		.amdhsa_float_denorm_mode_32 3
		.amdhsa_float_denorm_mode_16_64 3
		.amdhsa_fp16_overflow 0
		.amdhsa_memory_ordered 1
		.amdhsa_forward_progress 1
		.amdhsa_inst_pref_size 0
		.amdhsa_round_robin_scheduling 0
		.amdhsa_exception_fp_ieee_invalid_op 0
		.amdhsa_exception_fp_denorm_src 0
		.amdhsa_exception_fp_ieee_div_zero 0
		.amdhsa_exception_fp_ieee_overflow 0
		.amdhsa_exception_fp_ieee_underflow 0
		.amdhsa_exception_fp_ieee_inexact 0
		.amdhsa_exception_int_div_zero 0
	.end_amdhsa_kernel
	.section	.text._ZN7rocprim17ROCPRIM_400000_NS6detail17trampoline_kernelINS0_14default_configENS1_22reduce_config_selectorIN6thrust23THRUST_200600_302600_NS5tupleIblNS6_9null_typeES8_S8_S8_S8_S8_S8_S8_EEEEZNS1_11reduce_implILb1ES3_NS6_12zip_iteratorINS7_INS6_11hip_rocprim26transform_input_iterator_tIbNSD_35transform_pair_of_input_iterators_tIbNS6_6detail15normal_iteratorINS6_10device_ptrIKtEEEESL_NS6_8equal_toItEEEENSG_9not_fun_tINSD_8identityEEEEENSD_19counting_iterator_tIlEES8_S8_S8_S8_S8_S8_S8_S8_EEEEPS9_S9_NSD_9__find_if7functorIS9_EEEE10hipError_tPvRmT1_T2_T3_mT4_P12ihipStream_tbEUlT_E0_NS1_11comp_targetILNS1_3genE2ELNS1_11target_archE906ELNS1_3gpuE6ELNS1_3repE0EEENS1_30default_config_static_selectorELNS0_4arch9wavefront6targetE0EEEvS14_,"axG",@progbits,_ZN7rocprim17ROCPRIM_400000_NS6detail17trampoline_kernelINS0_14default_configENS1_22reduce_config_selectorIN6thrust23THRUST_200600_302600_NS5tupleIblNS6_9null_typeES8_S8_S8_S8_S8_S8_S8_EEEEZNS1_11reduce_implILb1ES3_NS6_12zip_iteratorINS7_INS6_11hip_rocprim26transform_input_iterator_tIbNSD_35transform_pair_of_input_iterators_tIbNS6_6detail15normal_iteratorINS6_10device_ptrIKtEEEESL_NS6_8equal_toItEEEENSG_9not_fun_tINSD_8identityEEEEENSD_19counting_iterator_tIlEES8_S8_S8_S8_S8_S8_S8_S8_EEEEPS9_S9_NSD_9__find_if7functorIS9_EEEE10hipError_tPvRmT1_T2_T3_mT4_P12ihipStream_tbEUlT_E0_NS1_11comp_targetILNS1_3genE2ELNS1_11target_archE906ELNS1_3gpuE6ELNS1_3repE0EEENS1_30default_config_static_selectorELNS0_4arch9wavefront6targetE0EEEvS14_,comdat
.Lfunc_end192:
	.size	_ZN7rocprim17ROCPRIM_400000_NS6detail17trampoline_kernelINS0_14default_configENS1_22reduce_config_selectorIN6thrust23THRUST_200600_302600_NS5tupleIblNS6_9null_typeES8_S8_S8_S8_S8_S8_S8_EEEEZNS1_11reduce_implILb1ES3_NS6_12zip_iteratorINS7_INS6_11hip_rocprim26transform_input_iterator_tIbNSD_35transform_pair_of_input_iterators_tIbNS6_6detail15normal_iteratorINS6_10device_ptrIKtEEEESL_NS6_8equal_toItEEEENSG_9not_fun_tINSD_8identityEEEEENSD_19counting_iterator_tIlEES8_S8_S8_S8_S8_S8_S8_S8_EEEEPS9_S9_NSD_9__find_if7functorIS9_EEEE10hipError_tPvRmT1_T2_T3_mT4_P12ihipStream_tbEUlT_E0_NS1_11comp_targetILNS1_3genE2ELNS1_11target_archE906ELNS1_3gpuE6ELNS1_3repE0EEENS1_30default_config_static_selectorELNS0_4arch9wavefront6targetE0EEEvS14_, .Lfunc_end192-_ZN7rocprim17ROCPRIM_400000_NS6detail17trampoline_kernelINS0_14default_configENS1_22reduce_config_selectorIN6thrust23THRUST_200600_302600_NS5tupleIblNS6_9null_typeES8_S8_S8_S8_S8_S8_S8_EEEEZNS1_11reduce_implILb1ES3_NS6_12zip_iteratorINS7_INS6_11hip_rocprim26transform_input_iterator_tIbNSD_35transform_pair_of_input_iterators_tIbNS6_6detail15normal_iteratorINS6_10device_ptrIKtEEEESL_NS6_8equal_toItEEEENSG_9not_fun_tINSD_8identityEEEEENSD_19counting_iterator_tIlEES8_S8_S8_S8_S8_S8_S8_S8_EEEEPS9_S9_NSD_9__find_if7functorIS9_EEEE10hipError_tPvRmT1_T2_T3_mT4_P12ihipStream_tbEUlT_E0_NS1_11comp_targetILNS1_3genE2ELNS1_11target_archE906ELNS1_3gpuE6ELNS1_3repE0EEENS1_30default_config_static_selectorELNS0_4arch9wavefront6targetE0EEEvS14_
                                        ; -- End function
	.set _ZN7rocprim17ROCPRIM_400000_NS6detail17trampoline_kernelINS0_14default_configENS1_22reduce_config_selectorIN6thrust23THRUST_200600_302600_NS5tupleIblNS6_9null_typeES8_S8_S8_S8_S8_S8_S8_EEEEZNS1_11reduce_implILb1ES3_NS6_12zip_iteratorINS7_INS6_11hip_rocprim26transform_input_iterator_tIbNSD_35transform_pair_of_input_iterators_tIbNS6_6detail15normal_iteratorINS6_10device_ptrIKtEEEESL_NS6_8equal_toItEEEENSG_9not_fun_tINSD_8identityEEEEENSD_19counting_iterator_tIlEES8_S8_S8_S8_S8_S8_S8_S8_EEEEPS9_S9_NSD_9__find_if7functorIS9_EEEE10hipError_tPvRmT1_T2_T3_mT4_P12ihipStream_tbEUlT_E0_NS1_11comp_targetILNS1_3genE2ELNS1_11target_archE906ELNS1_3gpuE6ELNS1_3repE0EEENS1_30default_config_static_selectorELNS0_4arch9wavefront6targetE0EEEvS14_.num_vgpr, 0
	.set _ZN7rocprim17ROCPRIM_400000_NS6detail17trampoline_kernelINS0_14default_configENS1_22reduce_config_selectorIN6thrust23THRUST_200600_302600_NS5tupleIblNS6_9null_typeES8_S8_S8_S8_S8_S8_S8_EEEEZNS1_11reduce_implILb1ES3_NS6_12zip_iteratorINS7_INS6_11hip_rocprim26transform_input_iterator_tIbNSD_35transform_pair_of_input_iterators_tIbNS6_6detail15normal_iteratorINS6_10device_ptrIKtEEEESL_NS6_8equal_toItEEEENSG_9not_fun_tINSD_8identityEEEEENSD_19counting_iterator_tIlEES8_S8_S8_S8_S8_S8_S8_S8_EEEEPS9_S9_NSD_9__find_if7functorIS9_EEEE10hipError_tPvRmT1_T2_T3_mT4_P12ihipStream_tbEUlT_E0_NS1_11comp_targetILNS1_3genE2ELNS1_11target_archE906ELNS1_3gpuE6ELNS1_3repE0EEENS1_30default_config_static_selectorELNS0_4arch9wavefront6targetE0EEEvS14_.num_agpr, 0
	.set _ZN7rocprim17ROCPRIM_400000_NS6detail17trampoline_kernelINS0_14default_configENS1_22reduce_config_selectorIN6thrust23THRUST_200600_302600_NS5tupleIblNS6_9null_typeES8_S8_S8_S8_S8_S8_S8_EEEEZNS1_11reduce_implILb1ES3_NS6_12zip_iteratorINS7_INS6_11hip_rocprim26transform_input_iterator_tIbNSD_35transform_pair_of_input_iterators_tIbNS6_6detail15normal_iteratorINS6_10device_ptrIKtEEEESL_NS6_8equal_toItEEEENSG_9not_fun_tINSD_8identityEEEEENSD_19counting_iterator_tIlEES8_S8_S8_S8_S8_S8_S8_S8_EEEEPS9_S9_NSD_9__find_if7functorIS9_EEEE10hipError_tPvRmT1_T2_T3_mT4_P12ihipStream_tbEUlT_E0_NS1_11comp_targetILNS1_3genE2ELNS1_11target_archE906ELNS1_3gpuE6ELNS1_3repE0EEENS1_30default_config_static_selectorELNS0_4arch9wavefront6targetE0EEEvS14_.numbered_sgpr, 0
	.set _ZN7rocprim17ROCPRIM_400000_NS6detail17trampoline_kernelINS0_14default_configENS1_22reduce_config_selectorIN6thrust23THRUST_200600_302600_NS5tupleIblNS6_9null_typeES8_S8_S8_S8_S8_S8_S8_EEEEZNS1_11reduce_implILb1ES3_NS6_12zip_iteratorINS7_INS6_11hip_rocprim26transform_input_iterator_tIbNSD_35transform_pair_of_input_iterators_tIbNS6_6detail15normal_iteratorINS6_10device_ptrIKtEEEESL_NS6_8equal_toItEEEENSG_9not_fun_tINSD_8identityEEEEENSD_19counting_iterator_tIlEES8_S8_S8_S8_S8_S8_S8_S8_EEEEPS9_S9_NSD_9__find_if7functorIS9_EEEE10hipError_tPvRmT1_T2_T3_mT4_P12ihipStream_tbEUlT_E0_NS1_11comp_targetILNS1_3genE2ELNS1_11target_archE906ELNS1_3gpuE6ELNS1_3repE0EEENS1_30default_config_static_selectorELNS0_4arch9wavefront6targetE0EEEvS14_.num_named_barrier, 0
	.set _ZN7rocprim17ROCPRIM_400000_NS6detail17trampoline_kernelINS0_14default_configENS1_22reduce_config_selectorIN6thrust23THRUST_200600_302600_NS5tupleIblNS6_9null_typeES8_S8_S8_S8_S8_S8_S8_EEEEZNS1_11reduce_implILb1ES3_NS6_12zip_iteratorINS7_INS6_11hip_rocprim26transform_input_iterator_tIbNSD_35transform_pair_of_input_iterators_tIbNS6_6detail15normal_iteratorINS6_10device_ptrIKtEEEESL_NS6_8equal_toItEEEENSG_9not_fun_tINSD_8identityEEEEENSD_19counting_iterator_tIlEES8_S8_S8_S8_S8_S8_S8_S8_EEEEPS9_S9_NSD_9__find_if7functorIS9_EEEE10hipError_tPvRmT1_T2_T3_mT4_P12ihipStream_tbEUlT_E0_NS1_11comp_targetILNS1_3genE2ELNS1_11target_archE906ELNS1_3gpuE6ELNS1_3repE0EEENS1_30default_config_static_selectorELNS0_4arch9wavefront6targetE0EEEvS14_.private_seg_size, 0
	.set _ZN7rocprim17ROCPRIM_400000_NS6detail17trampoline_kernelINS0_14default_configENS1_22reduce_config_selectorIN6thrust23THRUST_200600_302600_NS5tupleIblNS6_9null_typeES8_S8_S8_S8_S8_S8_S8_EEEEZNS1_11reduce_implILb1ES3_NS6_12zip_iteratorINS7_INS6_11hip_rocprim26transform_input_iterator_tIbNSD_35transform_pair_of_input_iterators_tIbNS6_6detail15normal_iteratorINS6_10device_ptrIKtEEEESL_NS6_8equal_toItEEEENSG_9not_fun_tINSD_8identityEEEEENSD_19counting_iterator_tIlEES8_S8_S8_S8_S8_S8_S8_S8_EEEEPS9_S9_NSD_9__find_if7functorIS9_EEEE10hipError_tPvRmT1_T2_T3_mT4_P12ihipStream_tbEUlT_E0_NS1_11comp_targetILNS1_3genE2ELNS1_11target_archE906ELNS1_3gpuE6ELNS1_3repE0EEENS1_30default_config_static_selectorELNS0_4arch9wavefront6targetE0EEEvS14_.uses_vcc, 0
	.set _ZN7rocprim17ROCPRIM_400000_NS6detail17trampoline_kernelINS0_14default_configENS1_22reduce_config_selectorIN6thrust23THRUST_200600_302600_NS5tupleIblNS6_9null_typeES8_S8_S8_S8_S8_S8_S8_EEEEZNS1_11reduce_implILb1ES3_NS6_12zip_iteratorINS7_INS6_11hip_rocprim26transform_input_iterator_tIbNSD_35transform_pair_of_input_iterators_tIbNS6_6detail15normal_iteratorINS6_10device_ptrIKtEEEESL_NS6_8equal_toItEEEENSG_9not_fun_tINSD_8identityEEEEENSD_19counting_iterator_tIlEES8_S8_S8_S8_S8_S8_S8_S8_EEEEPS9_S9_NSD_9__find_if7functorIS9_EEEE10hipError_tPvRmT1_T2_T3_mT4_P12ihipStream_tbEUlT_E0_NS1_11comp_targetILNS1_3genE2ELNS1_11target_archE906ELNS1_3gpuE6ELNS1_3repE0EEENS1_30default_config_static_selectorELNS0_4arch9wavefront6targetE0EEEvS14_.uses_flat_scratch, 0
	.set _ZN7rocprim17ROCPRIM_400000_NS6detail17trampoline_kernelINS0_14default_configENS1_22reduce_config_selectorIN6thrust23THRUST_200600_302600_NS5tupleIblNS6_9null_typeES8_S8_S8_S8_S8_S8_S8_EEEEZNS1_11reduce_implILb1ES3_NS6_12zip_iteratorINS7_INS6_11hip_rocprim26transform_input_iterator_tIbNSD_35transform_pair_of_input_iterators_tIbNS6_6detail15normal_iteratorINS6_10device_ptrIKtEEEESL_NS6_8equal_toItEEEENSG_9not_fun_tINSD_8identityEEEEENSD_19counting_iterator_tIlEES8_S8_S8_S8_S8_S8_S8_S8_EEEEPS9_S9_NSD_9__find_if7functorIS9_EEEE10hipError_tPvRmT1_T2_T3_mT4_P12ihipStream_tbEUlT_E0_NS1_11comp_targetILNS1_3genE2ELNS1_11target_archE906ELNS1_3gpuE6ELNS1_3repE0EEENS1_30default_config_static_selectorELNS0_4arch9wavefront6targetE0EEEvS14_.has_dyn_sized_stack, 0
	.set _ZN7rocprim17ROCPRIM_400000_NS6detail17trampoline_kernelINS0_14default_configENS1_22reduce_config_selectorIN6thrust23THRUST_200600_302600_NS5tupleIblNS6_9null_typeES8_S8_S8_S8_S8_S8_S8_EEEEZNS1_11reduce_implILb1ES3_NS6_12zip_iteratorINS7_INS6_11hip_rocprim26transform_input_iterator_tIbNSD_35transform_pair_of_input_iterators_tIbNS6_6detail15normal_iteratorINS6_10device_ptrIKtEEEESL_NS6_8equal_toItEEEENSG_9not_fun_tINSD_8identityEEEEENSD_19counting_iterator_tIlEES8_S8_S8_S8_S8_S8_S8_S8_EEEEPS9_S9_NSD_9__find_if7functorIS9_EEEE10hipError_tPvRmT1_T2_T3_mT4_P12ihipStream_tbEUlT_E0_NS1_11comp_targetILNS1_3genE2ELNS1_11target_archE906ELNS1_3gpuE6ELNS1_3repE0EEENS1_30default_config_static_selectorELNS0_4arch9wavefront6targetE0EEEvS14_.has_recursion, 0
	.set _ZN7rocprim17ROCPRIM_400000_NS6detail17trampoline_kernelINS0_14default_configENS1_22reduce_config_selectorIN6thrust23THRUST_200600_302600_NS5tupleIblNS6_9null_typeES8_S8_S8_S8_S8_S8_S8_EEEEZNS1_11reduce_implILb1ES3_NS6_12zip_iteratorINS7_INS6_11hip_rocprim26transform_input_iterator_tIbNSD_35transform_pair_of_input_iterators_tIbNS6_6detail15normal_iteratorINS6_10device_ptrIKtEEEESL_NS6_8equal_toItEEEENSG_9not_fun_tINSD_8identityEEEEENSD_19counting_iterator_tIlEES8_S8_S8_S8_S8_S8_S8_S8_EEEEPS9_S9_NSD_9__find_if7functorIS9_EEEE10hipError_tPvRmT1_T2_T3_mT4_P12ihipStream_tbEUlT_E0_NS1_11comp_targetILNS1_3genE2ELNS1_11target_archE906ELNS1_3gpuE6ELNS1_3repE0EEENS1_30default_config_static_selectorELNS0_4arch9wavefront6targetE0EEEvS14_.has_indirect_call, 0
	.section	.AMDGPU.csdata,"",@progbits
; Kernel info:
; codeLenInByte = 0
; TotalNumSgprs: 0
; NumVgprs: 0
; ScratchSize: 0
; MemoryBound: 0
; FloatMode: 240
; IeeeMode: 1
; LDSByteSize: 0 bytes/workgroup (compile time only)
; SGPRBlocks: 0
; VGPRBlocks: 0
; NumSGPRsForWavesPerEU: 1
; NumVGPRsForWavesPerEU: 1
; NamedBarCnt: 0
; Occupancy: 16
; WaveLimiterHint : 0
; COMPUTE_PGM_RSRC2:SCRATCH_EN: 0
; COMPUTE_PGM_RSRC2:USER_SGPR: 2
; COMPUTE_PGM_RSRC2:TRAP_HANDLER: 0
; COMPUTE_PGM_RSRC2:TGID_X_EN: 1
; COMPUTE_PGM_RSRC2:TGID_Y_EN: 0
; COMPUTE_PGM_RSRC2:TGID_Z_EN: 0
; COMPUTE_PGM_RSRC2:TIDIG_COMP_CNT: 0
	.section	.text._ZN7rocprim17ROCPRIM_400000_NS6detail17trampoline_kernelINS0_14default_configENS1_22reduce_config_selectorIN6thrust23THRUST_200600_302600_NS5tupleIblNS6_9null_typeES8_S8_S8_S8_S8_S8_S8_EEEEZNS1_11reduce_implILb1ES3_NS6_12zip_iteratorINS7_INS6_11hip_rocprim26transform_input_iterator_tIbNSD_35transform_pair_of_input_iterators_tIbNS6_6detail15normal_iteratorINS6_10device_ptrIKtEEEESL_NS6_8equal_toItEEEENSG_9not_fun_tINSD_8identityEEEEENSD_19counting_iterator_tIlEES8_S8_S8_S8_S8_S8_S8_S8_EEEEPS9_S9_NSD_9__find_if7functorIS9_EEEE10hipError_tPvRmT1_T2_T3_mT4_P12ihipStream_tbEUlT_E0_NS1_11comp_targetILNS1_3genE10ELNS1_11target_archE1201ELNS1_3gpuE5ELNS1_3repE0EEENS1_30default_config_static_selectorELNS0_4arch9wavefront6targetE0EEEvS14_,"axG",@progbits,_ZN7rocprim17ROCPRIM_400000_NS6detail17trampoline_kernelINS0_14default_configENS1_22reduce_config_selectorIN6thrust23THRUST_200600_302600_NS5tupleIblNS6_9null_typeES8_S8_S8_S8_S8_S8_S8_EEEEZNS1_11reduce_implILb1ES3_NS6_12zip_iteratorINS7_INS6_11hip_rocprim26transform_input_iterator_tIbNSD_35transform_pair_of_input_iterators_tIbNS6_6detail15normal_iteratorINS6_10device_ptrIKtEEEESL_NS6_8equal_toItEEEENSG_9not_fun_tINSD_8identityEEEEENSD_19counting_iterator_tIlEES8_S8_S8_S8_S8_S8_S8_S8_EEEEPS9_S9_NSD_9__find_if7functorIS9_EEEE10hipError_tPvRmT1_T2_T3_mT4_P12ihipStream_tbEUlT_E0_NS1_11comp_targetILNS1_3genE10ELNS1_11target_archE1201ELNS1_3gpuE5ELNS1_3repE0EEENS1_30default_config_static_selectorELNS0_4arch9wavefront6targetE0EEEvS14_,comdat
	.protected	_ZN7rocprim17ROCPRIM_400000_NS6detail17trampoline_kernelINS0_14default_configENS1_22reduce_config_selectorIN6thrust23THRUST_200600_302600_NS5tupleIblNS6_9null_typeES8_S8_S8_S8_S8_S8_S8_EEEEZNS1_11reduce_implILb1ES3_NS6_12zip_iteratorINS7_INS6_11hip_rocprim26transform_input_iterator_tIbNSD_35transform_pair_of_input_iterators_tIbNS6_6detail15normal_iteratorINS6_10device_ptrIKtEEEESL_NS6_8equal_toItEEEENSG_9not_fun_tINSD_8identityEEEEENSD_19counting_iterator_tIlEES8_S8_S8_S8_S8_S8_S8_S8_EEEEPS9_S9_NSD_9__find_if7functorIS9_EEEE10hipError_tPvRmT1_T2_T3_mT4_P12ihipStream_tbEUlT_E0_NS1_11comp_targetILNS1_3genE10ELNS1_11target_archE1201ELNS1_3gpuE5ELNS1_3repE0EEENS1_30default_config_static_selectorELNS0_4arch9wavefront6targetE0EEEvS14_ ; -- Begin function _ZN7rocprim17ROCPRIM_400000_NS6detail17trampoline_kernelINS0_14default_configENS1_22reduce_config_selectorIN6thrust23THRUST_200600_302600_NS5tupleIblNS6_9null_typeES8_S8_S8_S8_S8_S8_S8_EEEEZNS1_11reduce_implILb1ES3_NS6_12zip_iteratorINS7_INS6_11hip_rocprim26transform_input_iterator_tIbNSD_35transform_pair_of_input_iterators_tIbNS6_6detail15normal_iteratorINS6_10device_ptrIKtEEEESL_NS6_8equal_toItEEEENSG_9not_fun_tINSD_8identityEEEEENSD_19counting_iterator_tIlEES8_S8_S8_S8_S8_S8_S8_S8_EEEEPS9_S9_NSD_9__find_if7functorIS9_EEEE10hipError_tPvRmT1_T2_T3_mT4_P12ihipStream_tbEUlT_E0_NS1_11comp_targetILNS1_3genE10ELNS1_11target_archE1201ELNS1_3gpuE5ELNS1_3repE0EEENS1_30default_config_static_selectorELNS0_4arch9wavefront6targetE0EEEvS14_
	.globl	_ZN7rocprim17ROCPRIM_400000_NS6detail17trampoline_kernelINS0_14default_configENS1_22reduce_config_selectorIN6thrust23THRUST_200600_302600_NS5tupleIblNS6_9null_typeES8_S8_S8_S8_S8_S8_S8_EEEEZNS1_11reduce_implILb1ES3_NS6_12zip_iteratorINS7_INS6_11hip_rocprim26transform_input_iterator_tIbNSD_35transform_pair_of_input_iterators_tIbNS6_6detail15normal_iteratorINS6_10device_ptrIKtEEEESL_NS6_8equal_toItEEEENSG_9not_fun_tINSD_8identityEEEEENSD_19counting_iterator_tIlEES8_S8_S8_S8_S8_S8_S8_S8_EEEEPS9_S9_NSD_9__find_if7functorIS9_EEEE10hipError_tPvRmT1_T2_T3_mT4_P12ihipStream_tbEUlT_E0_NS1_11comp_targetILNS1_3genE10ELNS1_11target_archE1201ELNS1_3gpuE5ELNS1_3repE0EEENS1_30default_config_static_selectorELNS0_4arch9wavefront6targetE0EEEvS14_
	.p2align	8
	.type	_ZN7rocprim17ROCPRIM_400000_NS6detail17trampoline_kernelINS0_14default_configENS1_22reduce_config_selectorIN6thrust23THRUST_200600_302600_NS5tupleIblNS6_9null_typeES8_S8_S8_S8_S8_S8_S8_EEEEZNS1_11reduce_implILb1ES3_NS6_12zip_iteratorINS7_INS6_11hip_rocprim26transform_input_iterator_tIbNSD_35transform_pair_of_input_iterators_tIbNS6_6detail15normal_iteratorINS6_10device_ptrIKtEEEESL_NS6_8equal_toItEEEENSG_9not_fun_tINSD_8identityEEEEENSD_19counting_iterator_tIlEES8_S8_S8_S8_S8_S8_S8_S8_EEEEPS9_S9_NSD_9__find_if7functorIS9_EEEE10hipError_tPvRmT1_T2_T3_mT4_P12ihipStream_tbEUlT_E0_NS1_11comp_targetILNS1_3genE10ELNS1_11target_archE1201ELNS1_3gpuE5ELNS1_3repE0EEENS1_30default_config_static_selectorELNS0_4arch9wavefront6targetE0EEEvS14_,@function
_ZN7rocprim17ROCPRIM_400000_NS6detail17trampoline_kernelINS0_14default_configENS1_22reduce_config_selectorIN6thrust23THRUST_200600_302600_NS5tupleIblNS6_9null_typeES8_S8_S8_S8_S8_S8_S8_EEEEZNS1_11reduce_implILb1ES3_NS6_12zip_iteratorINS7_INS6_11hip_rocprim26transform_input_iterator_tIbNSD_35transform_pair_of_input_iterators_tIbNS6_6detail15normal_iteratorINS6_10device_ptrIKtEEEESL_NS6_8equal_toItEEEENSG_9not_fun_tINSD_8identityEEEEENSD_19counting_iterator_tIlEES8_S8_S8_S8_S8_S8_S8_S8_EEEEPS9_S9_NSD_9__find_if7functorIS9_EEEE10hipError_tPvRmT1_T2_T3_mT4_P12ihipStream_tbEUlT_E0_NS1_11comp_targetILNS1_3genE10ELNS1_11target_archE1201ELNS1_3gpuE5ELNS1_3repE0EEENS1_30default_config_static_selectorELNS0_4arch9wavefront6targetE0EEEvS14_: ; @_ZN7rocprim17ROCPRIM_400000_NS6detail17trampoline_kernelINS0_14default_configENS1_22reduce_config_selectorIN6thrust23THRUST_200600_302600_NS5tupleIblNS6_9null_typeES8_S8_S8_S8_S8_S8_S8_EEEEZNS1_11reduce_implILb1ES3_NS6_12zip_iteratorINS7_INS6_11hip_rocprim26transform_input_iterator_tIbNSD_35transform_pair_of_input_iterators_tIbNS6_6detail15normal_iteratorINS6_10device_ptrIKtEEEESL_NS6_8equal_toItEEEENSG_9not_fun_tINSD_8identityEEEEENSD_19counting_iterator_tIlEES8_S8_S8_S8_S8_S8_S8_S8_EEEEPS9_S9_NSD_9__find_if7functorIS9_EEEE10hipError_tPvRmT1_T2_T3_mT4_P12ihipStream_tbEUlT_E0_NS1_11comp_targetILNS1_3genE10ELNS1_11target_archE1201ELNS1_3gpuE5ELNS1_3repE0EEENS1_30default_config_static_selectorELNS0_4arch9wavefront6targetE0EEEvS14_
; %bb.0:
	.section	.rodata,"a",@progbits
	.p2align	6, 0x0
	.amdhsa_kernel _ZN7rocprim17ROCPRIM_400000_NS6detail17trampoline_kernelINS0_14default_configENS1_22reduce_config_selectorIN6thrust23THRUST_200600_302600_NS5tupleIblNS6_9null_typeES8_S8_S8_S8_S8_S8_S8_EEEEZNS1_11reduce_implILb1ES3_NS6_12zip_iteratorINS7_INS6_11hip_rocprim26transform_input_iterator_tIbNSD_35transform_pair_of_input_iterators_tIbNS6_6detail15normal_iteratorINS6_10device_ptrIKtEEEESL_NS6_8equal_toItEEEENSG_9not_fun_tINSD_8identityEEEEENSD_19counting_iterator_tIlEES8_S8_S8_S8_S8_S8_S8_S8_EEEEPS9_S9_NSD_9__find_if7functorIS9_EEEE10hipError_tPvRmT1_T2_T3_mT4_P12ihipStream_tbEUlT_E0_NS1_11comp_targetILNS1_3genE10ELNS1_11target_archE1201ELNS1_3gpuE5ELNS1_3repE0EEENS1_30default_config_static_selectorELNS0_4arch9wavefront6targetE0EEEvS14_
		.amdhsa_group_segment_fixed_size 0
		.amdhsa_private_segment_fixed_size 0
		.amdhsa_kernarg_size 104
		.amdhsa_user_sgpr_count 2
		.amdhsa_user_sgpr_dispatch_ptr 0
		.amdhsa_user_sgpr_queue_ptr 0
		.amdhsa_user_sgpr_kernarg_segment_ptr 1
		.amdhsa_user_sgpr_dispatch_id 0
		.amdhsa_user_sgpr_kernarg_preload_length 0
		.amdhsa_user_sgpr_kernarg_preload_offset 0
		.amdhsa_user_sgpr_private_segment_size 0
		.amdhsa_wavefront_size32 1
		.amdhsa_uses_dynamic_stack 0
		.amdhsa_enable_private_segment 0
		.amdhsa_system_sgpr_workgroup_id_x 1
		.amdhsa_system_sgpr_workgroup_id_y 0
		.amdhsa_system_sgpr_workgroup_id_z 0
		.amdhsa_system_sgpr_workgroup_info 0
		.amdhsa_system_vgpr_workitem_id 0
		.amdhsa_next_free_vgpr 1
		.amdhsa_next_free_sgpr 1
		.amdhsa_named_barrier_count 0
		.amdhsa_reserve_vcc 0
		.amdhsa_float_round_mode_32 0
		.amdhsa_float_round_mode_16_64 0
		.amdhsa_float_denorm_mode_32 3
		.amdhsa_float_denorm_mode_16_64 3
		.amdhsa_fp16_overflow 0
		.amdhsa_memory_ordered 1
		.amdhsa_forward_progress 1
		.amdhsa_inst_pref_size 0
		.amdhsa_round_robin_scheduling 0
		.amdhsa_exception_fp_ieee_invalid_op 0
		.amdhsa_exception_fp_denorm_src 0
		.amdhsa_exception_fp_ieee_div_zero 0
		.amdhsa_exception_fp_ieee_overflow 0
		.amdhsa_exception_fp_ieee_underflow 0
		.amdhsa_exception_fp_ieee_inexact 0
		.amdhsa_exception_int_div_zero 0
	.end_amdhsa_kernel
	.section	.text._ZN7rocprim17ROCPRIM_400000_NS6detail17trampoline_kernelINS0_14default_configENS1_22reduce_config_selectorIN6thrust23THRUST_200600_302600_NS5tupleIblNS6_9null_typeES8_S8_S8_S8_S8_S8_S8_EEEEZNS1_11reduce_implILb1ES3_NS6_12zip_iteratorINS7_INS6_11hip_rocprim26transform_input_iterator_tIbNSD_35transform_pair_of_input_iterators_tIbNS6_6detail15normal_iteratorINS6_10device_ptrIKtEEEESL_NS6_8equal_toItEEEENSG_9not_fun_tINSD_8identityEEEEENSD_19counting_iterator_tIlEES8_S8_S8_S8_S8_S8_S8_S8_EEEEPS9_S9_NSD_9__find_if7functorIS9_EEEE10hipError_tPvRmT1_T2_T3_mT4_P12ihipStream_tbEUlT_E0_NS1_11comp_targetILNS1_3genE10ELNS1_11target_archE1201ELNS1_3gpuE5ELNS1_3repE0EEENS1_30default_config_static_selectorELNS0_4arch9wavefront6targetE0EEEvS14_,"axG",@progbits,_ZN7rocprim17ROCPRIM_400000_NS6detail17trampoline_kernelINS0_14default_configENS1_22reduce_config_selectorIN6thrust23THRUST_200600_302600_NS5tupleIblNS6_9null_typeES8_S8_S8_S8_S8_S8_S8_EEEEZNS1_11reduce_implILb1ES3_NS6_12zip_iteratorINS7_INS6_11hip_rocprim26transform_input_iterator_tIbNSD_35transform_pair_of_input_iterators_tIbNS6_6detail15normal_iteratorINS6_10device_ptrIKtEEEESL_NS6_8equal_toItEEEENSG_9not_fun_tINSD_8identityEEEEENSD_19counting_iterator_tIlEES8_S8_S8_S8_S8_S8_S8_S8_EEEEPS9_S9_NSD_9__find_if7functorIS9_EEEE10hipError_tPvRmT1_T2_T3_mT4_P12ihipStream_tbEUlT_E0_NS1_11comp_targetILNS1_3genE10ELNS1_11target_archE1201ELNS1_3gpuE5ELNS1_3repE0EEENS1_30default_config_static_selectorELNS0_4arch9wavefront6targetE0EEEvS14_,comdat
.Lfunc_end193:
	.size	_ZN7rocprim17ROCPRIM_400000_NS6detail17trampoline_kernelINS0_14default_configENS1_22reduce_config_selectorIN6thrust23THRUST_200600_302600_NS5tupleIblNS6_9null_typeES8_S8_S8_S8_S8_S8_S8_EEEEZNS1_11reduce_implILb1ES3_NS6_12zip_iteratorINS7_INS6_11hip_rocprim26transform_input_iterator_tIbNSD_35transform_pair_of_input_iterators_tIbNS6_6detail15normal_iteratorINS6_10device_ptrIKtEEEESL_NS6_8equal_toItEEEENSG_9not_fun_tINSD_8identityEEEEENSD_19counting_iterator_tIlEES8_S8_S8_S8_S8_S8_S8_S8_EEEEPS9_S9_NSD_9__find_if7functorIS9_EEEE10hipError_tPvRmT1_T2_T3_mT4_P12ihipStream_tbEUlT_E0_NS1_11comp_targetILNS1_3genE10ELNS1_11target_archE1201ELNS1_3gpuE5ELNS1_3repE0EEENS1_30default_config_static_selectorELNS0_4arch9wavefront6targetE0EEEvS14_, .Lfunc_end193-_ZN7rocprim17ROCPRIM_400000_NS6detail17trampoline_kernelINS0_14default_configENS1_22reduce_config_selectorIN6thrust23THRUST_200600_302600_NS5tupleIblNS6_9null_typeES8_S8_S8_S8_S8_S8_S8_EEEEZNS1_11reduce_implILb1ES3_NS6_12zip_iteratorINS7_INS6_11hip_rocprim26transform_input_iterator_tIbNSD_35transform_pair_of_input_iterators_tIbNS6_6detail15normal_iteratorINS6_10device_ptrIKtEEEESL_NS6_8equal_toItEEEENSG_9not_fun_tINSD_8identityEEEEENSD_19counting_iterator_tIlEES8_S8_S8_S8_S8_S8_S8_S8_EEEEPS9_S9_NSD_9__find_if7functorIS9_EEEE10hipError_tPvRmT1_T2_T3_mT4_P12ihipStream_tbEUlT_E0_NS1_11comp_targetILNS1_3genE10ELNS1_11target_archE1201ELNS1_3gpuE5ELNS1_3repE0EEENS1_30default_config_static_selectorELNS0_4arch9wavefront6targetE0EEEvS14_
                                        ; -- End function
	.set _ZN7rocprim17ROCPRIM_400000_NS6detail17trampoline_kernelINS0_14default_configENS1_22reduce_config_selectorIN6thrust23THRUST_200600_302600_NS5tupleIblNS6_9null_typeES8_S8_S8_S8_S8_S8_S8_EEEEZNS1_11reduce_implILb1ES3_NS6_12zip_iteratorINS7_INS6_11hip_rocprim26transform_input_iterator_tIbNSD_35transform_pair_of_input_iterators_tIbNS6_6detail15normal_iteratorINS6_10device_ptrIKtEEEESL_NS6_8equal_toItEEEENSG_9not_fun_tINSD_8identityEEEEENSD_19counting_iterator_tIlEES8_S8_S8_S8_S8_S8_S8_S8_EEEEPS9_S9_NSD_9__find_if7functorIS9_EEEE10hipError_tPvRmT1_T2_T3_mT4_P12ihipStream_tbEUlT_E0_NS1_11comp_targetILNS1_3genE10ELNS1_11target_archE1201ELNS1_3gpuE5ELNS1_3repE0EEENS1_30default_config_static_selectorELNS0_4arch9wavefront6targetE0EEEvS14_.num_vgpr, 0
	.set _ZN7rocprim17ROCPRIM_400000_NS6detail17trampoline_kernelINS0_14default_configENS1_22reduce_config_selectorIN6thrust23THRUST_200600_302600_NS5tupleIblNS6_9null_typeES8_S8_S8_S8_S8_S8_S8_EEEEZNS1_11reduce_implILb1ES3_NS6_12zip_iteratorINS7_INS6_11hip_rocprim26transform_input_iterator_tIbNSD_35transform_pair_of_input_iterators_tIbNS6_6detail15normal_iteratorINS6_10device_ptrIKtEEEESL_NS6_8equal_toItEEEENSG_9not_fun_tINSD_8identityEEEEENSD_19counting_iterator_tIlEES8_S8_S8_S8_S8_S8_S8_S8_EEEEPS9_S9_NSD_9__find_if7functorIS9_EEEE10hipError_tPvRmT1_T2_T3_mT4_P12ihipStream_tbEUlT_E0_NS1_11comp_targetILNS1_3genE10ELNS1_11target_archE1201ELNS1_3gpuE5ELNS1_3repE0EEENS1_30default_config_static_selectorELNS0_4arch9wavefront6targetE0EEEvS14_.num_agpr, 0
	.set _ZN7rocprim17ROCPRIM_400000_NS6detail17trampoline_kernelINS0_14default_configENS1_22reduce_config_selectorIN6thrust23THRUST_200600_302600_NS5tupleIblNS6_9null_typeES8_S8_S8_S8_S8_S8_S8_EEEEZNS1_11reduce_implILb1ES3_NS6_12zip_iteratorINS7_INS6_11hip_rocprim26transform_input_iterator_tIbNSD_35transform_pair_of_input_iterators_tIbNS6_6detail15normal_iteratorINS6_10device_ptrIKtEEEESL_NS6_8equal_toItEEEENSG_9not_fun_tINSD_8identityEEEEENSD_19counting_iterator_tIlEES8_S8_S8_S8_S8_S8_S8_S8_EEEEPS9_S9_NSD_9__find_if7functorIS9_EEEE10hipError_tPvRmT1_T2_T3_mT4_P12ihipStream_tbEUlT_E0_NS1_11comp_targetILNS1_3genE10ELNS1_11target_archE1201ELNS1_3gpuE5ELNS1_3repE0EEENS1_30default_config_static_selectorELNS0_4arch9wavefront6targetE0EEEvS14_.numbered_sgpr, 0
	.set _ZN7rocprim17ROCPRIM_400000_NS6detail17trampoline_kernelINS0_14default_configENS1_22reduce_config_selectorIN6thrust23THRUST_200600_302600_NS5tupleIblNS6_9null_typeES8_S8_S8_S8_S8_S8_S8_EEEEZNS1_11reduce_implILb1ES3_NS6_12zip_iteratorINS7_INS6_11hip_rocprim26transform_input_iterator_tIbNSD_35transform_pair_of_input_iterators_tIbNS6_6detail15normal_iteratorINS6_10device_ptrIKtEEEESL_NS6_8equal_toItEEEENSG_9not_fun_tINSD_8identityEEEEENSD_19counting_iterator_tIlEES8_S8_S8_S8_S8_S8_S8_S8_EEEEPS9_S9_NSD_9__find_if7functorIS9_EEEE10hipError_tPvRmT1_T2_T3_mT4_P12ihipStream_tbEUlT_E0_NS1_11comp_targetILNS1_3genE10ELNS1_11target_archE1201ELNS1_3gpuE5ELNS1_3repE0EEENS1_30default_config_static_selectorELNS0_4arch9wavefront6targetE0EEEvS14_.num_named_barrier, 0
	.set _ZN7rocprim17ROCPRIM_400000_NS6detail17trampoline_kernelINS0_14default_configENS1_22reduce_config_selectorIN6thrust23THRUST_200600_302600_NS5tupleIblNS6_9null_typeES8_S8_S8_S8_S8_S8_S8_EEEEZNS1_11reduce_implILb1ES3_NS6_12zip_iteratorINS7_INS6_11hip_rocprim26transform_input_iterator_tIbNSD_35transform_pair_of_input_iterators_tIbNS6_6detail15normal_iteratorINS6_10device_ptrIKtEEEESL_NS6_8equal_toItEEEENSG_9not_fun_tINSD_8identityEEEEENSD_19counting_iterator_tIlEES8_S8_S8_S8_S8_S8_S8_S8_EEEEPS9_S9_NSD_9__find_if7functorIS9_EEEE10hipError_tPvRmT1_T2_T3_mT4_P12ihipStream_tbEUlT_E0_NS1_11comp_targetILNS1_3genE10ELNS1_11target_archE1201ELNS1_3gpuE5ELNS1_3repE0EEENS1_30default_config_static_selectorELNS0_4arch9wavefront6targetE0EEEvS14_.private_seg_size, 0
	.set _ZN7rocprim17ROCPRIM_400000_NS6detail17trampoline_kernelINS0_14default_configENS1_22reduce_config_selectorIN6thrust23THRUST_200600_302600_NS5tupleIblNS6_9null_typeES8_S8_S8_S8_S8_S8_S8_EEEEZNS1_11reduce_implILb1ES3_NS6_12zip_iteratorINS7_INS6_11hip_rocprim26transform_input_iterator_tIbNSD_35transform_pair_of_input_iterators_tIbNS6_6detail15normal_iteratorINS6_10device_ptrIKtEEEESL_NS6_8equal_toItEEEENSG_9not_fun_tINSD_8identityEEEEENSD_19counting_iterator_tIlEES8_S8_S8_S8_S8_S8_S8_S8_EEEEPS9_S9_NSD_9__find_if7functorIS9_EEEE10hipError_tPvRmT1_T2_T3_mT4_P12ihipStream_tbEUlT_E0_NS1_11comp_targetILNS1_3genE10ELNS1_11target_archE1201ELNS1_3gpuE5ELNS1_3repE0EEENS1_30default_config_static_selectorELNS0_4arch9wavefront6targetE0EEEvS14_.uses_vcc, 0
	.set _ZN7rocprim17ROCPRIM_400000_NS6detail17trampoline_kernelINS0_14default_configENS1_22reduce_config_selectorIN6thrust23THRUST_200600_302600_NS5tupleIblNS6_9null_typeES8_S8_S8_S8_S8_S8_S8_EEEEZNS1_11reduce_implILb1ES3_NS6_12zip_iteratorINS7_INS6_11hip_rocprim26transform_input_iterator_tIbNSD_35transform_pair_of_input_iterators_tIbNS6_6detail15normal_iteratorINS6_10device_ptrIKtEEEESL_NS6_8equal_toItEEEENSG_9not_fun_tINSD_8identityEEEEENSD_19counting_iterator_tIlEES8_S8_S8_S8_S8_S8_S8_S8_EEEEPS9_S9_NSD_9__find_if7functorIS9_EEEE10hipError_tPvRmT1_T2_T3_mT4_P12ihipStream_tbEUlT_E0_NS1_11comp_targetILNS1_3genE10ELNS1_11target_archE1201ELNS1_3gpuE5ELNS1_3repE0EEENS1_30default_config_static_selectorELNS0_4arch9wavefront6targetE0EEEvS14_.uses_flat_scratch, 0
	.set _ZN7rocprim17ROCPRIM_400000_NS6detail17trampoline_kernelINS0_14default_configENS1_22reduce_config_selectorIN6thrust23THRUST_200600_302600_NS5tupleIblNS6_9null_typeES8_S8_S8_S8_S8_S8_S8_EEEEZNS1_11reduce_implILb1ES3_NS6_12zip_iteratorINS7_INS6_11hip_rocprim26transform_input_iterator_tIbNSD_35transform_pair_of_input_iterators_tIbNS6_6detail15normal_iteratorINS6_10device_ptrIKtEEEESL_NS6_8equal_toItEEEENSG_9not_fun_tINSD_8identityEEEEENSD_19counting_iterator_tIlEES8_S8_S8_S8_S8_S8_S8_S8_EEEEPS9_S9_NSD_9__find_if7functorIS9_EEEE10hipError_tPvRmT1_T2_T3_mT4_P12ihipStream_tbEUlT_E0_NS1_11comp_targetILNS1_3genE10ELNS1_11target_archE1201ELNS1_3gpuE5ELNS1_3repE0EEENS1_30default_config_static_selectorELNS0_4arch9wavefront6targetE0EEEvS14_.has_dyn_sized_stack, 0
	.set _ZN7rocprim17ROCPRIM_400000_NS6detail17trampoline_kernelINS0_14default_configENS1_22reduce_config_selectorIN6thrust23THRUST_200600_302600_NS5tupleIblNS6_9null_typeES8_S8_S8_S8_S8_S8_S8_EEEEZNS1_11reduce_implILb1ES3_NS6_12zip_iteratorINS7_INS6_11hip_rocprim26transform_input_iterator_tIbNSD_35transform_pair_of_input_iterators_tIbNS6_6detail15normal_iteratorINS6_10device_ptrIKtEEEESL_NS6_8equal_toItEEEENSG_9not_fun_tINSD_8identityEEEEENSD_19counting_iterator_tIlEES8_S8_S8_S8_S8_S8_S8_S8_EEEEPS9_S9_NSD_9__find_if7functorIS9_EEEE10hipError_tPvRmT1_T2_T3_mT4_P12ihipStream_tbEUlT_E0_NS1_11comp_targetILNS1_3genE10ELNS1_11target_archE1201ELNS1_3gpuE5ELNS1_3repE0EEENS1_30default_config_static_selectorELNS0_4arch9wavefront6targetE0EEEvS14_.has_recursion, 0
	.set _ZN7rocprim17ROCPRIM_400000_NS6detail17trampoline_kernelINS0_14default_configENS1_22reduce_config_selectorIN6thrust23THRUST_200600_302600_NS5tupleIblNS6_9null_typeES8_S8_S8_S8_S8_S8_S8_EEEEZNS1_11reduce_implILb1ES3_NS6_12zip_iteratorINS7_INS6_11hip_rocprim26transform_input_iterator_tIbNSD_35transform_pair_of_input_iterators_tIbNS6_6detail15normal_iteratorINS6_10device_ptrIKtEEEESL_NS6_8equal_toItEEEENSG_9not_fun_tINSD_8identityEEEEENSD_19counting_iterator_tIlEES8_S8_S8_S8_S8_S8_S8_S8_EEEEPS9_S9_NSD_9__find_if7functorIS9_EEEE10hipError_tPvRmT1_T2_T3_mT4_P12ihipStream_tbEUlT_E0_NS1_11comp_targetILNS1_3genE10ELNS1_11target_archE1201ELNS1_3gpuE5ELNS1_3repE0EEENS1_30default_config_static_selectorELNS0_4arch9wavefront6targetE0EEEvS14_.has_indirect_call, 0
	.section	.AMDGPU.csdata,"",@progbits
; Kernel info:
; codeLenInByte = 0
; TotalNumSgprs: 0
; NumVgprs: 0
; ScratchSize: 0
; MemoryBound: 0
; FloatMode: 240
; IeeeMode: 1
; LDSByteSize: 0 bytes/workgroup (compile time only)
; SGPRBlocks: 0
; VGPRBlocks: 0
; NumSGPRsForWavesPerEU: 1
; NumVGPRsForWavesPerEU: 1
; NamedBarCnt: 0
; Occupancy: 16
; WaveLimiterHint : 0
; COMPUTE_PGM_RSRC2:SCRATCH_EN: 0
; COMPUTE_PGM_RSRC2:USER_SGPR: 2
; COMPUTE_PGM_RSRC2:TRAP_HANDLER: 0
; COMPUTE_PGM_RSRC2:TGID_X_EN: 1
; COMPUTE_PGM_RSRC2:TGID_Y_EN: 0
; COMPUTE_PGM_RSRC2:TGID_Z_EN: 0
; COMPUTE_PGM_RSRC2:TIDIG_COMP_CNT: 0
	.section	.text._ZN7rocprim17ROCPRIM_400000_NS6detail17trampoline_kernelINS0_14default_configENS1_22reduce_config_selectorIN6thrust23THRUST_200600_302600_NS5tupleIblNS6_9null_typeES8_S8_S8_S8_S8_S8_S8_EEEEZNS1_11reduce_implILb1ES3_NS6_12zip_iteratorINS7_INS6_11hip_rocprim26transform_input_iterator_tIbNSD_35transform_pair_of_input_iterators_tIbNS6_6detail15normal_iteratorINS6_10device_ptrIKtEEEESL_NS6_8equal_toItEEEENSG_9not_fun_tINSD_8identityEEEEENSD_19counting_iterator_tIlEES8_S8_S8_S8_S8_S8_S8_S8_EEEEPS9_S9_NSD_9__find_if7functorIS9_EEEE10hipError_tPvRmT1_T2_T3_mT4_P12ihipStream_tbEUlT_E0_NS1_11comp_targetILNS1_3genE10ELNS1_11target_archE1200ELNS1_3gpuE4ELNS1_3repE0EEENS1_30default_config_static_selectorELNS0_4arch9wavefront6targetE0EEEvS14_,"axG",@progbits,_ZN7rocprim17ROCPRIM_400000_NS6detail17trampoline_kernelINS0_14default_configENS1_22reduce_config_selectorIN6thrust23THRUST_200600_302600_NS5tupleIblNS6_9null_typeES8_S8_S8_S8_S8_S8_S8_EEEEZNS1_11reduce_implILb1ES3_NS6_12zip_iteratorINS7_INS6_11hip_rocprim26transform_input_iterator_tIbNSD_35transform_pair_of_input_iterators_tIbNS6_6detail15normal_iteratorINS6_10device_ptrIKtEEEESL_NS6_8equal_toItEEEENSG_9not_fun_tINSD_8identityEEEEENSD_19counting_iterator_tIlEES8_S8_S8_S8_S8_S8_S8_S8_EEEEPS9_S9_NSD_9__find_if7functorIS9_EEEE10hipError_tPvRmT1_T2_T3_mT4_P12ihipStream_tbEUlT_E0_NS1_11comp_targetILNS1_3genE10ELNS1_11target_archE1200ELNS1_3gpuE4ELNS1_3repE0EEENS1_30default_config_static_selectorELNS0_4arch9wavefront6targetE0EEEvS14_,comdat
	.protected	_ZN7rocprim17ROCPRIM_400000_NS6detail17trampoline_kernelINS0_14default_configENS1_22reduce_config_selectorIN6thrust23THRUST_200600_302600_NS5tupleIblNS6_9null_typeES8_S8_S8_S8_S8_S8_S8_EEEEZNS1_11reduce_implILb1ES3_NS6_12zip_iteratorINS7_INS6_11hip_rocprim26transform_input_iterator_tIbNSD_35transform_pair_of_input_iterators_tIbNS6_6detail15normal_iteratorINS6_10device_ptrIKtEEEESL_NS6_8equal_toItEEEENSG_9not_fun_tINSD_8identityEEEEENSD_19counting_iterator_tIlEES8_S8_S8_S8_S8_S8_S8_S8_EEEEPS9_S9_NSD_9__find_if7functorIS9_EEEE10hipError_tPvRmT1_T2_T3_mT4_P12ihipStream_tbEUlT_E0_NS1_11comp_targetILNS1_3genE10ELNS1_11target_archE1200ELNS1_3gpuE4ELNS1_3repE0EEENS1_30default_config_static_selectorELNS0_4arch9wavefront6targetE0EEEvS14_ ; -- Begin function _ZN7rocprim17ROCPRIM_400000_NS6detail17trampoline_kernelINS0_14default_configENS1_22reduce_config_selectorIN6thrust23THRUST_200600_302600_NS5tupleIblNS6_9null_typeES8_S8_S8_S8_S8_S8_S8_EEEEZNS1_11reduce_implILb1ES3_NS6_12zip_iteratorINS7_INS6_11hip_rocprim26transform_input_iterator_tIbNSD_35transform_pair_of_input_iterators_tIbNS6_6detail15normal_iteratorINS6_10device_ptrIKtEEEESL_NS6_8equal_toItEEEENSG_9not_fun_tINSD_8identityEEEEENSD_19counting_iterator_tIlEES8_S8_S8_S8_S8_S8_S8_S8_EEEEPS9_S9_NSD_9__find_if7functorIS9_EEEE10hipError_tPvRmT1_T2_T3_mT4_P12ihipStream_tbEUlT_E0_NS1_11comp_targetILNS1_3genE10ELNS1_11target_archE1200ELNS1_3gpuE4ELNS1_3repE0EEENS1_30default_config_static_selectorELNS0_4arch9wavefront6targetE0EEEvS14_
	.globl	_ZN7rocprim17ROCPRIM_400000_NS6detail17trampoline_kernelINS0_14default_configENS1_22reduce_config_selectorIN6thrust23THRUST_200600_302600_NS5tupleIblNS6_9null_typeES8_S8_S8_S8_S8_S8_S8_EEEEZNS1_11reduce_implILb1ES3_NS6_12zip_iteratorINS7_INS6_11hip_rocprim26transform_input_iterator_tIbNSD_35transform_pair_of_input_iterators_tIbNS6_6detail15normal_iteratorINS6_10device_ptrIKtEEEESL_NS6_8equal_toItEEEENSG_9not_fun_tINSD_8identityEEEEENSD_19counting_iterator_tIlEES8_S8_S8_S8_S8_S8_S8_S8_EEEEPS9_S9_NSD_9__find_if7functorIS9_EEEE10hipError_tPvRmT1_T2_T3_mT4_P12ihipStream_tbEUlT_E0_NS1_11comp_targetILNS1_3genE10ELNS1_11target_archE1200ELNS1_3gpuE4ELNS1_3repE0EEENS1_30default_config_static_selectorELNS0_4arch9wavefront6targetE0EEEvS14_
	.p2align	8
	.type	_ZN7rocprim17ROCPRIM_400000_NS6detail17trampoline_kernelINS0_14default_configENS1_22reduce_config_selectorIN6thrust23THRUST_200600_302600_NS5tupleIblNS6_9null_typeES8_S8_S8_S8_S8_S8_S8_EEEEZNS1_11reduce_implILb1ES3_NS6_12zip_iteratorINS7_INS6_11hip_rocprim26transform_input_iterator_tIbNSD_35transform_pair_of_input_iterators_tIbNS6_6detail15normal_iteratorINS6_10device_ptrIKtEEEESL_NS6_8equal_toItEEEENSG_9not_fun_tINSD_8identityEEEEENSD_19counting_iterator_tIlEES8_S8_S8_S8_S8_S8_S8_S8_EEEEPS9_S9_NSD_9__find_if7functorIS9_EEEE10hipError_tPvRmT1_T2_T3_mT4_P12ihipStream_tbEUlT_E0_NS1_11comp_targetILNS1_3genE10ELNS1_11target_archE1200ELNS1_3gpuE4ELNS1_3repE0EEENS1_30default_config_static_selectorELNS0_4arch9wavefront6targetE0EEEvS14_,@function
_ZN7rocprim17ROCPRIM_400000_NS6detail17trampoline_kernelINS0_14default_configENS1_22reduce_config_selectorIN6thrust23THRUST_200600_302600_NS5tupleIblNS6_9null_typeES8_S8_S8_S8_S8_S8_S8_EEEEZNS1_11reduce_implILb1ES3_NS6_12zip_iteratorINS7_INS6_11hip_rocprim26transform_input_iterator_tIbNSD_35transform_pair_of_input_iterators_tIbNS6_6detail15normal_iteratorINS6_10device_ptrIKtEEEESL_NS6_8equal_toItEEEENSG_9not_fun_tINSD_8identityEEEEENSD_19counting_iterator_tIlEES8_S8_S8_S8_S8_S8_S8_S8_EEEEPS9_S9_NSD_9__find_if7functorIS9_EEEE10hipError_tPvRmT1_T2_T3_mT4_P12ihipStream_tbEUlT_E0_NS1_11comp_targetILNS1_3genE10ELNS1_11target_archE1200ELNS1_3gpuE4ELNS1_3repE0EEENS1_30default_config_static_selectorELNS0_4arch9wavefront6targetE0EEEvS14_: ; @_ZN7rocprim17ROCPRIM_400000_NS6detail17trampoline_kernelINS0_14default_configENS1_22reduce_config_selectorIN6thrust23THRUST_200600_302600_NS5tupleIblNS6_9null_typeES8_S8_S8_S8_S8_S8_S8_EEEEZNS1_11reduce_implILb1ES3_NS6_12zip_iteratorINS7_INS6_11hip_rocprim26transform_input_iterator_tIbNSD_35transform_pair_of_input_iterators_tIbNS6_6detail15normal_iteratorINS6_10device_ptrIKtEEEESL_NS6_8equal_toItEEEENSG_9not_fun_tINSD_8identityEEEEENSD_19counting_iterator_tIlEES8_S8_S8_S8_S8_S8_S8_S8_EEEEPS9_S9_NSD_9__find_if7functorIS9_EEEE10hipError_tPvRmT1_T2_T3_mT4_P12ihipStream_tbEUlT_E0_NS1_11comp_targetILNS1_3genE10ELNS1_11target_archE1200ELNS1_3gpuE4ELNS1_3repE0EEENS1_30default_config_static_selectorELNS0_4arch9wavefront6targetE0EEEvS14_
; %bb.0:
	.section	.rodata,"a",@progbits
	.p2align	6, 0x0
	.amdhsa_kernel _ZN7rocprim17ROCPRIM_400000_NS6detail17trampoline_kernelINS0_14default_configENS1_22reduce_config_selectorIN6thrust23THRUST_200600_302600_NS5tupleIblNS6_9null_typeES8_S8_S8_S8_S8_S8_S8_EEEEZNS1_11reduce_implILb1ES3_NS6_12zip_iteratorINS7_INS6_11hip_rocprim26transform_input_iterator_tIbNSD_35transform_pair_of_input_iterators_tIbNS6_6detail15normal_iteratorINS6_10device_ptrIKtEEEESL_NS6_8equal_toItEEEENSG_9not_fun_tINSD_8identityEEEEENSD_19counting_iterator_tIlEES8_S8_S8_S8_S8_S8_S8_S8_EEEEPS9_S9_NSD_9__find_if7functorIS9_EEEE10hipError_tPvRmT1_T2_T3_mT4_P12ihipStream_tbEUlT_E0_NS1_11comp_targetILNS1_3genE10ELNS1_11target_archE1200ELNS1_3gpuE4ELNS1_3repE0EEENS1_30default_config_static_selectorELNS0_4arch9wavefront6targetE0EEEvS14_
		.amdhsa_group_segment_fixed_size 0
		.amdhsa_private_segment_fixed_size 0
		.amdhsa_kernarg_size 104
		.amdhsa_user_sgpr_count 2
		.amdhsa_user_sgpr_dispatch_ptr 0
		.amdhsa_user_sgpr_queue_ptr 0
		.amdhsa_user_sgpr_kernarg_segment_ptr 1
		.amdhsa_user_sgpr_dispatch_id 0
		.amdhsa_user_sgpr_kernarg_preload_length 0
		.amdhsa_user_sgpr_kernarg_preload_offset 0
		.amdhsa_user_sgpr_private_segment_size 0
		.amdhsa_wavefront_size32 1
		.amdhsa_uses_dynamic_stack 0
		.amdhsa_enable_private_segment 0
		.amdhsa_system_sgpr_workgroup_id_x 1
		.amdhsa_system_sgpr_workgroup_id_y 0
		.amdhsa_system_sgpr_workgroup_id_z 0
		.amdhsa_system_sgpr_workgroup_info 0
		.amdhsa_system_vgpr_workitem_id 0
		.amdhsa_next_free_vgpr 1
		.amdhsa_next_free_sgpr 1
		.amdhsa_named_barrier_count 0
		.amdhsa_reserve_vcc 0
		.amdhsa_float_round_mode_32 0
		.amdhsa_float_round_mode_16_64 0
		.amdhsa_float_denorm_mode_32 3
		.amdhsa_float_denorm_mode_16_64 3
		.amdhsa_fp16_overflow 0
		.amdhsa_memory_ordered 1
		.amdhsa_forward_progress 1
		.amdhsa_inst_pref_size 0
		.amdhsa_round_robin_scheduling 0
		.amdhsa_exception_fp_ieee_invalid_op 0
		.amdhsa_exception_fp_denorm_src 0
		.amdhsa_exception_fp_ieee_div_zero 0
		.amdhsa_exception_fp_ieee_overflow 0
		.amdhsa_exception_fp_ieee_underflow 0
		.amdhsa_exception_fp_ieee_inexact 0
		.amdhsa_exception_int_div_zero 0
	.end_amdhsa_kernel
	.section	.text._ZN7rocprim17ROCPRIM_400000_NS6detail17trampoline_kernelINS0_14default_configENS1_22reduce_config_selectorIN6thrust23THRUST_200600_302600_NS5tupleIblNS6_9null_typeES8_S8_S8_S8_S8_S8_S8_EEEEZNS1_11reduce_implILb1ES3_NS6_12zip_iteratorINS7_INS6_11hip_rocprim26transform_input_iterator_tIbNSD_35transform_pair_of_input_iterators_tIbNS6_6detail15normal_iteratorINS6_10device_ptrIKtEEEESL_NS6_8equal_toItEEEENSG_9not_fun_tINSD_8identityEEEEENSD_19counting_iterator_tIlEES8_S8_S8_S8_S8_S8_S8_S8_EEEEPS9_S9_NSD_9__find_if7functorIS9_EEEE10hipError_tPvRmT1_T2_T3_mT4_P12ihipStream_tbEUlT_E0_NS1_11comp_targetILNS1_3genE10ELNS1_11target_archE1200ELNS1_3gpuE4ELNS1_3repE0EEENS1_30default_config_static_selectorELNS0_4arch9wavefront6targetE0EEEvS14_,"axG",@progbits,_ZN7rocprim17ROCPRIM_400000_NS6detail17trampoline_kernelINS0_14default_configENS1_22reduce_config_selectorIN6thrust23THRUST_200600_302600_NS5tupleIblNS6_9null_typeES8_S8_S8_S8_S8_S8_S8_EEEEZNS1_11reduce_implILb1ES3_NS6_12zip_iteratorINS7_INS6_11hip_rocprim26transform_input_iterator_tIbNSD_35transform_pair_of_input_iterators_tIbNS6_6detail15normal_iteratorINS6_10device_ptrIKtEEEESL_NS6_8equal_toItEEEENSG_9not_fun_tINSD_8identityEEEEENSD_19counting_iterator_tIlEES8_S8_S8_S8_S8_S8_S8_S8_EEEEPS9_S9_NSD_9__find_if7functorIS9_EEEE10hipError_tPvRmT1_T2_T3_mT4_P12ihipStream_tbEUlT_E0_NS1_11comp_targetILNS1_3genE10ELNS1_11target_archE1200ELNS1_3gpuE4ELNS1_3repE0EEENS1_30default_config_static_selectorELNS0_4arch9wavefront6targetE0EEEvS14_,comdat
.Lfunc_end194:
	.size	_ZN7rocprim17ROCPRIM_400000_NS6detail17trampoline_kernelINS0_14default_configENS1_22reduce_config_selectorIN6thrust23THRUST_200600_302600_NS5tupleIblNS6_9null_typeES8_S8_S8_S8_S8_S8_S8_EEEEZNS1_11reduce_implILb1ES3_NS6_12zip_iteratorINS7_INS6_11hip_rocprim26transform_input_iterator_tIbNSD_35transform_pair_of_input_iterators_tIbNS6_6detail15normal_iteratorINS6_10device_ptrIKtEEEESL_NS6_8equal_toItEEEENSG_9not_fun_tINSD_8identityEEEEENSD_19counting_iterator_tIlEES8_S8_S8_S8_S8_S8_S8_S8_EEEEPS9_S9_NSD_9__find_if7functorIS9_EEEE10hipError_tPvRmT1_T2_T3_mT4_P12ihipStream_tbEUlT_E0_NS1_11comp_targetILNS1_3genE10ELNS1_11target_archE1200ELNS1_3gpuE4ELNS1_3repE0EEENS1_30default_config_static_selectorELNS0_4arch9wavefront6targetE0EEEvS14_, .Lfunc_end194-_ZN7rocprim17ROCPRIM_400000_NS6detail17trampoline_kernelINS0_14default_configENS1_22reduce_config_selectorIN6thrust23THRUST_200600_302600_NS5tupleIblNS6_9null_typeES8_S8_S8_S8_S8_S8_S8_EEEEZNS1_11reduce_implILb1ES3_NS6_12zip_iteratorINS7_INS6_11hip_rocprim26transform_input_iterator_tIbNSD_35transform_pair_of_input_iterators_tIbNS6_6detail15normal_iteratorINS6_10device_ptrIKtEEEESL_NS6_8equal_toItEEEENSG_9not_fun_tINSD_8identityEEEEENSD_19counting_iterator_tIlEES8_S8_S8_S8_S8_S8_S8_S8_EEEEPS9_S9_NSD_9__find_if7functorIS9_EEEE10hipError_tPvRmT1_T2_T3_mT4_P12ihipStream_tbEUlT_E0_NS1_11comp_targetILNS1_3genE10ELNS1_11target_archE1200ELNS1_3gpuE4ELNS1_3repE0EEENS1_30default_config_static_selectorELNS0_4arch9wavefront6targetE0EEEvS14_
                                        ; -- End function
	.set _ZN7rocprim17ROCPRIM_400000_NS6detail17trampoline_kernelINS0_14default_configENS1_22reduce_config_selectorIN6thrust23THRUST_200600_302600_NS5tupleIblNS6_9null_typeES8_S8_S8_S8_S8_S8_S8_EEEEZNS1_11reduce_implILb1ES3_NS6_12zip_iteratorINS7_INS6_11hip_rocprim26transform_input_iterator_tIbNSD_35transform_pair_of_input_iterators_tIbNS6_6detail15normal_iteratorINS6_10device_ptrIKtEEEESL_NS6_8equal_toItEEEENSG_9not_fun_tINSD_8identityEEEEENSD_19counting_iterator_tIlEES8_S8_S8_S8_S8_S8_S8_S8_EEEEPS9_S9_NSD_9__find_if7functorIS9_EEEE10hipError_tPvRmT1_T2_T3_mT4_P12ihipStream_tbEUlT_E0_NS1_11comp_targetILNS1_3genE10ELNS1_11target_archE1200ELNS1_3gpuE4ELNS1_3repE0EEENS1_30default_config_static_selectorELNS0_4arch9wavefront6targetE0EEEvS14_.num_vgpr, 0
	.set _ZN7rocprim17ROCPRIM_400000_NS6detail17trampoline_kernelINS0_14default_configENS1_22reduce_config_selectorIN6thrust23THRUST_200600_302600_NS5tupleIblNS6_9null_typeES8_S8_S8_S8_S8_S8_S8_EEEEZNS1_11reduce_implILb1ES3_NS6_12zip_iteratorINS7_INS6_11hip_rocprim26transform_input_iterator_tIbNSD_35transform_pair_of_input_iterators_tIbNS6_6detail15normal_iteratorINS6_10device_ptrIKtEEEESL_NS6_8equal_toItEEEENSG_9not_fun_tINSD_8identityEEEEENSD_19counting_iterator_tIlEES8_S8_S8_S8_S8_S8_S8_S8_EEEEPS9_S9_NSD_9__find_if7functorIS9_EEEE10hipError_tPvRmT1_T2_T3_mT4_P12ihipStream_tbEUlT_E0_NS1_11comp_targetILNS1_3genE10ELNS1_11target_archE1200ELNS1_3gpuE4ELNS1_3repE0EEENS1_30default_config_static_selectorELNS0_4arch9wavefront6targetE0EEEvS14_.num_agpr, 0
	.set _ZN7rocprim17ROCPRIM_400000_NS6detail17trampoline_kernelINS0_14default_configENS1_22reduce_config_selectorIN6thrust23THRUST_200600_302600_NS5tupleIblNS6_9null_typeES8_S8_S8_S8_S8_S8_S8_EEEEZNS1_11reduce_implILb1ES3_NS6_12zip_iteratorINS7_INS6_11hip_rocprim26transform_input_iterator_tIbNSD_35transform_pair_of_input_iterators_tIbNS6_6detail15normal_iteratorINS6_10device_ptrIKtEEEESL_NS6_8equal_toItEEEENSG_9not_fun_tINSD_8identityEEEEENSD_19counting_iterator_tIlEES8_S8_S8_S8_S8_S8_S8_S8_EEEEPS9_S9_NSD_9__find_if7functorIS9_EEEE10hipError_tPvRmT1_T2_T3_mT4_P12ihipStream_tbEUlT_E0_NS1_11comp_targetILNS1_3genE10ELNS1_11target_archE1200ELNS1_3gpuE4ELNS1_3repE0EEENS1_30default_config_static_selectorELNS0_4arch9wavefront6targetE0EEEvS14_.numbered_sgpr, 0
	.set _ZN7rocprim17ROCPRIM_400000_NS6detail17trampoline_kernelINS0_14default_configENS1_22reduce_config_selectorIN6thrust23THRUST_200600_302600_NS5tupleIblNS6_9null_typeES8_S8_S8_S8_S8_S8_S8_EEEEZNS1_11reduce_implILb1ES3_NS6_12zip_iteratorINS7_INS6_11hip_rocprim26transform_input_iterator_tIbNSD_35transform_pair_of_input_iterators_tIbNS6_6detail15normal_iteratorINS6_10device_ptrIKtEEEESL_NS6_8equal_toItEEEENSG_9not_fun_tINSD_8identityEEEEENSD_19counting_iterator_tIlEES8_S8_S8_S8_S8_S8_S8_S8_EEEEPS9_S9_NSD_9__find_if7functorIS9_EEEE10hipError_tPvRmT1_T2_T3_mT4_P12ihipStream_tbEUlT_E0_NS1_11comp_targetILNS1_3genE10ELNS1_11target_archE1200ELNS1_3gpuE4ELNS1_3repE0EEENS1_30default_config_static_selectorELNS0_4arch9wavefront6targetE0EEEvS14_.num_named_barrier, 0
	.set _ZN7rocprim17ROCPRIM_400000_NS6detail17trampoline_kernelINS0_14default_configENS1_22reduce_config_selectorIN6thrust23THRUST_200600_302600_NS5tupleIblNS6_9null_typeES8_S8_S8_S8_S8_S8_S8_EEEEZNS1_11reduce_implILb1ES3_NS6_12zip_iteratorINS7_INS6_11hip_rocprim26transform_input_iterator_tIbNSD_35transform_pair_of_input_iterators_tIbNS6_6detail15normal_iteratorINS6_10device_ptrIKtEEEESL_NS6_8equal_toItEEEENSG_9not_fun_tINSD_8identityEEEEENSD_19counting_iterator_tIlEES8_S8_S8_S8_S8_S8_S8_S8_EEEEPS9_S9_NSD_9__find_if7functorIS9_EEEE10hipError_tPvRmT1_T2_T3_mT4_P12ihipStream_tbEUlT_E0_NS1_11comp_targetILNS1_3genE10ELNS1_11target_archE1200ELNS1_3gpuE4ELNS1_3repE0EEENS1_30default_config_static_selectorELNS0_4arch9wavefront6targetE0EEEvS14_.private_seg_size, 0
	.set _ZN7rocprim17ROCPRIM_400000_NS6detail17trampoline_kernelINS0_14default_configENS1_22reduce_config_selectorIN6thrust23THRUST_200600_302600_NS5tupleIblNS6_9null_typeES8_S8_S8_S8_S8_S8_S8_EEEEZNS1_11reduce_implILb1ES3_NS6_12zip_iteratorINS7_INS6_11hip_rocprim26transform_input_iterator_tIbNSD_35transform_pair_of_input_iterators_tIbNS6_6detail15normal_iteratorINS6_10device_ptrIKtEEEESL_NS6_8equal_toItEEEENSG_9not_fun_tINSD_8identityEEEEENSD_19counting_iterator_tIlEES8_S8_S8_S8_S8_S8_S8_S8_EEEEPS9_S9_NSD_9__find_if7functorIS9_EEEE10hipError_tPvRmT1_T2_T3_mT4_P12ihipStream_tbEUlT_E0_NS1_11comp_targetILNS1_3genE10ELNS1_11target_archE1200ELNS1_3gpuE4ELNS1_3repE0EEENS1_30default_config_static_selectorELNS0_4arch9wavefront6targetE0EEEvS14_.uses_vcc, 0
	.set _ZN7rocprim17ROCPRIM_400000_NS6detail17trampoline_kernelINS0_14default_configENS1_22reduce_config_selectorIN6thrust23THRUST_200600_302600_NS5tupleIblNS6_9null_typeES8_S8_S8_S8_S8_S8_S8_EEEEZNS1_11reduce_implILb1ES3_NS6_12zip_iteratorINS7_INS6_11hip_rocprim26transform_input_iterator_tIbNSD_35transform_pair_of_input_iterators_tIbNS6_6detail15normal_iteratorINS6_10device_ptrIKtEEEESL_NS6_8equal_toItEEEENSG_9not_fun_tINSD_8identityEEEEENSD_19counting_iterator_tIlEES8_S8_S8_S8_S8_S8_S8_S8_EEEEPS9_S9_NSD_9__find_if7functorIS9_EEEE10hipError_tPvRmT1_T2_T3_mT4_P12ihipStream_tbEUlT_E0_NS1_11comp_targetILNS1_3genE10ELNS1_11target_archE1200ELNS1_3gpuE4ELNS1_3repE0EEENS1_30default_config_static_selectorELNS0_4arch9wavefront6targetE0EEEvS14_.uses_flat_scratch, 0
	.set _ZN7rocprim17ROCPRIM_400000_NS6detail17trampoline_kernelINS0_14default_configENS1_22reduce_config_selectorIN6thrust23THRUST_200600_302600_NS5tupleIblNS6_9null_typeES8_S8_S8_S8_S8_S8_S8_EEEEZNS1_11reduce_implILb1ES3_NS6_12zip_iteratorINS7_INS6_11hip_rocprim26transform_input_iterator_tIbNSD_35transform_pair_of_input_iterators_tIbNS6_6detail15normal_iteratorINS6_10device_ptrIKtEEEESL_NS6_8equal_toItEEEENSG_9not_fun_tINSD_8identityEEEEENSD_19counting_iterator_tIlEES8_S8_S8_S8_S8_S8_S8_S8_EEEEPS9_S9_NSD_9__find_if7functorIS9_EEEE10hipError_tPvRmT1_T2_T3_mT4_P12ihipStream_tbEUlT_E0_NS1_11comp_targetILNS1_3genE10ELNS1_11target_archE1200ELNS1_3gpuE4ELNS1_3repE0EEENS1_30default_config_static_selectorELNS0_4arch9wavefront6targetE0EEEvS14_.has_dyn_sized_stack, 0
	.set _ZN7rocprim17ROCPRIM_400000_NS6detail17trampoline_kernelINS0_14default_configENS1_22reduce_config_selectorIN6thrust23THRUST_200600_302600_NS5tupleIblNS6_9null_typeES8_S8_S8_S8_S8_S8_S8_EEEEZNS1_11reduce_implILb1ES3_NS6_12zip_iteratorINS7_INS6_11hip_rocprim26transform_input_iterator_tIbNSD_35transform_pair_of_input_iterators_tIbNS6_6detail15normal_iteratorINS6_10device_ptrIKtEEEESL_NS6_8equal_toItEEEENSG_9not_fun_tINSD_8identityEEEEENSD_19counting_iterator_tIlEES8_S8_S8_S8_S8_S8_S8_S8_EEEEPS9_S9_NSD_9__find_if7functorIS9_EEEE10hipError_tPvRmT1_T2_T3_mT4_P12ihipStream_tbEUlT_E0_NS1_11comp_targetILNS1_3genE10ELNS1_11target_archE1200ELNS1_3gpuE4ELNS1_3repE0EEENS1_30default_config_static_selectorELNS0_4arch9wavefront6targetE0EEEvS14_.has_recursion, 0
	.set _ZN7rocprim17ROCPRIM_400000_NS6detail17trampoline_kernelINS0_14default_configENS1_22reduce_config_selectorIN6thrust23THRUST_200600_302600_NS5tupleIblNS6_9null_typeES8_S8_S8_S8_S8_S8_S8_EEEEZNS1_11reduce_implILb1ES3_NS6_12zip_iteratorINS7_INS6_11hip_rocprim26transform_input_iterator_tIbNSD_35transform_pair_of_input_iterators_tIbNS6_6detail15normal_iteratorINS6_10device_ptrIKtEEEESL_NS6_8equal_toItEEEENSG_9not_fun_tINSD_8identityEEEEENSD_19counting_iterator_tIlEES8_S8_S8_S8_S8_S8_S8_S8_EEEEPS9_S9_NSD_9__find_if7functorIS9_EEEE10hipError_tPvRmT1_T2_T3_mT4_P12ihipStream_tbEUlT_E0_NS1_11comp_targetILNS1_3genE10ELNS1_11target_archE1200ELNS1_3gpuE4ELNS1_3repE0EEENS1_30default_config_static_selectorELNS0_4arch9wavefront6targetE0EEEvS14_.has_indirect_call, 0
	.section	.AMDGPU.csdata,"",@progbits
; Kernel info:
; codeLenInByte = 0
; TotalNumSgprs: 0
; NumVgprs: 0
; ScratchSize: 0
; MemoryBound: 0
; FloatMode: 240
; IeeeMode: 1
; LDSByteSize: 0 bytes/workgroup (compile time only)
; SGPRBlocks: 0
; VGPRBlocks: 0
; NumSGPRsForWavesPerEU: 1
; NumVGPRsForWavesPerEU: 1
; NamedBarCnt: 0
; Occupancy: 16
; WaveLimiterHint : 0
; COMPUTE_PGM_RSRC2:SCRATCH_EN: 0
; COMPUTE_PGM_RSRC2:USER_SGPR: 2
; COMPUTE_PGM_RSRC2:TRAP_HANDLER: 0
; COMPUTE_PGM_RSRC2:TGID_X_EN: 1
; COMPUTE_PGM_RSRC2:TGID_Y_EN: 0
; COMPUTE_PGM_RSRC2:TGID_Z_EN: 0
; COMPUTE_PGM_RSRC2:TIDIG_COMP_CNT: 0
	.section	.text._ZN7rocprim17ROCPRIM_400000_NS6detail17trampoline_kernelINS0_14default_configENS1_22reduce_config_selectorIN6thrust23THRUST_200600_302600_NS5tupleIblNS6_9null_typeES8_S8_S8_S8_S8_S8_S8_EEEEZNS1_11reduce_implILb1ES3_NS6_12zip_iteratorINS7_INS6_11hip_rocprim26transform_input_iterator_tIbNSD_35transform_pair_of_input_iterators_tIbNS6_6detail15normal_iteratorINS6_10device_ptrIKtEEEESL_NS6_8equal_toItEEEENSG_9not_fun_tINSD_8identityEEEEENSD_19counting_iterator_tIlEES8_S8_S8_S8_S8_S8_S8_S8_EEEEPS9_S9_NSD_9__find_if7functorIS9_EEEE10hipError_tPvRmT1_T2_T3_mT4_P12ihipStream_tbEUlT_E0_NS1_11comp_targetILNS1_3genE9ELNS1_11target_archE1100ELNS1_3gpuE3ELNS1_3repE0EEENS1_30default_config_static_selectorELNS0_4arch9wavefront6targetE0EEEvS14_,"axG",@progbits,_ZN7rocprim17ROCPRIM_400000_NS6detail17trampoline_kernelINS0_14default_configENS1_22reduce_config_selectorIN6thrust23THRUST_200600_302600_NS5tupleIblNS6_9null_typeES8_S8_S8_S8_S8_S8_S8_EEEEZNS1_11reduce_implILb1ES3_NS6_12zip_iteratorINS7_INS6_11hip_rocprim26transform_input_iterator_tIbNSD_35transform_pair_of_input_iterators_tIbNS6_6detail15normal_iteratorINS6_10device_ptrIKtEEEESL_NS6_8equal_toItEEEENSG_9not_fun_tINSD_8identityEEEEENSD_19counting_iterator_tIlEES8_S8_S8_S8_S8_S8_S8_S8_EEEEPS9_S9_NSD_9__find_if7functorIS9_EEEE10hipError_tPvRmT1_T2_T3_mT4_P12ihipStream_tbEUlT_E0_NS1_11comp_targetILNS1_3genE9ELNS1_11target_archE1100ELNS1_3gpuE3ELNS1_3repE0EEENS1_30default_config_static_selectorELNS0_4arch9wavefront6targetE0EEEvS14_,comdat
	.protected	_ZN7rocprim17ROCPRIM_400000_NS6detail17trampoline_kernelINS0_14default_configENS1_22reduce_config_selectorIN6thrust23THRUST_200600_302600_NS5tupleIblNS6_9null_typeES8_S8_S8_S8_S8_S8_S8_EEEEZNS1_11reduce_implILb1ES3_NS6_12zip_iteratorINS7_INS6_11hip_rocprim26transform_input_iterator_tIbNSD_35transform_pair_of_input_iterators_tIbNS6_6detail15normal_iteratorINS6_10device_ptrIKtEEEESL_NS6_8equal_toItEEEENSG_9not_fun_tINSD_8identityEEEEENSD_19counting_iterator_tIlEES8_S8_S8_S8_S8_S8_S8_S8_EEEEPS9_S9_NSD_9__find_if7functorIS9_EEEE10hipError_tPvRmT1_T2_T3_mT4_P12ihipStream_tbEUlT_E0_NS1_11comp_targetILNS1_3genE9ELNS1_11target_archE1100ELNS1_3gpuE3ELNS1_3repE0EEENS1_30default_config_static_selectorELNS0_4arch9wavefront6targetE0EEEvS14_ ; -- Begin function _ZN7rocprim17ROCPRIM_400000_NS6detail17trampoline_kernelINS0_14default_configENS1_22reduce_config_selectorIN6thrust23THRUST_200600_302600_NS5tupleIblNS6_9null_typeES8_S8_S8_S8_S8_S8_S8_EEEEZNS1_11reduce_implILb1ES3_NS6_12zip_iteratorINS7_INS6_11hip_rocprim26transform_input_iterator_tIbNSD_35transform_pair_of_input_iterators_tIbNS6_6detail15normal_iteratorINS6_10device_ptrIKtEEEESL_NS6_8equal_toItEEEENSG_9not_fun_tINSD_8identityEEEEENSD_19counting_iterator_tIlEES8_S8_S8_S8_S8_S8_S8_S8_EEEEPS9_S9_NSD_9__find_if7functorIS9_EEEE10hipError_tPvRmT1_T2_T3_mT4_P12ihipStream_tbEUlT_E0_NS1_11comp_targetILNS1_3genE9ELNS1_11target_archE1100ELNS1_3gpuE3ELNS1_3repE0EEENS1_30default_config_static_selectorELNS0_4arch9wavefront6targetE0EEEvS14_
	.globl	_ZN7rocprim17ROCPRIM_400000_NS6detail17trampoline_kernelINS0_14default_configENS1_22reduce_config_selectorIN6thrust23THRUST_200600_302600_NS5tupleIblNS6_9null_typeES8_S8_S8_S8_S8_S8_S8_EEEEZNS1_11reduce_implILb1ES3_NS6_12zip_iteratorINS7_INS6_11hip_rocprim26transform_input_iterator_tIbNSD_35transform_pair_of_input_iterators_tIbNS6_6detail15normal_iteratorINS6_10device_ptrIKtEEEESL_NS6_8equal_toItEEEENSG_9not_fun_tINSD_8identityEEEEENSD_19counting_iterator_tIlEES8_S8_S8_S8_S8_S8_S8_S8_EEEEPS9_S9_NSD_9__find_if7functorIS9_EEEE10hipError_tPvRmT1_T2_T3_mT4_P12ihipStream_tbEUlT_E0_NS1_11comp_targetILNS1_3genE9ELNS1_11target_archE1100ELNS1_3gpuE3ELNS1_3repE0EEENS1_30default_config_static_selectorELNS0_4arch9wavefront6targetE0EEEvS14_
	.p2align	8
	.type	_ZN7rocprim17ROCPRIM_400000_NS6detail17trampoline_kernelINS0_14default_configENS1_22reduce_config_selectorIN6thrust23THRUST_200600_302600_NS5tupleIblNS6_9null_typeES8_S8_S8_S8_S8_S8_S8_EEEEZNS1_11reduce_implILb1ES3_NS6_12zip_iteratorINS7_INS6_11hip_rocprim26transform_input_iterator_tIbNSD_35transform_pair_of_input_iterators_tIbNS6_6detail15normal_iteratorINS6_10device_ptrIKtEEEESL_NS6_8equal_toItEEEENSG_9not_fun_tINSD_8identityEEEEENSD_19counting_iterator_tIlEES8_S8_S8_S8_S8_S8_S8_S8_EEEEPS9_S9_NSD_9__find_if7functorIS9_EEEE10hipError_tPvRmT1_T2_T3_mT4_P12ihipStream_tbEUlT_E0_NS1_11comp_targetILNS1_3genE9ELNS1_11target_archE1100ELNS1_3gpuE3ELNS1_3repE0EEENS1_30default_config_static_selectorELNS0_4arch9wavefront6targetE0EEEvS14_,@function
_ZN7rocprim17ROCPRIM_400000_NS6detail17trampoline_kernelINS0_14default_configENS1_22reduce_config_selectorIN6thrust23THRUST_200600_302600_NS5tupleIblNS6_9null_typeES8_S8_S8_S8_S8_S8_S8_EEEEZNS1_11reduce_implILb1ES3_NS6_12zip_iteratorINS7_INS6_11hip_rocprim26transform_input_iterator_tIbNSD_35transform_pair_of_input_iterators_tIbNS6_6detail15normal_iteratorINS6_10device_ptrIKtEEEESL_NS6_8equal_toItEEEENSG_9not_fun_tINSD_8identityEEEEENSD_19counting_iterator_tIlEES8_S8_S8_S8_S8_S8_S8_S8_EEEEPS9_S9_NSD_9__find_if7functorIS9_EEEE10hipError_tPvRmT1_T2_T3_mT4_P12ihipStream_tbEUlT_E0_NS1_11comp_targetILNS1_3genE9ELNS1_11target_archE1100ELNS1_3gpuE3ELNS1_3repE0EEENS1_30default_config_static_selectorELNS0_4arch9wavefront6targetE0EEEvS14_: ; @_ZN7rocprim17ROCPRIM_400000_NS6detail17trampoline_kernelINS0_14default_configENS1_22reduce_config_selectorIN6thrust23THRUST_200600_302600_NS5tupleIblNS6_9null_typeES8_S8_S8_S8_S8_S8_S8_EEEEZNS1_11reduce_implILb1ES3_NS6_12zip_iteratorINS7_INS6_11hip_rocprim26transform_input_iterator_tIbNSD_35transform_pair_of_input_iterators_tIbNS6_6detail15normal_iteratorINS6_10device_ptrIKtEEEESL_NS6_8equal_toItEEEENSG_9not_fun_tINSD_8identityEEEEENSD_19counting_iterator_tIlEES8_S8_S8_S8_S8_S8_S8_S8_EEEEPS9_S9_NSD_9__find_if7functorIS9_EEEE10hipError_tPvRmT1_T2_T3_mT4_P12ihipStream_tbEUlT_E0_NS1_11comp_targetILNS1_3genE9ELNS1_11target_archE1100ELNS1_3gpuE3ELNS1_3repE0EEENS1_30default_config_static_selectorELNS0_4arch9wavefront6targetE0EEEvS14_
; %bb.0:
	.section	.rodata,"a",@progbits
	.p2align	6, 0x0
	.amdhsa_kernel _ZN7rocprim17ROCPRIM_400000_NS6detail17trampoline_kernelINS0_14default_configENS1_22reduce_config_selectorIN6thrust23THRUST_200600_302600_NS5tupleIblNS6_9null_typeES8_S8_S8_S8_S8_S8_S8_EEEEZNS1_11reduce_implILb1ES3_NS6_12zip_iteratorINS7_INS6_11hip_rocprim26transform_input_iterator_tIbNSD_35transform_pair_of_input_iterators_tIbNS6_6detail15normal_iteratorINS6_10device_ptrIKtEEEESL_NS6_8equal_toItEEEENSG_9not_fun_tINSD_8identityEEEEENSD_19counting_iterator_tIlEES8_S8_S8_S8_S8_S8_S8_S8_EEEEPS9_S9_NSD_9__find_if7functorIS9_EEEE10hipError_tPvRmT1_T2_T3_mT4_P12ihipStream_tbEUlT_E0_NS1_11comp_targetILNS1_3genE9ELNS1_11target_archE1100ELNS1_3gpuE3ELNS1_3repE0EEENS1_30default_config_static_selectorELNS0_4arch9wavefront6targetE0EEEvS14_
		.amdhsa_group_segment_fixed_size 0
		.amdhsa_private_segment_fixed_size 0
		.amdhsa_kernarg_size 104
		.amdhsa_user_sgpr_count 2
		.amdhsa_user_sgpr_dispatch_ptr 0
		.amdhsa_user_sgpr_queue_ptr 0
		.amdhsa_user_sgpr_kernarg_segment_ptr 1
		.amdhsa_user_sgpr_dispatch_id 0
		.amdhsa_user_sgpr_kernarg_preload_length 0
		.amdhsa_user_sgpr_kernarg_preload_offset 0
		.amdhsa_user_sgpr_private_segment_size 0
		.amdhsa_wavefront_size32 1
		.amdhsa_uses_dynamic_stack 0
		.amdhsa_enable_private_segment 0
		.amdhsa_system_sgpr_workgroup_id_x 1
		.amdhsa_system_sgpr_workgroup_id_y 0
		.amdhsa_system_sgpr_workgroup_id_z 0
		.amdhsa_system_sgpr_workgroup_info 0
		.amdhsa_system_vgpr_workitem_id 0
		.amdhsa_next_free_vgpr 1
		.amdhsa_next_free_sgpr 1
		.amdhsa_named_barrier_count 0
		.amdhsa_reserve_vcc 0
		.amdhsa_float_round_mode_32 0
		.amdhsa_float_round_mode_16_64 0
		.amdhsa_float_denorm_mode_32 3
		.amdhsa_float_denorm_mode_16_64 3
		.amdhsa_fp16_overflow 0
		.amdhsa_memory_ordered 1
		.amdhsa_forward_progress 1
		.amdhsa_inst_pref_size 0
		.amdhsa_round_robin_scheduling 0
		.amdhsa_exception_fp_ieee_invalid_op 0
		.amdhsa_exception_fp_denorm_src 0
		.amdhsa_exception_fp_ieee_div_zero 0
		.amdhsa_exception_fp_ieee_overflow 0
		.amdhsa_exception_fp_ieee_underflow 0
		.amdhsa_exception_fp_ieee_inexact 0
		.amdhsa_exception_int_div_zero 0
	.end_amdhsa_kernel
	.section	.text._ZN7rocprim17ROCPRIM_400000_NS6detail17trampoline_kernelINS0_14default_configENS1_22reduce_config_selectorIN6thrust23THRUST_200600_302600_NS5tupleIblNS6_9null_typeES8_S8_S8_S8_S8_S8_S8_EEEEZNS1_11reduce_implILb1ES3_NS6_12zip_iteratorINS7_INS6_11hip_rocprim26transform_input_iterator_tIbNSD_35transform_pair_of_input_iterators_tIbNS6_6detail15normal_iteratorINS6_10device_ptrIKtEEEESL_NS6_8equal_toItEEEENSG_9not_fun_tINSD_8identityEEEEENSD_19counting_iterator_tIlEES8_S8_S8_S8_S8_S8_S8_S8_EEEEPS9_S9_NSD_9__find_if7functorIS9_EEEE10hipError_tPvRmT1_T2_T3_mT4_P12ihipStream_tbEUlT_E0_NS1_11comp_targetILNS1_3genE9ELNS1_11target_archE1100ELNS1_3gpuE3ELNS1_3repE0EEENS1_30default_config_static_selectorELNS0_4arch9wavefront6targetE0EEEvS14_,"axG",@progbits,_ZN7rocprim17ROCPRIM_400000_NS6detail17trampoline_kernelINS0_14default_configENS1_22reduce_config_selectorIN6thrust23THRUST_200600_302600_NS5tupleIblNS6_9null_typeES8_S8_S8_S8_S8_S8_S8_EEEEZNS1_11reduce_implILb1ES3_NS6_12zip_iteratorINS7_INS6_11hip_rocprim26transform_input_iterator_tIbNSD_35transform_pair_of_input_iterators_tIbNS6_6detail15normal_iteratorINS6_10device_ptrIKtEEEESL_NS6_8equal_toItEEEENSG_9not_fun_tINSD_8identityEEEEENSD_19counting_iterator_tIlEES8_S8_S8_S8_S8_S8_S8_S8_EEEEPS9_S9_NSD_9__find_if7functorIS9_EEEE10hipError_tPvRmT1_T2_T3_mT4_P12ihipStream_tbEUlT_E0_NS1_11comp_targetILNS1_3genE9ELNS1_11target_archE1100ELNS1_3gpuE3ELNS1_3repE0EEENS1_30default_config_static_selectorELNS0_4arch9wavefront6targetE0EEEvS14_,comdat
.Lfunc_end195:
	.size	_ZN7rocprim17ROCPRIM_400000_NS6detail17trampoline_kernelINS0_14default_configENS1_22reduce_config_selectorIN6thrust23THRUST_200600_302600_NS5tupleIblNS6_9null_typeES8_S8_S8_S8_S8_S8_S8_EEEEZNS1_11reduce_implILb1ES3_NS6_12zip_iteratorINS7_INS6_11hip_rocprim26transform_input_iterator_tIbNSD_35transform_pair_of_input_iterators_tIbNS6_6detail15normal_iteratorINS6_10device_ptrIKtEEEESL_NS6_8equal_toItEEEENSG_9not_fun_tINSD_8identityEEEEENSD_19counting_iterator_tIlEES8_S8_S8_S8_S8_S8_S8_S8_EEEEPS9_S9_NSD_9__find_if7functorIS9_EEEE10hipError_tPvRmT1_T2_T3_mT4_P12ihipStream_tbEUlT_E0_NS1_11comp_targetILNS1_3genE9ELNS1_11target_archE1100ELNS1_3gpuE3ELNS1_3repE0EEENS1_30default_config_static_selectorELNS0_4arch9wavefront6targetE0EEEvS14_, .Lfunc_end195-_ZN7rocprim17ROCPRIM_400000_NS6detail17trampoline_kernelINS0_14default_configENS1_22reduce_config_selectorIN6thrust23THRUST_200600_302600_NS5tupleIblNS6_9null_typeES8_S8_S8_S8_S8_S8_S8_EEEEZNS1_11reduce_implILb1ES3_NS6_12zip_iteratorINS7_INS6_11hip_rocprim26transform_input_iterator_tIbNSD_35transform_pair_of_input_iterators_tIbNS6_6detail15normal_iteratorINS6_10device_ptrIKtEEEESL_NS6_8equal_toItEEEENSG_9not_fun_tINSD_8identityEEEEENSD_19counting_iterator_tIlEES8_S8_S8_S8_S8_S8_S8_S8_EEEEPS9_S9_NSD_9__find_if7functorIS9_EEEE10hipError_tPvRmT1_T2_T3_mT4_P12ihipStream_tbEUlT_E0_NS1_11comp_targetILNS1_3genE9ELNS1_11target_archE1100ELNS1_3gpuE3ELNS1_3repE0EEENS1_30default_config_static_selectorELNS0_4arch9wavefront6targetE0EEEvS14_
                                        ; -- End function
	.set _ZN7rocprim17ROCPRIM_400000_NS6detail17trampoline_kernelINS0_14default_configENS1_22reduce_config_selectorIN6thrust23THRUST_200600_302600_NS5tupleIblNS6_9null_typeES8_S8_S8_S8_S8_S8_S8_EEEEZNS1_11reduce_implILb1ES3_NS6_12zip_iteratorINS7_INS6_11hip_rocprim26transform_input_iterator_tIbNSD_35transform_pair_of_input_iterators_tIbNS6_6detail15normal_iteratorINS6_10device_ptrIKtEEEESL_NS6_8equal_toItEEEENSG_9not_fun_tINSD_8identityEEEEENSD_19counting_iterator_tIlEES8_S8_S8_S8_S8_S8_S8_S8_EEEEPS9_S9_NSD_9__find_if7functorIS9_EEEE10hipError_tPvRmT1_T2_T3_mT4_P12ihipStream_tbEUlT_E0_NS1_11comp_targetILNS1_3genE9ELNS1_11target_archE1100ELNS1_3gpuE3ELNS1_3repE0EEENS1_30default_config_static_selectorELNS0_4arch9wavefront6targetE0EEEvS14_.num_vgpr, 0
	.set _ZN7rocprim17ROCPRIM_400000_NS6detail17trampoline_kernelINS0_14default_configENS1_22reduce_config_selectorIN6thrust23THRUST_200600_302600_NS5tupleIblNS6_9null_typeES8_S8_S8_S8_S8_S8_S8_EEEEZNS1_11reduce_implILb1ES3_NS6_12zip_iteratorINS7_INS6_11hip_rocprim26transform_input_iterator_tIbNSD_35transform_pair_of_input_iterators_tIbNS6_6detail15normal_iteratorINS6_10device_ptrIKtEEEESL_NS6_8equal_toItEEEENSG_9not_fun_tINSD_8identityEEEEENSD_19counting_iterator_tIlEES8_S8_S8_S8_S8_S8_S8_S8_EEEEPS9_S9_NSD_9__find_if7functorIS9_EEEE10hipError_tPvRmT1_T2_T3_mT4_P12ihipStream_tbEUlT_E0_NS1_11comp_targetILNS1_3genE9ELNS1_11target_archE1100ELNS1_3gpuE3ELNS1_3repE0EEENS1_30default_config_static_selectorELNS0_4arch9wavefront6targetE0EEEvS14_.num_agpr, 0
	.set _ZN7rocprim17ROCPRIM_400000_NS6detail17trampoline_kernelINS0_14default_configENS1_22reduce_config_selectorIN6thrust23THRUST_200600_302600_NS5tupleIblNS6_9null_typeES8_S8_S8_S8_S8_S8_S8_EEEEZNS1_11reduce_implILb1ES3_NS6_12zip_iteratorINS7_INS6_11hip_rocprim26transform_input_iterator_tIbNSD_35transform_pair_of_input_iterators_tIbNS6_6detail15normal_iteratorINS6_10device_ptrIKtEEEESL_NS6_8equal_toItEEEENSG_9not_fun_tINSD_8identityEEEEENSD_19counting_iterator_tIlEES8_S8_S8_S8_S8_S8_S8_S8_EEEEPS9_S9_NSD_9__find_if7functorIS9_EEEE10hipError_tPvRmT1_T2_T3_mT4_P12ihipStream_tbEUlT_E0_NS1_11comp_targetILNS1_3genE9ELNS1_11target_archE1100ELNS1_3gpuE3ELNS1_3repE0EEENS1_30default_config_static_selectorELNS0_4arch9wavefront6targetE0EEEvS14_.numbered_sgpr, 0
	.set _ZN7rocprim17ROCPRIM_400000_NS6detail17trampoline_kernelINS0_14default_configENS1_22reduce_config_selectorIN6thrust23THRUST_200600_302600_NS5tupleIblNS6_9null_typeES8_S8_S8_S8_S8_S8_S8_EEEEZNS1_11reduce_implILb1ES3_NS6_12zip_iteratorINS7_INS6_11hip_rocprim26transform_input_iterator_tIbNSD_35transform_pair_of_input_iterators_tIbNS6_6detail15normal_iteratorINS6_10device_ptrIKtEEEESL_NS6_8equal_toItEEEENSG_9not_fun_tINSD_8identityEEEEENSD_19counting_iterator_tIlEES8_S8_S8_S8_S8_S8_S8_S8_EEEEPS9_S9_NSD_9__find_if7functorIS9_EEEE10hipError_tPvRmT1_T2_T3_mT4_P12ihipStream_tbEUlT_E0_NS1_11comp_targetILNS1_3genE9ELNS1_11target_archE1100ELNS1_3gpuE3ELNS1_3repE0EEENS1_30default_config_static_selectorELNS0_4arch9wavefront6targetE0EEEvS14_.num_named_barrier, 0
	.set _ZN7rocprim17ROCPRIM_400000_NS6detail17trampoline_kernelINS0_14default_configENS1_22reduce_config_selectorIN6thrust23THRUST_200600_302600_NS5tupleIblNS6_9null_typeES8_S8_S8_S8_S8_S8_S8_EEEEZNS1_11reduce_implILb1ES3_NS6_12zip_iteratorINS7_INS6_11hip_rocprim26transform_input_iterator_tIbNSD_35transform_pair_of_input_iterators_tIbNS6_6detail15normal_iteratorINS6_10device_ptrIKtEEEESL_NS6_8equal_toItEEEENSG_9not_fun_tINSD_8identityEEEEENSD_19counting_iterator_tIlEES8_S8_S8_S8_S8_S8_S8_S8_EEEEPS9_S9_NSD_9__find_if7functorIS9_EEEE10hipError_tPvRmT1_T2_T3_mT4_P12ihipStream_tbEUlT_E0_NS1_11comp_targetILNS1_3genE9ELNS1_11target_archE1100ELNS1_3gpuE3ELNS1_3repE0EEENS1_30default_config_static_selectorELNS0_4arch9wavefront6targetE0EEEvS14_.private_seg_size, 0
	.set _ZN7rocprim17ROCPRIM_400000_NS6detail17trampoline_kernelINS0_14default_configENS1_22reduce_config_selectorIN6thrust23THRUST_200600_302600_NS5tupleIblNS6_9null_typeES8_S8_S8_S8_S8_S8_S8_EEEEZNS1_11reduce_implILb1ES3_NS6_12zip_iteratorINS7_INS6_11hip_rocprim26transform_input_iterator_tIbNSD_35transform_pair_of_input_iterators_tIbNS6_6detail15normal_iteratorINS6_10device_ptrIKtEEEESL_NS6_8equal_toItEEEENSG_9not_fun_tINSD_8identityEEEEENSD_19counting_iterator_tIlEES8_S8_S8_S8_S8_S8_S8_S8_EEEEPS9_S9_NSD_9__find_if7functorIS9_EEEE10hipError_tPvRmT1_T2_T3_mT4_P12ihipStream_tbEUlT_E0_NS1_11comp_targetILNS1_3genE9ELNS1_11target_archE1100ELNS1_3gpuE3ELNS1_3repE0EEENS1_30default_config_static_selectorELNS0_4arch9wavefront6targetE0EEEvS14_.uses_vcc, 0
	.set _ZN7rocprim17ROCPRIM_400000_NS6detail17trampoline_kernelINS0_14default_configENS1_22reduce_config_selectorIN6thrust23THRUST_200600_302600_NS5tupleIblNS6_9null_typeES8_S8_S8_S8_S8_S8_S8_EEEEZNS1_11reduce_implILb1ES3_NS6_12zip_iteratorINS7_INS6_11hip_rocprim26transform_input_iterator_tIbNSD_35transform_pair_of_input_iterators_tIbNS6_6detail15normal_iteratorINS6_10device_ptrIKtEEEESL_NS6_8equal_toItEEEENSG_9not_fun_tINSD_8identityEEEEENSD_19counting_iterator_tIlEES8_S8_S8_S8_S8_S8_S8_S8_EEEEPS9_S9_NSD_9__find_if7functorIS9_EEEE10hipError_tPvRmT1_T2_T3_mT4_P12ihipStream_tbEUlT_E0_NS1_11comp_targetILNS1_3genE9ELNS1_11target_archE1100ELNS1_3gpuE3ELNS1_3repE0EEENS1_30default_config_static_selectorELNS0_4arch9wavefront6targetE0EEEvS14_.uses_flat_scratch, 0
	.set _ZN7rocprim17ROCPRIM_400000_NS6detail17trampoline_kernelINS0_14default_configENS1_22reduce_config_selectorIN6thrust23THRUST_200600_302600_NS5tupleIblNS6_9null_typeES8_S8_S8_S8_S8_S8_S8_EEEEZNS1_11reduce_implILb1ES3_NS6_12zip_iteratorINS7_INS6_11hip_rocprim26transform_input_iterator_tIbNSD_35transform_pair_of_input_iterators_tIbNS6_6detail15normal_iteratorINS6_10device_ptrIKtEEEESL_NS6_8equal_toItEEEENSG_9not_fun_tINSD_8identityEEEEENSD_19counting_iterator_tIlEES8_S8_S8_S8_S8_S8_S8_S8_EEEEPS9_S9_NSD_9__find_if7functorIS9_EEEE10hipError_tPvRmT1_T2_T3_mT4_P12ihipStream_tbEUlT_E0_NS1_11comp_targetILNS1_3genE9ELNS1_11target_archE1100ELNS1_3gpuE3ELNS1_3repE0EEENS1_30default_config_static_selectorELNS0_4arch9wavefront6targetE0EEEvS14_.has_dyn_sized_stack, 0
	.set _ZN7rocprim17ROCPRIM_400000_NS6detail17trampoline_kernelINS0_14default_configENS1_22reduce_config_selectorIN6thrust23THRUST_200600_302600_NS5tupleIblNS6_9null_typeES8_S8_S8_S8_S8_S8_S8_EEEEZNS1_11reduce_implILb1ES3_NS6_12zip_iteratorINS7_INS6_11hip_rocprim26transform_input_iterator_tIbNSD_35transform_pair_of_input_iterators_tIbNS6_6detail15normal_iteratorINS6_10device_ptrIKtEEEESL_NS6_8equal_toItEEEENSG_9not_fun_tINSD_8identityEEEEENSD_19counting_iterator_tIlEES8_S8_S8_S8_S8_S8_S8_S8_EEEEPS9_S9_NSD_9__find_if7functorIS9_EEEE10hipError_tPvRmT1_T2_T3_mT4_P12ihipStream_tbEUlT_E0_NS1_11comp_targetILNS1_3genE9ELNS1_11target_archE1100ELNS1_3gpuE3ELNS1_3repE0EEENS1_30default_config_static_selectorELNS0_4arch9wavefront6targetE0EEEvS14_.has_recursion, 0
	.set _ZN7rocprim17ROCPRIM_400000_NS6detail17trampoline_kernelINS0_14default_configENS1_22reduce_config_selectorIN6thrust23THRUST_200600_302600_NS5tupleIblNS6_9null_typeES8_S8_S8_S8_S8_S8_S8_EEEEZNS1_11reduce_implILb1ES3_NS6_12zip_iteratorINS7_INS6_11hip_rocprim26transform_input_iterator_tIbNSD_35transform_pair_of_input_iterators_tIbNS6_6detail15normal_iteratorINS6_10device_ptrIKtEEEESL_NS6_8equal_toItEEEENSG_9not_fun_tINSD_8identityEEEEENSD_19counting_iterator_tIlEES8_S8_S8_S8_S8_S8_S8_S8_EEEEPS9_S9_NSD_9__find_if7functorIS9_EEEE10hipError_tPvRmT1_T2_T3_mT4_P12ihipStream_tbEUlT_E0_NS1_11comp_targetILNS1_3genE9ELNS1_11target_archE1100ELNS1_3gpuE3ELNS1_3repE0EEENS1_30default_config_static_selectorELNS0_4arch9wavefront6targetE0EEEvS14_.has_indirect_call, 0
	.section	.AMDGPU.csdata,"",@progbits
; Kernel info:
; codeLenInByte = 0
; TotalNumSgprs: 0
; NumVgprs: 0
; ScratchSize: 0
; MemoryBound: 0
; FloatMode: 240
; IeeeMode: 1
; LDSByteSize: 0 bytes/workgroup (compile time only)
; SGPRBlocks: 0
; VGPRBlocks: 0
; NumSGPRsForWavesPerEU: 1
; NumVGPRsForWavesPerEU: 1
; NamedBarCnt: 0
; Occupancy: 16
; WaveLimiterHint : 0
; COMPUTE_PGM_RSRC2:SCRATCH_EN: 0
; COMPUTE_PGM_RSRC2:USER_SGPR: 2
; COMPUTE_PGM_RSRC2:TRAP_HANDLER: 0
; COMPUTE_PGM_RSRC2:TGID_X_EN: 1
; COMPUTE_PGM_RSRC2:TGID_Y_EN: 0
; COMPUTE_PGM_RSRC2:TGID_Z_EN: 0
; COMPUTE_PGM_RSRC2:TIDIG_COMP_CNT: 0
	.section	.text._ZN7rocprim17ROCPRIM_400000_NS6detail17trampoline_kernelINS0_14default_configENS1_22reduce_config_selectorIN6thrust23THRUST_200600_302600_NS5tupleIblNS6_9null_typeES8_S8_S8_S8_S8_S8_S8_EEEEZNS1_11reduce_implILb1ES3_NS6_12zip_iteratorINS7_INS6_11hip_rocprim26transform_input_iterator_tIbNSD_35transform_pair_of_input_iterators_tIbNS6_6detail15normal_iteratorINS6_10device_ptrIKtEEEESL_NS6_8equal_toItEEEENSG_9not_fun_tINSD_8identityEEEEENSD_19counting_iterator_tIlEES8_S8_S8_S8_S8_S8_S8_S8_EEEEPS9_S9_NSD_9__find_if7functorIS9_EEEE10hipError_tPvRmT1_T2_T3_mT4_P12ihipStream_tbEUlT_E0_NS1_11comp_targetILNS1_3genE8ELNS1_11target_archE1030ELNS1_3gpuE2ELNS1_3repE0EEENS1_30default_config_static_selectorELNS0_4arch9wavefront6targetE0EEEvS14_,"axG",@progbits,_ZN7rocprim17ROCPRIM_400000_NS6detail17trampoline_kernelINS0_14default_configENS1_22reduce_config_selectorIN6thrust23THRUST_200600_302600_NS5tupleIblNS6_9null_typeES8_S8_S8_S8_S8_S8_S8_EEEEZNS1_11reduce_implILb1ES3_NS6_12zip_iteratorINS7_INS6_11hip_rocprim26transform_input_iterator_tIbNSD_35transform_pair_of_input_iterators_tIbNS6_6detail15normal_iteratorINS6_10device_ptrIKtEEEESL_NS6_8equal_toItEEEENSG_9not_fun_tINSD_8identityEEEEENSD_19counting_iterator_tIlEES8_S8_S8_S8_S8_S8_S8_S8_EEEEPS9_S9_NSD_9__find_if7functorIS9_EEEE10hipError_tPvRmT1_T2_T3_mT4_P12ihipStream_tbEUlT_E0_NS1_11comp_targetILNS1_3genE8ELNS1_11target_archE1030ELNS1_3gpuE2ELNS1_3repE0EEENS1_30default_config_static_selectorELNS0_4arch9wavefront6targetE0EEEvS14_,comdat
	.protected	_ZN7rocprim17ROCPRIM_400000_NS6detail17trampoline_kernelINS0_14default_configENS1_22reduce_config_selectorIN6thrust23THRUST_200600_302600_NS5tupleIblNS6_9null_typeES8_S8_S8_S8_S8_S8_S8_EEEEZNS1_11reduce_implILb1ES3_NS6_12zip_iteratorINS7_INS6_11hip_rocprim26transform_input_iterator_tIbNSD_35transform_pair_of_input_iterators_tIbNS6_6detail15normal_iteratorINS6_10device_ptrIKtEEEESL_NS6_8equal_toItEEEENSG_9not_fun_tINSD_8identityEEEEENSD_19counting_iterator_tIlEES8_S8_S8_S8_S8_S8_S8_S8_EEEEPS9_S9_NSD_9__find_if7functorIS9_EEEE10hipError_tPvRmT1_T2_T3_mT4_P12ihipStream_tbEUlT_E0_NS1_11comp_targetILNS1_3genE8ELNS1_11target_archE1030ELNS1_3gpuE2ELNS1_3repE0EEENS1_30default_config_static_selectorELNS0_4arch9wavefront6targetE0EEEvS14_ ; -- Begin function _ZN7rocprim17ROCPRIM_400000_NS6detail17trampoline_kernelINS0_14default_configENS1_22reduce_config_selectorIN6thrust23THRUST_200600_302600_NS5tupleIblNS6_9null_typeES8_S8_S8_S8_S8_S8_S8_EEEEZNS1_11reduce_implILb1ES3_NS6_12zip_iteratorINS7_INS6_11hip_rocprim26transform_input_iterator_tIbNSD_35transform_pair_of_input_iterators_tIbNS6_6detail15normal_iteratorINS6_10device_ptrIKtEEEESL_NS6_8equal_toItEEEENSG_9not_fun_tINSD_8identityEEEEENSD_19counting_iterator_tIlEES8_S8_S8_S8_S8_S8_S8_S8_EEEEPS9_S9_NSD_9__find_if7functorIS9_EEEE10hipError_tPvRmT1_T2_T3_mT4_P12ihipStream_tbEUlT_E0_NS1_11comp_targetILNS1_3genE8ELNS1_11target_archE1030ELNS1_3gpuE2ELNS1_3repE0EEENS1_30default_config_static_selectorELNS0_4arch9wavefront6targetE0EEEvS14_
	.globl	_ZN7rocprim17ROCPRIM_400000_NS6detail17trampoline_kernelINS0_14default_configENS1_22reduce_config_selectorIN6thrust23THRUST_200600_302600_NS5tupleIblNS6_9null_typeES8_S8_S8_S8_S8_S8_S8_EEEEZNS1_11reduce_implILb1ES3_NS6_12zip_iteratorINS7_INS6_11hip_rocprim26transform_input_iterator_tIbNSD_35transform_pair_of_input_iterators_tIbNS6_6detail15normal_iteratorINS6_10device_ptrIKtEEEESL_NS6_8equal_toItEEEENSG_9not_fun_tINSD_8identityEEEEENSD_19counting_iterator_tIlEES8_S8_S8_S8_S8_S8_S8_S8_EEEEPS9_S9_NSD_9__find_if7functorIS9_EEEE10hipError_tPvRmT1_T2_T3_mT4_P12ihipStream_tbEUlT_E0_NS1_11comp_targetILNS1_3genE8ELNS1_11target_archE1030ELNS1_3gpuE2ELNS1_3repE0EEENS1_30default_config_static_selectorELNS0_4arch9wavefront6targetE0EEEvS14_
	.p2align	8
	.type	_ZN7rocprim17ROCPRIM_400000_NS6detail17trampoline_kernelINS0_14default_configENS1_22reduce_config_selectorIN6thrust23THRUST_200600_302600_NS5tupleIblNS6_9null_typeES8_S8_S8_S8_S8_S8_S8_EEEEZNS1_11reduce_implILb1ES3_NS6_12zip_iteratorINS7_INS6_11hip_rocprim26transform_input_iterator_tIbNSD_35transform_pair_of_input_iterators_tIbNS6_6detail15normal_iteratorINS6_10device_ptrIKtEEEESL_NS6_8equal_toItEEEENSG_9not_fun_tINSD_8identityEEEEENSD_19counting_iterator_tIlEES8_S8_S8_S8_S8_S8_S8_S8_EEEEPS9_S9_NSD_9__find_if7functorIS9_EEEE10hipError_tPvRmT1_T2_T3_mT4_P12ihipStream_tbEUlT_E0_NS1_11comp_targetILNS1_3genE8ELNS1_11target_archE1030ELNS1_3gpuE2ELNS1_3repE0EEENS1_30default_config_static_selectorELNS0_4arch9wavefront6targetE0EEEvS14_,@function
_ZN7rocprim17ROCPRIM_400000_NS6detail17trampoline_kernelINS0_14default_configENS1_22reduce_config_selectorIN6thrust23THRUST_200600_302600_NS5tupleIblNS6_9null_typeES8_S8_S8_S8_S8_S8_S8_EEEEZNS1_11reduce_implILb1ES3_NS6_12zip_iteratorINS7_INS6_11hip_rocprim26transform_input_iterator_tIbNSD_35transform_pair_of_input_iterators_tIbNS6_6detail15normal_iteratorINS6_10device_ptrIKtEEEESL_NS6_8equal_toItEEEENSG_9not_fun_tINSD_8identityEEEEENSD_19counting_iterator_tIlEES8_S8_S8_S8_S8_S8_S8_S8_EEEEPS9_S9_NSD_9__find_if7functorIS9_EEEE10hipError_tPvRmT1_T2_T3_mT4_P12ihipStream_tbEUlT_E0_NS1_11comp_targetILNS1_3genE8ELNS1_11target_archE1030ELNS1_3gpuE2ELNS1_3repE0EEENS1_30default_config_static_selectorELNS0_4arch9wavefront6targetE0EEEvS14_: ; @_ZN7rocprim17ROCPRIM_400000_NS6detail17trampoline_kernelINS0_14default_configENS1_22reduce_config_selectorIN6thrust23THRUST_200600_302600_NS5tupleIblNS6_9null_typeES8_S8_S8_S8_S8_S8_S8_EEEEZNS1_11reduce_implILb1ES3_NS6_12zip_iteratorINS7_INS6_11hip_rocprim26transform_input_iterator_tIbNSD_35transform_pair_of_input_iterators_tIbNS6_6detail15normal_iteratorINS6_10device_ptrIKtEEEESL_NS6_8equal_toItEEEENSG_9not_fun_tINSD_8identityEEEEENSD_19counting_iterator_tIlEES8_S8_S8_S8_S8_S8_S8_S8_EEEEPS9_S9_NSD_9__find_if7functorIS9_EEEE10hipError_tPvRmT1_T2_T3_mT4_P12ihipStream_tbEUlT_E0_NS1_11comp_targetILNS1_3genE8ELNS1_11target_archE1030ELNS1_3gpuE2ELNS1_3repE0EEENS1_30default_config_static_selectorELNS0_4arch9wavefront6targetE0EEEvS14_
; %bb.0:
	.section	.rodata,"a",@progbits
	.p2align	6, 0x0
	.amdhsa_kernel _ZN7rocprim17ROCPRIM_400000_NS6detail17trampoline_kernelINS0_14default_configENS1_22reduce_config_selectorIN6thrust23THRUST_200600_302600_NS5tupleIblNS6_9null_typeES8_S8_S8_S8_S8_S8_S8_EEEEZNS1_11reduce_implILb1ES3_NS6_12zip_iteratorINS7_INS6_11hip_rocprim26transform_input_iterator_tIbNSD_35transform_pair_of_input_iterators_tIbNS6_6detail15normal_iteratorINS6_10device_ptrIKtEEEESL_NS6_8equal_toItEEEENSG_9not_fun_tINSD_8identityEEEEENSD_19counting_iterator_tIlEES8_S8_S8_S8_S8_S8_S8_S8_EEEEPS9_S9_NSD_9__find_if7functorIS9_EEEE10hipError_tPvRmT1_T2_T3_mT4_P12ihipStream_tbEUlT_E0_NS1_11comp_targetILNS1_3genE8ELNS1_11target_archE1030ELNS1_3gpuE2ELNS1_3repE0EEENS1_30default_config_static_selectorELNS0_4arch9wavefront6targetE0EEEvS14_
		.amdhsa_group_segment_fixed_size 0
		.amdhsa_private_segment_fixed_size 0
		.amdhsa_kernarg_size 104
		.amdhsa_user_sgpr_count 2
		.amdhsa_user_sgpr_dispatch_ptr 0
		.amdhsa_user_sgpr_queue_ptr 0
		.amdhsa_user_sgpr_kernarg_segment_ptr 1
		.amdhsa_user_sgpr_dispatch_id 0
		.amdhsa_user_sgpr_kernarg_preload_length 0
		.amdhsa_user_sgpr_kernarg_preload_offset 0
		.amdhsa_user_sgpr_private_segment_size 0
		.amdhsa_wavefront_size32 1
		.amdhsa_uses_dynamic_stack 0
		.amdhsa_enable_private_segment 0
		.amdhsa_system_sgpr_workgroup_id_x 1
		.amdhsa_system_sgpr_workgroup_id_y 0
		.amdhsa_system_sgpr_workgroup_id_z 0
		.amdhsa_system_sgpr_workgroup_info 0
		.amdhsa_system_vgpr_workitem_id 0
		.amdhsa_next_free_vgpr 1
		.amdhsa_next_free_sgpr 1
		.amdhsa_named_barrier_count 0
		.amdhsa_reserve_vcc 0
		.amdhsa_float_round_mode_32 0
		.amdhsa_float_round_mode_16_64 0
		.amdhsa_float_denorm_mode_32 3
		.amdhsa_float_denorm_mode_16_64 3
		.amdhsa_fp16_overflow 0
		.amdhsa_memory_ordered 1
		.amdhsa_forward_progress 1
		.amdhsa_inst_pref_size 0
		.amdhsa_round_robin_scheduling 0
		.amdhsa_exception_fp_ieee_invalid_op 0
		.amdhsa_exception_fp_denorm_src 0
		.amdhsa_exception_fp_ieee_div_zero 0
		.amdhsa_exception_fp_ieee_overflow 0
		.amdhsa_exception_fp_ieee_underflow 0
		.amdhsa_exception_fp_ieee_inexact 0
		.amdhsa_exception_int_div_zero 0
	.end_amdhsa_kernel
	.section	.text._ZN7rocprim17ROCPRIM_400000_NS6detail17trampoline_kernelINS0_14default_configENS1_22reduce_config_selectorIN6thrust23THRUST_200600_302600_NS5tupleIblNS6_9null_typeES8_S8_S8_S8_S8_S8_S8_EEEEZNS1_11reduce_implILb1ES3_NS6_12zip_iteratorINS7_INS6_11hip_rocprim26transform_input_iterator_tIbNSD_35transform_pair_of_input_iterators_tIbNS6_6detail15normal_iteratorINS6_10device_ptrIKtEEEESL_NS6_8equal_toItEEEENSG_9not_fun_tINSD_8identityEEEEENSD_19counting_iterator_tIlEES8_S8_S8_S8_S8_S8_S8_S8_EEEEPS9_S9_NSD_9__find_if7functorIS9_EEEE10hipError_tPvRmT1_T2_T3_mT4_P12ihipStream_tbEUlT_E0_NS1_11comp_targetILNS1_3genE8ELNS1_11target_archE1030ELNS1_3gpuE2ELNS1_3repE0EEENS1_30default_config_static_selectorELNS0_4arch9wavefront6targetE0EEEvS14_,"axG",@progbits,_ZN7rocprim17ROCPRIM_400000_NS6detail17trampoline_kernelINS0_14default_configENS1_22reduce_config_selectorIN6thrust23THRUST_200600_302600_NS5tupleIblNS6_9null_typeES8_S8_S8_S8_S8_S8_S8_EEEEZNS1_11reduce_implILb1ES3_NS6_12zip_iteratorINS7_INS6_11hip_rocprim26transform_input_iterator_tIbNSD_35transform_pair_of_input_iterators_tIbNS6_6detail15normal_iteratorINS6_10device_ptrIKtEEEESL_NS6_8equal_toItEEEENSG_9not_fun_tINSD_8identityEEEEENSD_19counting_iterator_tIlEES8_S8_S8_S8_S8_S8_S8_S8_EEEEPS9_S9_NSD_9__find_if7functorIS9_EEEE10hipError_tPvRmT1_T2_T3_mT4_P12ihipStream_tbEUlT_E0_NS1_11comp_targetILNS1_3genE8ELNS1_11target_archE1030ELNS1_3gpuE2ELNS1_3repE0EEENS1_30default_config_static_selectorELNS0_4arch9wavefront6targetE0EEEvS14_,comdat
.Lfunc_end196:
	.size	_ZN7rocprim17ROCPRIM_400000_NS6detail17trampoline_kernelINS0_14default_configENS1_22reduce_config_selectorIN6thrust23THRUST_200600_302600_NS5tupleIblNS6_9null_typeES8_S8_S8_S8_S8_S8_S8_EEEEZNS1_11reduce_implILb1ES3_NS6_12zip_iteratorINS7_INS6_11hip_rocprim26transform_input_iterator_tIbNSD_35transform_pair_of_input_iterators_tIbNS6_6detail15normal_iteratorINS6_10device_ptrIKtEEEESL_NS6_8equal_toItEEEENSG_9not_fun_tINSD_8identityEEEEENSD_19counting_iterator_tIlEES8_S8_S8_S8_S8_S8_S8_S8_EEEEPS9_S9_NSD_9__find_if7functorIS9_EEEE10hipError_tPvRmT1_T2_T3_mT4_P12ihipStream_tbEUlT_E0_NS1_11comp_targetILNS1_3genE8ELNS1_11target_archE1030ELNS1_3gpuE2ELNS1_3repE0EEENS1_30default_config_static_selectorELNS0_4arch9wavefront6targetE0EEEvS14_, .Lfunc_end196-_ZN7rocprim17ROCPRIM_400000_NS6detail17trampoline_kernelINS0_14default_configENS1_22reduce_config_selectorIN6thrust23THRUST_200600_302600_NS5tupleIblNS6_9null_typeES8_S8_S8_S8_S8_S8_S8_EEEEZNS1_11reduce_implILb1ES3_NS6_12zip_iteratorINS7_INS6_11hip_rocprim26transform_input_iterator_tIbNSD_35transform_pair_of_input_iterators_tIbNS6_6detail15normal_iteratorINS6_10device_ptrIKtEEEESL_NS6_8equal_toItEEEENSG_9not_fun_tINSD_8identityEEEEENSD_19counting_iterator_tIlEES8_S8_S8_S8_S8_S8_S8_S8_EEEEPS9_S9_NSD_9__find_if7functorIS9_EEEE10hipError_tPvRmT1_T2_T3_mT4_P12ihipStream_tbEUlT_E0_NS1_11comp_targetILNS1_3genE8ELNS1_11target_archE1030ELNS1_3gpuE2ELNS1_3repE0EEENS1_30default_config_static_selectorELNS0_4arch9wavefront6targetE0EEEvS14_
                                        ; -- End function
	.set _ZN7rocprim17ROCPRIM_400000_NS6detail17trampoline_kernelINS0_14default_configENS1_22reduce_config_selectorIN6thrust23THRUST_200600_302600_NS5tupleIblNS6_9null_typeES8_S8_S8_S8_S8_S8_S8_EEEEZNS1_11reduce_implILb1ES3_NS6_12zip_iteratorINS7_INS6_11hip_rocprim26transform_input_iterator_tIbNSD_35transform_pair_of_input_iterators_tIbNS6_6detail15normal_iteratorINS6_10device_ptrIKtEEEESL_NS6_8equal_toItEEEENSG_9not_fun_tINSD_8identityEEEEENSD_19counting_iterator_tIlEES8_S8_S8_S8_S8_S8_S8_S8_EEEEPS9_S9_NSD_9__find_if7functorIS9_EEEE10hipError_tPvRmT1_T2_T3_mT4_P12ihipStream_tbEUlT_E0_NS1_11comp_targetILNS1_3genE8ELNS1_11target_archE1030ELNS1_3gpuE2ELNS1_3repE0EEENS1_30default_config_static_selectorELNS0_4arch9wavefront6targetE0EEEvS14_.num_vgpr, 0
	.set _ZN7rocprim17ROCPRIM_400000_NS6detail17trampoline_kernelINS0_14default_configENS1_22reduce_config_selectorIN6thrust23THRUST_200600_302600_NS5tupleIblNS6_9null_typeES8_S8_S8_S8_S8_S8_S8_EEEEZNS1_11reduce_implILb1ES3_NS6_12zip_iteratorINS7_INS6_11hip_rocprim26transform_input_iterator_tIbNSD_35transform_pair_of_input_iterators_tIbNS6_6detail15normal_iteratorINS6_10device_ptrIKtEEEESL_NS6_8equal_toItEEEENSG_9not_fun_tINSD_8identityEEEEENSD_19counting_iterator_tIlEES8_S8_S8_S8_S8_S8_S8_S8_EEEEPS9_S9_NSD_9__find_if7functorIS9_EEEE10hipError_tPvRmT1_T2_T3_mT4_P12ihipStream_tbEUlT_E0_NS1_11comp_targetILNS1_3genE8ELNS1_11target_archE1030ELNS1_3gpuE2ELNS1_3repE0EEENS1_30default_config_static_selectorELNS0_4arch9wavefront6targetE0EEEvS14_.num_agpr, 0
	.set _ZN7rocprim17ROCPRIM_400000_NS6detail17trampoline_kernelINS0_14default_configENS1_22reduce_config_selectorIN6thrust23THRUST_200600_302600_NS5tupleIblNS6_9null_typeES8_S8_S8_S8_S8_S8_S8_EEEEZNS1_11reduce_implILb1ES3_NS6_12zip_iteratorINS7_INS6_11hip_rocprim26transform_input_iterator_tIbNSD_35transform_pair_of_input_iterators_tIbNS6_6detail15normal_iteratorINS6_10device_ptrIKtEEEESL_NS6_8equal_toItEEEENSG_9not_fun_tINSD_8identityEEEEENSD_19counting_iterator_tIlEES8_S8_S8_S8_S8_S8_S8_S8_EEEEPS9_S9_NSD_9__find_if7functorIS9_EEEE10hipError_tPvRmT1_T2_T3_mT4_P12ihipStream_tbEUlT_E0_NS1_11comp_targetILNS1_3genE8ELNS1_11target_archE1030ELNS1_3gpuE2ELNS1_3repE0EEENS1_30default_config_static_selectorELNS0_4arch9wavefront6targetE0EEEvS14_.numbered_sgpr, 0
	.set _ZN7rocprim17ROCPRIM_400000_NS6detail17trampoline_kernelINS0_14default_configENS1_22reduce_config_selectorIN6thrust23THRUST_200600_302600_NS5tupleIblNS6_9null_typeES8_S8_S8_S8_S8_S8_S8_EEEEZNS1_11reduce_implILb1ES3_NS6_12zip_iteratorINS7_INS6_11hip_rocprim26transform_input_iterator_tIbNSD_35transform_pair_of_input_iterators_tIbNS6_6detail15normal_iteratorINS6_10device_ptrIKtEEEESL_NS6_8equal_toItEEEENSG_9not_fun_tINSD_8identityEEEEENSD_19counting_iterator_tIlEES8_S8_S8_S8_S8_S8_S8_S8_EEEEPS9_S9_NSD_9__find_if7functorIS9_EEEE10hipError_tPvRmT1_T2_T3_mT4_P12ihipStream_tbEUlT_E0_NS1_11comp_targetILNS1_3genE8ELNS1_11target_archE1030ELNS1_3gpuE2ELNS1_3repE0EEENS1_30default_config_static_selectorELNS0_4arch9wavefront6targetE0EEEvS14_.num_named_barrier, 0
	.set _ZN7rocprim17ROCPRIM_400000_NS6detail17trampoline_kernelINS0_14default_configENS1_22reduce_config_selectorIN6thrust23THRUST_200600_302600_NS5tupleIblNS6_9null_typeES8_S8_S8_S8_S8_S8_S8_EEEEZNS1_11reduce_implILb1ES3_NS6_12zip_iteratorINS7_INS6_11hip_rocprim26transform_input_iterator_tIbNSD_35transform_pair_of_input_iterators_tIbNS6_6detail15normal_iteratorINS6_10device_ptrIKtEEEESL_NS6_8equal_toItEEEENSG_9not_fun_tINSD_8identityEEEEENSD_19counting_iterator_tIlEES8_S8_S8_S8_S8_S8_S8_S8_EEEEPS9_S9_NSD_9__find_if7functorIS9_EEEE10hipError_tPvRmT1_T2_T3_mT4_P12ihipStream_tbEUlT_E0_NS1_11comp_targetILNS1_3genE8ELNS1_11target_archE1030ELNS1_3gpuE2ELNS1_3repE0EEENS1_30default_config_static_selectorELNS0_4arch9wavefront6targetE0EEEvS14_.private_seg_size, 0
	.set _ZN7rocprim17ROCPRIM_400000_NS6detail17trampoline_kernelINS0_14default_configENS1_22reduce_config_selectorIN6thrust23THRUST_200600_302600_NS5tupleIblNS6_9null_typeES8_S8_S8_S8_S8_S8_S8_EEEEZNS1_11reduce_implILb1ES3_NS6_12zip_iteratorINS7_INS6_11hip_rocprim26transform_input_iterator_tIbNSD_35transform_pair_of_input_iterators_tIbNS6_6detail15normal_iteratorINS6_10device_ptrIKtEEEESL_NS6_8equal_toItEEEENSG_9not_fun_tINSD_8identityEEEEENSD_19counting_iterator_tIlEES8_S8_S8_S8_S8_S8_S8_S8_EEEEPS9_S9_NSD_9__find_if7functorIS9_EEEE10hipError_tPvRmT1_T2_T3_mT4_P12ihipStream_tbEUlT_E0_NS1_11comp_targetILNS1_3genE8ELNS1_11target_archE1030ELNS1_3gpuE2ELNS1_3repE0EEENS1_30default_config_static_selectorELNS0_4arch9wavefront6targetE0EEEvS14_.uses_vcc, 0
	.set _ZN7rocprim17ROCPRIM_400000_NS6detail17trampoline_kernelINS0_14default_configENS1_22reduce_config_selectorIN6thrust23THRUST_200600_302600_NS5tupleIblNS6_9null_typeES8_S8_S8_S8_S8_S8_S8_EEEEZNS1_11reduce_implILb1ES3_NS6_12zip_iteratorINS7_INS6_11hip_rocprim26transform_input_iterator_tIbNSD_35transform_pair_of_input_iterators_tIbNS6_6detail15normal_iteratorINS6_10device_ptrIKtEEEESL_NS6_8equal_toItEEEENSG_9not_fun_tINSD_8identityEEEEENSD_19counting_iterator_tIlEES8_S8_S8_S8_S8_S8_S8_S8_EEEEPS9_S9_NSD_9__find_if7functorIS9_EEEE10hipError_tPvRmT1_T2_T3_mT4_P12ihipStream_tbEUlT_E0_NS1_11comp_targetILNS1_3genE8ELNS1_11target_archE1030ELNS1_3gpuE2ELNS1_3repE0EEENS1_30default_config_static_selectorELNS0_4arch9wavefront6targetE0EEEvS14_.uses_flat_scratch, 0
	.set _ZN7rocprim17ROCPRIM_400000_NS6detail17trampoline_kernelINS0_14default_configENS1_22reduce_config_selectorIN6thrust23THRUST_200600_302600_NS5tupleIblNS6_9null_typeES8_S8_S8_S8_S8_S8_S8_EEEEZNS1_11reduce_implILb1ES3_NS6_12zip_iteratorINS7_INS6_11hip_rocprim26transform_input_iterator_tIbNSD_35transform_pair_of_input_iterators_tIbNS6_6detail15normal_iteratorINS6_10device_ptrIKtEEEESL_NS6_8equal_toItEEEENSG_9not_fun_tINSD_8identityEEEEENSD_19counting_iterator_tIlEES8_S8_S8_S8_S8_S8_S8_S8_EEEEPS9_S9_NSD_9__find_if7functorIS9_EEEE10hipError_tPvRmT1_T2_T3_mT4_P12ihipStream_tbEUlT_E0_NS1_11comp_targetILNS1_3genE8ELNS1_11target_archE1030ELNS1_3gpuE2ELNS1_3repE0EEENS1_30default_config_static_selectorELNS0_4arch9wavefront6targetE0EEEvS14_.has_dyn_sized_stack, 0
	.set _ZN7rocprim17ROCPRIM_400000_NS6detail17trampoline_kernelINS0_14default_configENS1_22reduce_config_selectorIN6thrust23THRUST_200600_302600_NS5tupleIblNS6_9null_typeES8_S8_S8_S8_S8_S8_S8_EEEEZNS1_11reduce_implILb1ES3_NS6_12zip_iteratorINS7_INS6_11hip_rocprim26transform_input_iterator_tIbNSD_35transform_pair_of_input_iterators_tIbNS6_6detail15normal_iteratorINS6_10device_ptrIKtEEEESL_NS6_8equal_toItEEEENSG_9not_fun_tINSD_8identityEEEEENSD_19counting_iterator_tIlEES8_S8_S8_S8_S8_S8_S8_S8_EEEEPS9_S9_NSD_9__find_if7functorIS9_EEEE10hipError_tPvRmT1_T2_T3_mT4_P12ihipStream_tbEUlT_E0_NS1_11comp_targetILNS1_3genE8ELNS1_11target_archE1030ELNS1_3gpuE2ELNS1_3repE0EEENS1_30default_config_static_selectorELNS0_4arch9wavefront6targetE0EEEvS14_.has_recursion, 0
	.set _ZN7rocprim17ROCPRIM_400000_NS6detail17trampoline_kernelINS0_14default_configENS1_22reduce_config_selectorIN6thrust23THRUST_200600_302600_NS5tupleIblNS6_9null_typeES8_S8_S8_S8_S8_S8_S8_EEEEZNS1_11reduce_implILb1ES3_NS6_12zip_iteratorINS7_INS6_11hip_rocprim26transform_input_iterator_tIbNSD_35transform_pair_of_input_iterators_tIbNS6_6detail15normal_iteratorINS6_10device_ptrIKtEEEESL_NS6_8equal_toItEEEENSG_9not_fun_tINSD_8identityEEEEENSD_19counting_iterator_tIlEES8_S8_S8_S8_S8_S8_S8_S8_EEEEPS9_S9_NSD_9__find_if7functorIS9_EEEE10hipError_tPvRmT1_T2_T3_mT4_P12ihipStream_tbEUlT_E0_NS1_11comp_targetILNS1_3genE8ELNS1_11target_archE1030ELNS1_3gpuE2ELNS1_3repE0EEENS1_30default_config_static_selectorELNS0_4arch9wavefront6targetE0EEEvS14_.has_indirect_call, 0
	.section	.AMDGPU.csdata,"",@progbits
; Kernel info:
; codeLenInByte = 0
; TotalNumSgprs: 0
; NumVgprs: 0
; ScratchSize: 0
; MemoryBound: 0
; FloatMode: 240
; IeeeMode: 1
; LDSByteSize: 0 bytes/workgroup (compile time only)
; SGPRBlocks: 0
; VGPRBlocks: 0
; NumSGPRsForWavesPerEU: 1
; NumVGPRsForWavesPerEU: 1
; NamedBarCnt: 0
; Occupancy: 16
; WaveLimiterHint : 0
; COMPUTE_PGM_RSRC2:SCRATCH_EN: 0
; COMPUTE_PGM_RSRC2:USER_SGPR: 2
; COMPUTE_PGM_RSRC2:TRAP_HANDLER: 0
; COMPUTE_PGM_RSRC2:TGID_X_EN: 1
; COMPUTE_PGM_RSRC2:TGID_Y_EN: 0
; COMPUTE_PGM_RSRC2:TGID_Z_EN: 0
; COMPUTE_PGM_RSRC2:TIDIG_COMP_CNT: 0
	.section	.text._ZN7rocprim17ROCPRIM_400000_NS6detail17trampoline_kernelINS0_14default_configENS1_22reduce_config_selectorIN6thrust23THRUST_200600_302600_NS5tupleIblNS6_9null_typeES8_S8_S8_S8_S8_S8_S8_EEEEZNS1_11reduce_implILb1ES3_NS6_12zip_iteratorINS7_INS6_11hip_rocprim26transform_input_iterator_tIbNSD_35transform_pair_of_input_iterators_tIbNS6_6detail15normal_iteratorINS6_10device_ptrIKtEEEESL_NS6_8equal_toItEEEENSG_9not_fun_tINSD_8identityEEEEENSD_19counting_iterator_tIlEES8_S8_S8_S8_S8_S8_S8_S8_EEEEPS9_S9_NSD_9__find_if7functorIS9_EEEE10hipError_tPvRmT1_T2_T3_mT4_P12ihipStream_tbEUlT_E1_NS1_11comp_targetILNS1_3genE0ELNS1_11target_archE4294967295ELNS1_3gpuE0ELNS1_3repE0EEENS1_30default_config_static_selectorELNS0_4arch9wavefront6targetE0EEEvS14_,"axG",@progbits,_ZN7rocprim17ROCPRIM_400000_NS6detail17trampoline_kernelINS0_14default_configENS1_22reduce_config_selectorIN6thrust23THRUST_200600_302600_NS5tupleIblNS6_9null_typeES8_S8_S8_S8_S8_S8_S8_EEEEZNS1_11reduce_implILb1ES3_NS6_12zip_iteratorINS7_INS6_11hip_rocprim26transform_input_iterator_tIbNSD_35transform_pair_of_input_iterators_tIbNS6_6detail15normal_iteratorINS6_10device_ptrIKtEEEESL_NS6_8equal_toItEEEENSG_9not_fun_tINSD_8identityEEEEENSD_19counting_iterator_tIlEES8_S8_S8_S8_S8_S8_S8_S8_EEEEPS9_S9_NSD_9__find_if7functorIS9_EEEE10hipError_tPvRmT1_T2_T3_mT4_P12ihipStream_tbEUlT_E1_NS1_11comp_targetILNS1_3genE0ELNS1_11target_archE4294967295ELNS1_3gpuE0ELNS1_3repE0EEENS1_30default_config_static_selectorELNS0_4arch9wavefront6targetE0EEEvS14_,comdat
	.protected	_ZN7rocprim17ROCPRIM_400000_NS6detail17trampoline_kernelINS0_14default_configENS1_22reduce_config_selectorIN6thrust23THRUST_200600_302600_NS5tupleIblNS6_9null_typeES8_S8_S8_S8_S8_S8_S8_EEEEZNS1_11reduce_implILb1ES3_NS6_12zip_iteratorINS7_INS6_11hip_rocprim26transform_input_iterator_tIbNSD_35transform_pair_of_input_iterators_tIbNS6_6detail15normal_iteratorINS6_10device_ptrIKtEEEESL_NS6_8equal_toItEEEENSG_9not_fun_tINSD_8identityEEEEENSD_19counting_iterator_tIlEES8_S8_S8_S8_S8_S8_S8_S8_EEEEPS9_S9_NSD_9__find_if7functorIS9_EEEE10hipError_tPvRmT1_T2_T3_mT4_P12ihipStream_tbEUlT_E1_NS1_11comp_targetILNS1_3genE0ELNS1_11target_archE4294967295ELNS1_3gpuE0ELNS1_3repE0EEENS1_30default_config_static_selectorELNS0_4arch9wavefront6targetE0EEEvS14_ ; -- Begin function _ZN7rocprim17ROCPRIM_400000_NS6detail17trampoline_kernelINS0_14default_configENS1_22reduce_config_selectorIN6thrust23THRUST_200600_302600_NS5tupleIblNS6_9null_typeES8_S8_S8_S8_S8_S8_S8_EEEEZNS1_11reduce_implILb1ES3_NS6_12zip_iteratorINS7_INS6_11hip_rocprim26transform_input_iterator_tIbNSD_35transform_pair_of_input_iterators_tIbNS6_6detail15normal_iteratorINS6_10device_ptrIKtEEEESL_NS6_8equal_toItEEEENSG_9not_fun_tINSD_8identityEEEEENSD_19counting_iterator_tIlEES8_S8_S8_S8_S8_S8_S8_S8_EEEEPS9_S9_NSD_9__find_if7functorIS9_EEEE10hipError_tPvRmT1_T2_T3_mT4_P12ihipStream_tbEUlT_E1_NS1_11comp_targetILNS1_3genE0ELNS1_11target_archE4294967295ELNS1_3gpuE0ELNS1_3repE0EEENS1_30default_config_static_selectorELNS0_4arch9wavefront6targetE0EEEvS14_
	.globl	_ZN7rocprim17ROCPRIM_400000_NS6detail17trampoline_kernelINS0_14default_configENS1_22reduce_config_selectorIN6thrust23THRUST_200600_302600_NS5tupleIblNS6_9null_typeES8_S8_S8_S8_S8_S8_S8_EEEEZNS1_11reduce_implILb1ES3_NS6_12zip_iteratorINS7_INS6_11hip_rocprim26transform_input_iterator_tIbNSD_35transform_pair_of_input_iterators_tIbNS6_6detail15normal_iteratorINS6_10device_ptrIKtEEEESL_NS6_8equal_toItEEEENSG_9not_fun_tINSD_8identityEEEEENSD_19counting_iterator_tIlEES8_S8_S8_S8_S8_S8_S8_S8_EEEEPS9_S9_NSD_9__find_if7functorIS9_EEEE10hipError_tPvRmT1_T2_T3_mT4_P12ihipStream_tbEUlT_E1_NS1_11comp_targetILNS1_3genE0ELNS1_11target_archE4294967295ELNS1_3gpuE0ELNS1_3repE0EEENS1_30default_config_static_selectorELNS0_4arch9wavefront6targetE0EEEvS14_
	.p2align	8
	.type	_ZN7rocprim17ROCPRIM_400000_NS6detail17trampoline_kernelINS0_14default_configENS1_22reduce_config_selectorIN6thrust23THRUST_200600_302600_NS5tupleIblNS6_9null_typeES8_S8_S8_S8_S8_S8_S8_EEEEZNS1_11reduce_implILb1ES3_NS6_12zip_iteratorINS7_INS6_11hip_rocprim26transform_input_iterator_tIbNSD_35transform_pair_of_input_iterators_tIbNS6_6detail15normal_iteratorINS6_10device_ptrIKtEEEESL_NS6_8equal_toItEEEENSG_9not_fun_tINSD_8identityEEEEENSD_19counting_iterator_tIlEES8_S8_S8_S8_S8_S8_S8_S8_EEEEPS9_S9_NSD_9__find_if7functorIS9_EEEE10hipError_tPvRmT1_T2_T3_mT4_P12ihipStream_tbEUlT_E1_NS1_11comp_targetILNS1_3genE0ELNS1_11target_archE4294967295ELNS1_3gpuE0ELNS1_3repE0EEENS1_30default_config_static_selectorELNS0_4arch9wavefront6targetE0EEEvS14_,@function
_ZN7rocprim17ROCPRIM_400000_NS6detail17trampoline_kernelINS0_14default_configENS1_22reduce_config_selectorIN6thrust23THRUST_200600_302600_NS5tupleIblNS6_9null_typeES8_S8_S8_S8_S8_S8_S8_EEEEZNS1_11reduce_implILb1ES3_NS6_12zip_iteratorINS7_INS6_11hip_rocprim26transform_input_iterator_tIbNSD_35transform_pair_of_input_iterators_tIbNS6_6detail15normal_iteratorINS6_10device_ptrIKtEEEESL_NS6_8equal_toItEEEENSG_9not_fun_tINSD_8identityEEEEENSD_19counting_iterator_tIlEES8_S8_S8_S8_S8_S8_S8_S8_EEEEPS9_S9_NSD_9__find_if7functorIS9_EEEE10hipError_tPvRmT1_T2_T3_mT4_P12ihipStream_tbEUlT_E1_NS1_11comp_targetILNS1_3genE0ELNS1_11target_archE4294967295ELNS1_3gpuE0ELNS1_3repE0EEENS1_30default_config_static_selectorELNS0_4arch9wavefront6targetE0EEEvS14_: ; @_ZN7rocprim17ROCPRIM_400000_NS6detail17trampoline_kernelINS0_14default_configENS1_22reduce_config_selectorIN6thrust23THRUST_200600_302600_NS5tupleIblNS6_9null_typeES8_S8_S8_S8_S8_S8_S8_EEEEZNS1_11reduce_implILb1ES3_NS6_12zip_iteratorINS7_INS6_11hip_rocprim26transform_input_iterator_tIbNSD_35transform_pair_of_input_iterators_tIbNS6_6detail15normal_iteratorINS6_10device_ptrIKtEEEESL_NS6_8equal_toItEEEENSG_9not_fun_tINSD_8identityEEEEENSD_19counting_iterator_tIlEES8_S8_S8_S8_S8_S8_S8_S8_EEEEPS9_S9_NSD_9__find_if7functorIS9_EEEE10hipError_tPvRmT1_T2_T3_mT4_P12ihipStream_tbEUlT_E1_NS1_11comp_targetILNS1_3genE0ELNS1_11target_archE4294967295ELNS1_3gpuE0ELNS1_3repE0EEENS1_30default_config_static_selectorELNS0_4arch9wavefront6targetE0EEEvS14_
; %bb.0:
	s_clause 0x2
	s_load_b32 s24, s[0:1], 0x4
	s_load_b128 s[16:19], s[0:1], 0x8
	s_load_b128 s[12:15], s[0:1], 0x28
	s_wait_kmcnt 0x0
	s_cmp_lt_i32 s24, 4
	s_cbranch_scc1 .LBB197_14
; %bb.1:
	s_cmp_gt_i32 s24, 7
	s_cbranch_scc0 .LBB197_15
; %bb.2:
	s_cmp_eq_u32 s24, 8
	s_mov_b32 s25, 0
	s_cbranch_scc0 .LBB197_16
; %bb.3:
	s_bfe_u32 s2, ttmp6, 0x4000c
	s_and_b32 s3, ttmp6, 15
	s_add_co_i32 s2, s2, 1
	s_getreg_b32 s4, hwreg(HW_REG_IB_STS2, 6, 4)
	s_mul_i32 s2, ttmp9, s2
	s_mov_b32 s11, 0
	s_add_co_i32 s3, s3, s2
	s_cmp_eq_u32 s4, 0
	s_mov_b32 s7, s11
	s_cselect_b32 s10, ttmp9, s3
	s_lshr_b64 s[2:3], s[14:15], 10
	s_lshl_b32 s6, s10, 10
	s_delay_alu instid0(SALU_CYCLE_1)
	s_lshl_b64 s[4:5], s[6:7], 1
	s_cmp_lg_u64 s[2:3], s[10:11]
	s_add_nc_u64 s[8:9], s[16:17], s[4:5]
	s_add_nc_u64 s[22:23], s[18:19], s[4:5]
	;; [unrolled: 1-line block ×3, first 2 shown]
	s_cbranch_scc0 .LBB197_29
; %bb.4:
	s_clause 0xf
	global_load_u16 v1, v0, s[8:9] offset:256 scale_offset
	global_load_u16 v2, v0, s[22:23] scale_offset
	global_load_u16 v3, v0, s[22:23] offset:256 scale_offset
	global_load_u16 v4, v0, s[22:23] offset:512 scale_offset
	;; [unrolled: 1-line block ×4, first 2 shown]
	global_load_u16 v7, v0, s[8:9] scale_offset
	global_load_u16 v8, v0, s[8:9] offset:512 scale_offset
	global_load_u16 v9, v0, s[8:9] offset:1024 scale_offset
	;; [unrolled: 1-line block ×9, first 2 shown]
	v_mov_b32_e32 v17, 0x80
	v_mov_b32_e32 v18, 0x180
	;; [unrolled: 1-line block ×3, first 2 shown]
	s_wait_loadcnt 0xd
	v_cmp_ne_u16_e32 vcc_lo, v1, v3
	s_wait_loadcnt 0x9
	v_cmp_ne_u16_e64 s2, v7, v2
	v_cndmask_b32_e32 v1, 0x100, v17, vcc_lo
	s_wait_loadcnt 0x8
	v_cmp_ne_u16_e64 s3, v8, v4
	s_wait_loadcnt 0x6
	v_cmp_ne_u16_e64 s5, v10, v5
	v_cmp_ne_u16_e64 s4, v9, v6
	v_cndmask_b32_e64 v1, v1, 0, s2
	s_or_b32 s2, s2, vcc_lo
	v_cndmask_b32_e64 v2, 0x200, v18, s5
	s_wait_loadcnt 0x4
	v_cmp_ne_u16_e32 vcc_lo, v11, v12
	s_or_b32 s2, s2, s3
	s_delay_alu instid0(SALU_CYCLE_1)
	s_or_b32 s3, s2, s5
	v_cndmask_b32_e64 v2, v2, v1, s2
	v_cndmask_b32_e32 v3, 0x300, v19, vcc_lo
	v_mov_b32_e32 v1, 0
	s_wait_loadcnt 0x2
	v_cmp_ne_u16_e64 s2, v14, v13
	s_or_b32 s3, s3, s4
	s_delay_alu instid0(SALU_CYCLE_1)
	v_dual_mov_b32 v5, v1 :: v_dual_cndmask_b32 v4, v3, v2, s3
	s_or_b32 s3, s3, vcc_lo
	v_add_nc_u64_e32 v[2:3], s[20:21], v[0:1]
	s_or_b32 vcc_lo, s3, s2
	s_wait_loadcnt 0x0
	v_cmp_ne_u16_e64 s2, v15, v16
	v_cndmask_b32_e32 v4, 0x380, v4, vcc_lo
	s_or_b32 vcc_lo, vcc_lo, s2
	s_delay_alu instid0(VALU_DEP_1) | instskip(SKIP_2) | instid1(VALU_DEP_1)
	v_add_nc_u64_e32 v[2:3], v[2:3], v[4:5]
	v_cndmask_b32_e64 v8, 0, 1, vcc_lo
	s_mov_b32 s2, exec_lo
	v_mov_b32_dpp v9, v8 quad_perm:[1,0,3,2] row_mask:0xf bank_mask:0xf
	s_delay_alu instid0(VALU_DEP_3) | instskip(NEXT) | instid1(VALU_DEP_4)
	v_mov_b32_dpp v4, v2 quad_perm:[1,0,3,2] row_mask:0xf bank_mask:0xf
	v_mov_b32_dpp v5, v3 quad_perm:[1,0,3,2] row_mask:0xf bank_mask:0xf
	s_delay_alu instid0(VALU_DEP_3) | instskip(NEXT) | instid1(VALU_DEP_2)
	v_and_b32_e32 v9, 1, v9
	v_min_i64 v[6:7], v[2:3], v[4:5]
	s_delay_alu instid0(VALU_DEP_1) | instskip(NEXT) | instid1(VALU_DEP_3)
	v_dual_cndmask_b32 v4, v4, v6 :: v_dual_cndmask_b32 v5, v5, v7
	v_cmp_eq_u32_e32 vcc_lo, 1, v9
	v_cndmask_b32_e64 v8, v8, 1, vcc_lo
	s_delay_alu instid0(VALU_DEP_3) | instskip(NEXT) | instid1(VALU_DEP_2)
	v_cndmask_b32_e32 v2, v2, v4, vcc_lo
	v_and_b32_e32 v9, 1, v8
	v_mov_b32_dpp v10, v8 quad_perm:[2,3,0,1] row_mask:0xf bank_mask:0xf
	v_cndmask_b32_e32 v3, v3, v5, vcc_lo
	s_delay_alu instid0(VALU_DEP_4) | instskip(NEXT) | instid1(VALU_DEP_4)
	v_mov_b32_dpp v4, v2 quad_perm:[2,3,0,1] row_mask:0xf bank_mask:0xf
	v_cmp_eq_u32_e32 vcc_lo, 1, v9
	s_delay_alu instid0(VALU_DEP_4) | instskip(NEXT) | instid1(VALU_DEP_4)
	v_and_b32_e32 v9, 1, v10
	v_mov_b32_dpp v5, v3 quad_perm:[2,3,0,1] row_mask:0xf bank_mask:0xf
	s_delay_alu instid0(VALU_DEP_1) | instskip(NEXT) | instid1(VALU_DEP_1)
	v_min_i64 v[6:7], v[2:3], v[4:5]
	v_dual_cndmask_b32 v4, v4, v6 :: v_dual_cndmask_b32 v5, v5, v7
	s_delay_alu instid0(VALU_DEP_4) | instskip(NEXT) | instid1(VALU_DEP_2)
	v_cmp_eq_u32_e32 vcc_lo, 1, v9
	v_dual_cndmask_b32 v3, v3, v5 :: v_dual_cndmask_b32 v2, v2, v4
	v_cndmask_b32_e64 v8, v8, 1, vcc_lo
	s_delay_alu instid0(VALU_DEP_2) | instskip(NEXT) | instid1(VALU_DEP_3)
	v_mov_b32_dpp v5, v3 row_ror:4 row_mask:0xf bank_mask:0xf
	v_mov_b32_dpp v4, v2 row_ror:4 row_mask:0xf bank_mask:0xf
	s_delay_alu instid0(VALU_DEP_3) | instskip(NEXT) | instid1(VALU_DEP_2)
	v_mov_b32_dpp v10, v8 row_ror:4 row_mask:0xf bank_mask:0xf
	v_min_i64 v[6:7], v[2:3], v[4:5]
	v_and_b32_e32 v9, 1, v8
	s_delay_alu instid0(VALU_DEP_1) | instskip(NEXT) | instid1(VALU_DEP_3)
	v_cmp_eq_u32_e32 vcc_lo, 1, v9
	v_dual_cndmask_b32 v5, v5, v7, vcc_lo :: v_dual_bitop2_b32 v9, 1, v10 bitop3:0x40
	s_delay_alu instid0(VALU_DEP_4) | instskip(NEXT) | instid1(VALU_DEP_2)
	v_cndmask_b32_e32 v4, v4, v6, vcc_lo
	v_cmp_eq_u32_e32 vcc_lo, 1, v9
	s_delay_alu instid0(VALU_DEP_2) | instskip(SKIP_1) | instid1(VALU_DEP_2)
	v_dual_cndmask_b32 v3, v3, v5 :: v_dual_cndmask_b32 v2, v2, v4
	v_cndmask_b32_e64 v8, v8, 1, vcc_lo
	v_mov_b32_dpp v5, v3 row_ror:8 row_mask:0xf bank_mask:0xf
	s_delay_alu instid0(VALU_DEP_3) | instskip(NEXT) | instid1(VALU_DEP_3)
	v_mov_b32_dpp v4, v2 row_ror:8 row_mask:0xf bank_mask:0xf
	v_mov_b32_dpp v10, v8 row_ror:8 row_mask:0xf bank_mask:0xf
	s_delay_alu instid0(VALU_DEP_2) | instskip(SKIP_1) | instid1(VALU_DEP_1)
	v_min_i64 v[6:7], v[2:3], v[4:5]
	v_and_b32_e32 v9, 1, v8
	v_cmp_eq_u32_e32 vcc_lo, 1, v9
	s_delay_alu instid0(VALU_DEP_3) | instskip(NEXT) | instid1(VALU_DEP_4)
	v_dual_cndmask_b32 v5, v5, v7, vcc_lo :: v_dual_bitop2_b32 v9, 1, v10 bitop3:0x40
	v_cndmask_b32_e32 v4, v4, v6, vcc_lo
	s_delay_alu instid0(VALU_DEP_2) | instskip(NEXT) | instid1(VALU_DEP_2)
	v_cmp_eq_u32_e32 vcc_lo, 1, v9
	v_dual_cndmask_b32 v3, v3, v5 :: v_dual_cndmask_b32 v2, v2, v4
	v_cndmask_b32_e64 v8, v8, 1, vcc_lo
	ds_swizzle_b32 v5, v3 offset:swizzle(BROADCAST,32,15)
	ds_swizzle_b32 v4, v2 offset:swizzle(BROADCAST,32,15)
	ds_swizzle_b32 v9, v8 offset:swizzle(BROADCAST,32,15)
	s_wait_dscnt 0x1
	v_min_i64 v[6:7], v[2:3], v[4:5]
	v_and_b32_e32 v10, 1, v8
	s_delay_alu instid0(VALU_DEP_1) | instskip(SKIP_1) | instid1(VALU_DEP_3)
	v_cmp_eq_u32_e32 vcc_lo, 1, v10
	s_wait_dscnt 0x0
	v_dual_cndmask_b32 v5, v5, v7, vcc_lo :: v_dual_bitop2_b32 v9, 1, v9 bitop3:0x40
	s_delay_alu instid0(VALU_DEP_4) | instskip(NEXT) | instid1(VALU_DEP_2)
	v_cndmask_b32_e32 v4, v4, v6, vcc_lo
	v_cmp_eq_u32_e32 vcc_lo, 1, v9
	s_delay_alu instid0(VALU_DEP_2)
	v_dual_cndmask_b32 v3, v3, v5 :: v_dual_cndmask_b32 v2, v2, v4
	v_cndmask_b32_e64 v5, v8, 1, vcc_lo
	ds_bpermute_b32 v3, v1, v3 offset:124
	ds_bpermute_b32 v2, v1, v2 offset:124
	ds_bpermute_b32 v20, v1, v5 offset:124
	v_mbcnt_lo_u32_b32 v1, -1, 0
	s_delay_alu instid0(VALU_DEP_1)
	v_cmpx_eq_u32_e32 0, v1
	s_cbranch_execz .LBB197_6
; %bb.5:
	v_lshrrev_b32_e32 v4, 1, v0
	s_delay_alu instid0(VALU_DEP_1)
	v_and_b32_e32 v4, 48, v4
	s_wait_dscnt 0x0
	ds_store_b8 v4, v20 offset:192
	ds_store_b64 v4, v[2:3] offset:200
.LBB197_6:
	s_or_b32 exec_lo, exec_lo, s2
	s_delay_alu instid0(SALU_CYCLE_1)
	s_mov_b32 s2, exec_lo
	s_wait_dscnt 0x0
	s_barrier_signal -1
	s_barrier_wait -1
	v_cmpx_gt_u32_e32 32, v0
	s_cbranch_execz .LBB197_12
; %bb.7:
	v_and_b32_e32 v2, 3, v1
	s_delay_alu instid0(VALU_DEP_1) | instskip(SKIP_2) | instid1(VALU_DEP_1)
	v_cmp_ne_u32_e32 vcc_lo, 3, v2
	v_lshlrev_b32_e32 v3, 4, v2
	v_add_co_ci_u32_e64 v2, null, 0, v1, vcc_lo
	v_lshlrev_b32_e32 v2, 2, v2
	ds_load_u8 v8, v3 offset:192
	ds_load_b64 v[4:5], v3 offset:200
	s_wait_dscnt 0x1
	v_and_b32_e32 v3, 0xff, v8
	s_wait_dscnt 0x0
	ds_bpermute_b32 v6, v2, v4
	ds_bpermute_b32 v7, v2, v5
	;; [unrolled: 1-line block ×3, first 2 shown]
	s_wait_dscnt 0x0
	v_and_b32_e32 v2, v8, v9
	s_delay_alu instid0(VALU_DEP_1) | instskip(NEXT) | instid1(VALU_DEP_1)
	v_and_b32_e32 v2, 1, v2
	v_cmp_eq_u32_e32 vcc_lo, 1, v2
                                        ; implicit-def: $vgpr2_vgpr3
	s_and_saveexec_b32 s3, vcc_lo
	s_delay_alu instid0(SALU_CYCLE_1)
	s_xor_b32 s3, exec_lo, s3
; %bb.8:
	v_min_i64 v[2:3], v[6:7], v[4:5]
                                        ; implicit-def: $vgpr8
                                        ; implicit-def: $vgpr6_vgpr7
                                        ; implicit-def: $vgpr4_vgpr5
                                        ; implicit-def: $vgpr9
; %bb.9:
	s_or_saveexec_b32 s3, s3
	v_dual_mov_b32 v10, 1 :: v_dual_lshlrev_b32 v1, 2, v1
	s_xor_b32 exec_lo, exec_lo, s3
; %bb.10:
	v_and_b32_e32 v2, 1, v8
	v_and_b32_e32 v8, 0xff, v9
	s_delay_alu instid0(VALU_DEP_2) | instskip(SKIP_1) | instid1(VALU_DEP_3)
	v_cmp_eq_u32_e32 vcc_lo, 1, v2
	v_dual_cndmask_b32 v3, v7, v5 :: v_dual_cndmask_b32 v2, v6, v4
	v_cndmask_b32_e64 v10, v8, 1, vcc_lo
; %bb.11:
	s_or_b32 exec_lo, exec_lo, s3
	s_delay_alu instid0(VALU_DEP_1) | instskip(NEXT) | instid1(VALU_DEP_1)
	v_and_b32_e32 v8, 1, v10
	v_cmp_eq_u32_e32 vcc_lo, 1, v8
	v_or_b32_e32 v1, 8, v1
	ds_bpermute_b32 v4, v1, v2
	ds_bpermute_b32 v5, v1, v3
	s_wait_dscnt 0x0
	v_min_i64 v[6:7], v[4:5], v[2:3]
	v_cndmask_b32_e32 v2, v4, v2, vcc_lo
	ds_bpermute_b32 v1, v1, v10
	v_cndmask_b32_e32 v3, v5, v3, vcc_lo
	s_wait_dscnt 0x0
	v_bitop3_b32 v8, v10, 1, v1 bitop3:0x80
	v_cndmask_b32_e64 v1, v1, 1, vcc_lo
	s_delay_alu instid0(VALU_DEP_2) | instskip(NEXT) | instid1(VALU_DEP_2)
	v_cmp_eq_u32_e32 vcc_lo, 0, v8
	v_dual_cndmask_b32 v20, 1, v1 :: v_dual_cndmask_b32 v3, v7, v3
	v_cndmask_b32_e32 v2, v6, v2, vcc_lo
.LBB197_12:
	s_or_b32 exec_lo, exec_lo, s2
.LBB197_13:
	v_cmp_eq_u32_e64 s2, 0, v0
	s_and_b32 vcc_lo, exec_lo, s25
	s_cbranch_vccnz .LBB197_17
	s_branch .LBB197_118
.LBB197_14:
	s_mov_b32 s2, 0
                                        ; implicit-def: $sgpr10_sgpr11
                                        ; implicit-def: $vgpr2_vgpr3
                                        ; implicit-def: $vgpr20
	s_cbranch_execnz .LBB197_155
	s_branch .LBB197_211
.LBB197_15:
	s_mov_b32 s25, -1
.LBB197_16:
	s_mov_b32 s2, 0
                                        ; implicit-def: $sgpr10_sgpr11
                                        ; implicit-def: $vgpr2_vgpr3
                                        ; implicit-def: $vgpr20
	s_and_b32 vcc_lo, exec_lo, s25
	s_cbranch_vccz .LBB197_118
.LBB197_17:
	s_cmp_eq_u32 s24, 4
	s_cbranch_scc0 .LBB197_28
; %bb.18:
	s_bfe_u32 s2, ttmp6, 0x4000c
	s_and_b32 s3, ttmp6, 15
	s_add_co_i32 s2, s2, 1
	s_getreg_b32 s4, hwreg(HW_REG_IB_STS2, 6, 4)
	s_mul_i32 s2, ttmp9, s2
	s_mov_b32 s11, 0
	s_add_co_i32 s3, s3, s2
	s_cmp_eq_u32 s4, 0
	s_mov_b32 s21, s11
	s_cselect_b32 s10, ttmp9, s3
	s_lshr_b64 s[2:3], s[14:15], 9
	s_lshl_b32 s20, s10, 9
	s_delay_alu instid0(SALU_CYCLE_1)
	s_lshl_b64 s[4:5], s[20:21], 1
	s_cmp_lg_u64 s[2:3], s[10:11]
	s_add_nc_u64 s[6:7], s[16:17], s[4:5]
	s_add_nc_u64 s[8:9], s[18:19], s[4:5]
	;; [unrolled: 1-line block ×3, first 2 shown]
	s_cbranch_scc0 .LBB197_52
; %bb.19:
	s_wait_dscnt 0x2
	s_clause 0x2
	global_load_u16 v1, v0, s[6:7] offset:256 scale_offset
	global_load_u16 v2, v0, s[8:9] offset:256 scale_offset
	global_load_u16 v3, v0, s[6:7] scale_offset
	s_wait_dscnt 0x1
	global_load_u16 v4, v0, s[8:9] scale_offset
	s_wait_dscnt 0x0
	s_clause 0x3
	global_load_u16 v5, v0, s[6:7] offset:512 scale_offset
	global_load_u16 v6, v0, s[8:9] offset:512 scale_offset
	;; [unrolled: 1-line block ×4, first 2 shown]
	v_mov_b32_e32 v7, 0x80
	s_wait_loadcnt 0x6
	v_cmp_ne_u16_e32 vcc_lo, v1, v2
	v_mov_b32_e32 v1, 0
	s_wait_loadcnt 0x4
	v_cmp_ne_u16_e64 s2, v3, v4
	s_wait_loadcnt 0x2
	v_cmp_ne_u16_e64 s3, v5, v6
	v_cndmask_b32_e32 v2, 0x100, v7, vcc_lo
	s_delay_alu instid0(VALU_DEP_1) | instskip(SKIP_3) | instid1(VALU_DEP_2)
	v_cndmask_b32_e64 v4, v2, 0, s2
	s_or_b32 s2, s2, vcc_lo
	v_add_nc_u64_e32 v[2:3], s[4:5], v[0:1]
	s_or_b32 vcc_lo, s2, s3
	v_dual_mov_b32 v5, v1 :: v_dual_cndmask_b32 v4, 0x180, v4
	s_wait_loadcnt 0x0
	v_cmp_ne_u16_e64 s2, v9, v8
	s_delay_alu instid0(VALU_DEP_2) | instskip(SKIP_3) | instid1(VALU_DEP_2)
	v_add_nc_u64_e32 v[2:3], v[2:3], v[4:5]
	s_or_b32 vcc_lo, vcc_lo, s2
	s_mov_b32 s2, exec_lo
	v_cndmask_b32_e64 v8, 0, 1, vcc_lo
	v_mov_b32_dpp v4, v2 quad_perm:[1,0,3,2] row_mask:0xf bank_mask:0xf
	s_delay_alu instid0(VALU_DEP_3) | instskip(NEXT) | instid1(VALU_DEP_3)
	v_mov_b32_dpp v5, v3 quad_perm:[1,0,3,2] row_mask:0xf bank_mask:0xf
	v_mov_b32_dpp v9, v8 quad_perm:[1,0,3,2] row_mask:0xf bank_mask:0xf
	s_delay_alu instid0(VALU_DEP_2) | instskip(NEXT) | instid1(VALU_DEP_1)
	v_min_i64 v[6:7], v[2:3], v[4:5]
	v_dual_cndmask_b32 v5, v5, v7, vcc_lo :: v_dual_bitop2_b32 v9, 1, v9 bitop3:0x40
	s_delay_alu instid0(VALU_DEP_2) | instskip(NEXT) | instid1(VALU_DEP_2)
	v_cndmask_b32_e32 v4, v4, v6, vcc_lo
	v_cmp_eq_u32_e32 vcc_lo, 1, v9
	s_delay_alu instid0(VALU_DEP_2) | instskip(SKIP_1) | instid1(VALU_DEP_2)
	v_dual_cndmask_b32 v3, v3, v5 :: v_dual_cndmask_b32 v2, v2, v4
	v_cndmask_b32_e64 v8, v8, 1, vcc_lo
	v_mov_b32_dpp v5, v3 quad_perm:[2,3,0,1] row_mask:0xf bank_mask:0xf
	s_delay_alu instid0(VALU_DEP_3) | instskip(NEXT) | instid1(VALU_DEP_3)
	v_mov_b32_dpp v4, v2 quad_perm:[2,3,0,1] row_mask:0xf bank_mask:0xf
	v_mov_b32_dpp v10, v8 quad_perm:[2,3,0,1] row_mask:0xf bank_mask:0xf
	s_delay_alu instid0(VALU_DEP_2) | instskip(SKIP_1) | instid1(VALU_DEP_1)
	v_min_i64 v[6:7], v[2:3], v[4:5]
	v_and_b32_e32 v9, 1, v8
	v_cmp_eq_u32_e32 vcc_lo, 1, v9
	s_delay_alu instid0(VALU_DEP_3) | instskip(NEXT) | instid1(VALU_DEP_4)
	v_dual_cndmask_b32 v5, v5, v7, vcc_lo :: v_dual_bitop2_b32 v9, 1, v10 bitop3:0x40
	v_cndmask_b32_e32 v4, v4, v6, vcc_lo
	s_delay_alu instid0(VALU_DEP_2) | instskip(NEXT) | instid1(VALU_DEP_2)
	v_cmp_eq_u32_e32 vcc_lo, 1, v9
	v_dual_cndmask_b32 v3, v3, v5 :: v_dual_cndmask_b32 v2, v2, v4
	v_cndmask_b32_e64 v8, v8, 1, vcc_lo
	s_delay_alu instid0(VALU_DEP_2) | instskip(NEXT) | instid1(VALU_DEP_3)
	v_mov_b32_dpp v5, v3 row_ror:4 row_mask:0xf bank_mask:0xf
	v_mov_b32_dpp v4, v2 row_ror:4 row_mask:0xf bank_mask:0xf
	s_delay_alu instid0(VALU_DEP_3) | instskip(NEXT) | instid1(VALU_DEP_2)
	v_mov_b32_dpp v10, v8 row_ror:4 row_mask:0xf bank_mask:0xf
	v_min_i64 v[6:7], v[2:3], v[4:5]
	v_and_b32_e32 v9, 1, v8
	s_delay_alu instid0(VALU_DEP_1) | instskip(NEXT) | instid1(VALU_DEP_3)
	v_cmp_eq_u32_e32 vcc_lo, 1, v9
	v_dual_cndmask_b32 v5, v5, v7, vcc_lo :: v_dual_bitop2_b32 v9, 1, v10 bitop3:0x40
	s_delay_alu instid0(VALU_DEP_4) | instskip(NEXT) | instid1(VALU_DEP_2)
	v_cndmask_b32_e32 v4, v4, v6, vcc_lo
	v_cmp_eq_u32_e32 vcc_lo, 1, v9
	s_delay_alu instid0(VALU_DEP_2) | instskip(SKIP_1) | instid1(VALU_DEP_2)
	v_dual_cndmask_b32 v3, v3, v5 :: v_dual_cndmask_b32 v2, v2, v4
	v_cndmask_b32_e64 v8, v8, 1, vcc_lo
	v_mov_b32_dpp v5, v3 row_ror:8 row_mask:0xf bank_mask:0xf
	s_delay_alu instid0(VALU_DEP_3) | instskip(NEXT) | instid1(VALU_DEP_3)
	v_mov_b32_dpp v4, v2 row_ror:8 row_mask:0xf bank_mask:0xf
	v_mov_b32_dpp v10, v8 row_ror:8 row_mask:0xf bank_mask:0xf
	s_delay_alu instid0(VALU_DEP_2) | instskip(SKIP_1) | instid1(VALU_DEP_1)
	v_min_i64 v[6:7], v[2:3], v[4:5]
	v_and_b32_e32 v9, 1, v8
	v_cmp_eq_u32_e32 vcc_lo, 1, v9
	s_delay_alu instid0(VALU_DEP_3) | instskip(NEXT) | instid1(VALU_DEP_4)
	v_dual_cndmask_b32 v5, v5, v7, vcc_lo :: v_dual_bitop2_b32 v9, 1, v10 bitop3:0x40
	v_cndmask_b32_e32 v4, v4, v6, vcc_lo
	s_delay_alu instid0(VALU_DEP_2) | instskip(NEXT) | instid1(VALU_DEP_2)
	v_cmp_eq_u32_e32 vcc_lo, 1, v9
	v_dual_cndmask_b32 v3, v3, v5 :: v_dual_cndmask_b32 v2, v2, v4
	v_cndmask_b32_e64 v8, v8, 1, vcc_lo
	ds_swizzle_b32 v5, v3 offset:swizzle(BROADCAST,32,15)
	ds_swizzle_b32 v4, v2 offset:swizzle(BROADCAST,32,15)
	;; [unrolled: 1-line block ×3, first 2 shown]
	s_wait_dscnt 0x1
	v_min_i64 v[6:7], v[2:3], v[4:5]
	v_and_b32_e32 v10, 1, v8
	s_delay_alu instid0(VALU_DEP_1) | instskip(SKIP_1) | instid1(VALU_DEP_3)
	v_cmp_eq_u32_e32 vcc_lo, 1, v10
	s_wait_dscnt 0x0
	v_dual_cndmask_b32 v5, v5, v7, vcc_lo :: v_dual_bitop2_b32 v9, 1, v9 bitop3:0x40
	s_delay_alu instid0(VALU_DEP_4) | instskip(NEXT) | instid1(VALU_DEP_2)
	v_cndmask_b32_e32 v4, v4, v6, vcc_lo
	v_cmp_eq_u32_e32 vcc_lo, 1, v9
	s_delay_alu instid0(VALU_DEP_2)
	v_dual_cndmask_b32 v3, v3, v5 :: v_dual_cndmask_b32 v2, v2, v4
	v_cndmask_b32_e64 v5, v8, 1, vcc_lo
	ds_bpermute_b32 v3, v1, v3 offset:124
	ds_bpermute_b32 v2, v1, v2 offset:124
	;; [unrolled: 1-line block ×3, first 2 shown]
	v_mbcnt_lo_u32_b32 v1, -1, 0
	s_delay_alu instid0(VALU_DEP_1)
	v_cmpx_eq_u32_e32 0, v1
	s_cbranch_execz .LBB197_21
; %bb.20:
	v_lshrrev_b32_e32 v4, 1, v0
	s_delay_alu instid0(VALU_DEP_1)
	v_and_b32_e32 v4, 48, v4
	s_wait_dscnt 0x0
	ds_store_b8 v4, v20 offset:128
	ds_store_b64 v4, v[2:3] offset:136
.LBB197_21:
	s_or_b32 exec_lo, exec_lo, s2
	s_delay_alu instid0(SALU_CYCLE_1)
	s_mov_b32 s2, exec_lo
	s_wait_dscnt 0x0
	s_barrier_signal -1
	s_barrier_wait -1
	v_cmpx_gt_u32_e32 32, v0
	s_cbranch_execz .LBB197_27
; %bb.22:
	v_and_b32_e32 v2, 3, v1
	s_delay_alu instid0(VALU_DEP_1) | instskip(SKIP_2) | instid1(VALU_DEP_1)
	v_cmp_ne_u32_e32 vcc_lo, 3, v2
	v_lshlrev_b32_e32 v3, 4, v2
	v_add_co_ci_u32_e64 v2, null, 0, v1, vcc_lo
	v_lshlrev_b32_e32 v2, 2, v2
	ds_load_u8 v8, v3 offset:128
	ds_load_b64 v[4:5], v3 offset:136
	s_wait_dscnt 0x1
	v_and_b32_e32 v3, 0xff, v8
	s_wait_dscnt 0x0
	ds_bpermute_b32 v6, v2, v4
	ds_bpermute_b32 v7, v2, v5
	;; [unrolled: 1-line block ×3, first 2 shown]
	s_wait_dscnt 0x0
	v_and_b32_e32 v2, v8, v9
	s_delay_alu instid0(VALU_DEP_1) | instskip(NEXT) | instid1(VALU_DEP_1)
	v_and_b32_e32 v2, 1, v2
	v_cmp_eq_u32_e32 vcc_lo, 1, v2
                                        ; implicit-def: $vgpr2_vgpr3
	s_and_saveexec_b32 s3, vcc_lo
	s_delay_alu instid0(SALU_CYCLE_1)
	s_xor_b32 s3, exec_lo, s3
; %bb.23:
	v_min_i64 v[2:3], v[6:7], v[4:5]
                                        ; implicit-def: $vgpr8
                                        ; implicit-def: $vgpr6_vgpr7
                                        ; implicit-def: $vgpr4_vgpr5
                                        ; implicit-def: $vgpr9
; %bb.24:
	s_or_saveexec_b32 s3, s3
	v_dual_mov_b32 v10, 1 :: v_dual_lshlrev_b32 v1, 2, v1
	s_xor_b32 exec_lo, exec_lo, s3
; %bb.25:
	v_and_b32_e32 v2, 1, v8
	v_and_b32_e32 v8, 0xff, v9
	s_delay_alu instid0(VALU_DEP_2) | instskip(SKIP_1) | instid1(VALU_DEP_3)
	v_cmp_eq_u32_e32 vcc_lo, 1, v2
	v_dual_cndmask_b32 v3, v7, v5 :: v_dual_cndmask_b32 v2, v6, v4
	v_cndmask_b32_e64 v10, v8, 1, vcc_lo
; %bb.26:
	s_or_b32 exec_lo, exec_lo, s3
	s_delay_alu instid0(VALU_DEP_1) | instskip(NEXT) | instid1(VALU_DEP_1)
	v_and_b32_e32 v8, 1, v10
	v_cmp_eq_u32_e32 vcc_lo, 1, v8
	v_or_b32_e32 v1, 8, v1
	ds_bpermute_b32 v4, v1, v2
	ds_bpermute_b32 v5, v1, v3
	s_wait_dscnt 0x0
	v_min_i64 v[6:7], v[4:5], v[2:3]
	v_cndmask_b32_e32 v2, v4, v2, vcc_lo
	ds_bpermute_b32 v1, v1, v10
	v_cndmask_b32_e32 v3, v5, v3, vcc_lo
	s_wait_dscnt 0x0
	v_bitop3_b32 v8, v10, 1, v1 bitop3:0x80
	v_cndmask_b32_e64 v1, v1, 1, vcc_lo
	s_delay_alu instid0(VALU_DEP_2) | instskip(NEXT) | instid1(VALU_DEP_2)
	v_cmp_eq_u32_e32 vcc_lo, 0, v8
	v_dual_cndmask_b32 v20, 1, v1 :: v_dual_cndmask_b32 v3, v7, v3
	v_cndmask_b32_e32 v2, v6, v2, vcc_lo
.LBB197_27:
	s_or_b32 exec_lo, exec_lo, s2
	s_branch .LBB197_154
.LBB197_28:
                                        ; implicit-def: $sgpr10_sgpr11
                                        ; implicit-def: $vgpr2_vgpr3
                                        ; implicit-def: $vgpr20
	s_branch .LBB197_211
.LBB197_29:
                                        ; implicit-def: $vgpr2_vgpr3
                                        ; implicit-def: $vgpr20
	s_cbranch_execz .LBB197_13
; %bb.30:
	v_mov_b64_e32 v[16:17], 0
	v_mov_b64_e32 v[2:3], 0
	v_dual_mov_b32 v26, 0 :: v_dual_mov_b32 v20, 0
	s_sub_co_i32 s26, s14, s6
	s_mov_b32 s2, exec_lo
	v_cmpx_gt_u32_e64 s26, v0
	s_cbranch_execz .LBB197_32
; %bb.31:
	s_clause 0x1
	global_load_u16 v4, v0, s[8:9] scale_offset
	global_load_u16 v5, v0, s[22:23] scale_offset
	v_mov_b32_e32 v1, 0
	s_delay_alu instid0(VALU_DEP_1)
	v_add_nc_u64_e32 v[2:3], s[20:21], v[0:1]
	s_wait_loadcnt 0x0
	v_cmp_ne_u16_e32 vcc_lo, v4, v5
	v_cndmask_b32_e64 v20, 0, 1, vcc_lo
.LBB197_32:
	s_or_b32 exec_lo, exec_lo, s2
	v_or_b32_e32 v4, 0x80, v0
	s_delay_alu instid0(VALU_DEP_1)
	v_cmp_gt_u32_e64 s7, s26, v4
	s_and_saveexec_b32 s2, s7
	s_cbranch_execz .LBB197_34
; %bb.33:
	s_clause 0x1
	global_load_u16 v1, v0, s[8:9] offset:256 scale_offset
	global_load_u16 v6, v0, s[22:23] offset:256 scale_offset
	v_mov_b32_e32 v5, 0
	s_delay_alu instid0(VALU_DEP_1)
	v_add_nc_u64_e32 v[16:17], s[20:21], v[4:5]
	s_wait_loadcnt 0x0
	v_cmp_ne_u16_e32 vcc_lo, v1, v6
	v_cndmask_b32_e64 v26, 0, 1, vcc_lo
.LBB197_34:
	s_or_b32 exec_lo, exec_lo, s2
	v_or_b32_e32 v4, 0x100, v0
	v_mov_b64_e32 v[12:13], 0
	v_mov_b64_e32 v[14:15], 0
	v_dual_mov_b32 v24, 0 :: v_dual_mov_b32 v25, 0
	s_delay_alu instid0(VALU_DEP_4)
	v_cmp_gt_u32_e64 s6, s26, v4
	s_and_saveexec_b32 s2, s6
	s_cbranch_execz .LBB197_36
; %bb.35:
	s_clause 0x1
	global_load_u16 v1, v0, s[8:9] offset:512 scale_offset
	global_load_u16 v6, v0, s[22:23] offset:512 scale_offset
	v_mov_b32_e32 v5, 0
	s_delay_alu instid0(VALU_DEP_1)
	v_add_nc_u64_e32 v[14:15], s[20:21], v[4:5]
	s_wait_loadcnt 0x0
	v_cmp_ne_u16_e32 vcc_lo, v1, v6
	v_cndmask_b32_e64 v25, 0, 1, vcc_lo
.LBB197_36:
	s_or_b32 exec_lo, exec_lo, s2
	v_or_b32_e32 v4, 0x180, v0
	s_delay_alu instid0(VALU_DEP_1)
	v_cmp_gt_u32_e64 s5, s26, v4
	s_and_saveexec_b32 s2, s5
	s_cbranch_execz .LBB197_38
; %bb.37:
	s_clause 0x1
	global_load_u16 v1, v0, s[8:9] offset:768 scale_offset
	global_load_u16 v6, v0, s[22:23] offset:768 scale_offset
	v_mov_b32_e32 v5, 0
	s_delay_alu instid0(VALU_DEP_1)
	v_add_nc_u64_e32 v[12:13], s[20:21], v[4:5]
	s_wait_loadcnt 0x0
	v_cmp_ne_u16_e32 vcc_lo, v1, v6
	v_cndmask_b32_e64 v24, 0, 1, vcc_lo
.LBB197_38:
	s_or_b32 exec_lo, exec_lo, s2
	v_or_b32_e32 v4, 0x200, v0
	v_mov_b64_e32 v[8:9], 0
	v_mov_b64_e32 v[10:11], 0
	v_dual_mov_b32 v22, 0 :: v_dual_mov_b32 v23, 0
	s_delay_alu instid0(VALU_DEP_4)
	v_cmp_gt_u32_e64 s4, s26, v4
	s_and_saveexec_b32 s2, s4
	s_cbranch_execz .LBB197_40
; %bb.39:
	s_clause 0x1
	global_load_u16 v1, v0, s[8:9] offset:1024 scale_offset
	global_load_u16 v6, v0, s[22:23] offset:1024 scale_offset
	v_mov_b32_e32 v5, 0
	s_delay_alu instid0(VALU_DEP_1)
	v_add_nc_u64_e32 v[10:11], s[20:21], v[4:5]
	s_wait_loadcnt 0x0
	v_cmp_ne_u16_e32 vcc_lo, v1, v6
	v_cndmask_b32_e64 v23, 0, 1, vcc_lo
.LBB197_40:
	;; [unrolled: 37-line block ×3, first 2 shown]
	s_or_b32 exec_lo, exec_lo, s27
	v_or_b32_e32 v18, 0x380, v0
	s_delay_alu instid0(VALU_DEP_1)
	v_cmp_gt_u32_e32 vcc_lo, s26, v18
	s_and_saveexec_b32 s27, vcc_lo
	s_cbranch_execnz .LBB197_63
; %bb.45:
	s_or_b32 exec_lo, exec_lo, s27
	s_and_saveexec_b32 s9, s7
	s_cbranch_execnz .LBB197_64
.LBB197_46:
	s_or_b32 exec_lo, exec_lo, s9
	s_and_saveexec_b32 s8, s6
	s_cbranch_execnz .LBB197_69
.LBB197_47:
	s_or_b32 exec_lo, exec_lo, s8
	s_and_saveexec_b32 s7, s5
	s_cbranch_execnz .LBB197_74
.LBB197_48:
	s_or_b32 exec_lo, exec_lo, s7
	s_and_saveexec_b32 s6, s4
	s_cbranch_execnz .LBB197_79
.LBB197_49:
	s_or_b32 exec_lo, exec_lo, s6
	s_and_saveexec_b32 s5, s3
	s_cbranch_execnz .LBB197_84
.LBB197_50:
	s_or_b32 exec_lo, exec_lo, s5
	s_and_saveexec_b32 s4, s2
	s_cbranch_execnz .LBB197_89
.LBB197_51:
	s_or_b32 exec_lo, exec_lo, s4
	s_and_saveexec_b32 s3, vcc_lo
	s_cbranch_execnz .LBB197_94
	s_branch .LBB197_99
.LBB197_52:
                                        ; implicit-def: $vgpr2_vgpr3
                                        ; implicit-def: $vgpr20
	s_cbranch_execz .LBB197_154
; %bb.53:
	v_mov_b64_e32 v[8:9], 0
	v_mov_b64_e32 v[2:3], 0
	v_dual_mov_b32 v13, 0 :: v_dual_mov_b32 v20, 0
	s_sub_co_i32 s20, s14, s20
	s_mov_b32 s2, exec_lo
	v_cmpx_gt_u32_e64 s20, v0
	s_cbranch_execz .LBB197_55
; %bb.54:
	s_wait_dscnt 0x1
	global_load_u16 v4, v0, s[6:7] scale_offset
	s_wait_dscnt 0x0
	global_load_u16 v5, v0, s[8:9] scale_offset
	v_mov_b32_e32 v1, 0
	s_delay_alu instid0(VALU_DEP_1)
	v_add_nc_u64_e32 v[2:3], s[4:5], v[0:1]
	s_wait_loadcnt 0x0
	v_cmp_ne_u16_e32 vcc_lo, v4, v5
	v_cndmask_b32_e64 v20, 0, 1, vcc_lo
.LBB197_55:
	s_or_b32 exec_lo, exec_lo, s2
	s_wait_dscnt 0x1
	v_or_b32_e32 v4, 0x80, v0
	s_delay_alu instid0(VALU_DEP_1)
	v_cmp_gt_u32_e64 s3, s20, v4
	s_and_saveexec_b32 s2, s3
	s_cbranch_execz .LBB197_57
; %bb.56:
	s_clause 0x1
	global_load_u16 v1, v0, s[6:7] offset:256 scale_offset
	global_load_u16 v6, v0, s[8:9] offset:256 scale_offset
	s_wait_dscnt 0x0
	v_mov_b32_e32 v5, 0
	s_delay_alu instid0(VALU_DEP_1)
	v_add_nc_u64_e32 v[8:9], s[4:5], v[4:5]
	s_wait_loadcnt 0x0
	v_cmp_ne_u16_e32 vcc_lo, v1, v6
	v_cndmask_b32_e64 v13, 0, 1, vcc_lo
.LBB197_57:
	s_or_b32 exec_lo, exec_lo, s2
	v_or_b32_e32 v10, 0x100, v0
	s_wait_dscnt 0x0
	v_mov_b64_e32 v[4:5], 0
	v_mov_b64_e32 v[6:7], 0
	v_dual_mov_b32 v1, 0 :: v_dual_mov_b32 v12, 0
	v_cmp_gt_u32_e64 s2, s20, v10
	s_and_saveexec_b32 s21, s2
	s_cbranch_execz .LBB197_59
; %bb.58:
	s_clause 0x1
	global_load_u16 v12, v0, s[6:7] offset:512 scale_offset
	global_load_u16 v14, v0, s[8:9] offset:512 scale_offset
	v_mov_b32_e32 v11, 0
	s_delay_alu instid0(VALU_DEP_1)
	v_add_nc_u64_e32 v[6:7], s[4:5], v[10:11]
	s_wait_loadcnt 0x0
	v_cmp_ne_u16_e32 vcc_lo, v12, v14
	v_cndmask_b32_e64 v12, 0, 1, vcc_lo
.LBB197_59:
	s_or_b32 exec_lo, exec_lo, s21
	v_or_b32_e32 v10, 0x180, v0
	s_delay_alu instid0(VALU_DEP_1)
	v_cmp_gt_u32_e32 vcc_lo, s20, v10
	s_and_saveexec_b32 s21, vcc_lo
	s_cbranch_execnz .LBB197_119
; %bb.60:
	s_or_b32 exec_lo, exec_lo, s21
	s_and_saveexec_b32 s5, s3
	s_cbranch_execnz .LBB197_120
.LBB197_61:
	s_or_b32 exec_lo, exec_lo, s5
	s_and_saveexec_b32 s4, s2
	s_cbranch_execnz .LBB197_125
.LBB197_62:
	s_or_b32 exec_lo, exec_lo, s4
	s_and_saveexec_b32 s3, vcc_lo
	s_cbranch_execnz .LBB197_130
	s_branch .LBB197_135
.LBB197_63:
	s_clause 0x1
	global_load_u16 v1, v0, s[8:9] offset:1792 scale_offset
	global_load_u16 v27, v0, s[22:23] offset:1792 scale_offset
	v_mov_b32_e32 v19, 0
	s_delay_alu instid0(VALU_DEP_1) | instskip(SKIP_2) | instid1(VALU_DEP_1)
	v_add_nc_u64_e32 v[4:5], s[20:21], v[18:19]
	s_wait_loadcnt 0x0
	v_cmp_ne_u16_e64 s8, v1, v27
	v_cndmask_b32_e64 v1, 0, 1, s8
	s_or_b32 exec_lo, exec_lo, s27
	s_and_saveexec_b32 s9, s7
	s_cbranch_execz .LBB197_46
.LBB197_64:
	v_and_b32_e32 v18, 1, v20
	v_and_b32_e32 v19, 1, v26
                                        ; implicit-def: $vgpr20
	s_delay_alu instid0(VALU_DEP_2) | instskip(NEXT) | instid1(VALU_DEP_2)
	v_cmp_eq_u32_e64 s7, 1, v18
	v_cmp_eq_u32_e64 s8, 1, v19
	s_and_b32 s8, s7, s8
	s_delay_alu instid0(SALU_CYCLE_1) | instskip(NEXT) | instid1(SALU_CYCLE_1)
	s_xor_b32 s8, s8, -1
	s_and_saveexec_b32 s20, s8
	s_delay_alu instid0(SALU_CYCLE_1)
	s_xor_b32 s8, exec_lo, s20
; %bb.65:
	v_and_b32_e32 v18, 0xffff, v26
	v_dual_cndmask_b32 v3, v17, v3, s7 :: v_dual_cndmask_b32 v2, v16, v2, s7
                                        ; implicit-def: $vgpr16_vgpr17
	s_delay_alu instid0(VALU_DEP_2)
	v_cndmask_b32_e64 v20, v18, 1, s7
; %bb.66:
	s_and_not1_saveexec_b32 s7, s8
	s_cbranch_execz .LBB197_68
; %bb.67:
	s_delay_alu instid0(VALU_DEP_2)
	v_min_i64 v[2:3], v[16:17], v[2:3]
	v_mov_b32_e32 v20, 1
.LBB197_68:
	s_or_b32 exec_lo, exec_lo, s7
	s_delay_alu instid0(SALU_CYCLE_1)
	s_or_b32 exec_lo, exec_lo, s9
	s_and_saveexec_b32 s8, s6
	s_cbranch_execz .LBB197_47
.LBB197_69:
	v_and_b32_e32 v16, 1, v20
	v_and_b32_e32 v17, 1, v25
                                        ; implicit-def: $vgpr20
	s_delay_alu instid0(VALU_DEP_2) | instskip(NEXT) | instid1(VALU_DEP_2)
	v_cmp_eq_u32_e64 s6, 1, v16
	v_cmp_eq_u32_e64 s7, 1, v17
	s_and_b32 s7, s6, s7
	s_delay_alu instid0(SALU_CYCLE_1) | instskip(NEXT) | instid1(SALU_CYCLE_1)
	s_xor_b32 s7, s7, -1
	s_and_saveexec_b32 s9, s7
	s_delay_alu instid0(SALU_CYCLE_1)
	s_xor_b32 s7, exec_lo, s9
; %bb.70:
	v_and_b32_e32 v16, 0xffff, v25
	v_dual_cndmask_b32 v3, v15, v3, s6 :: v_dual_cndmask_b32 v2, v14, v2, s6
                                        ; implicit-def: $vgpr14_vgpr15
	s_delay_alu instid0(VALU_DEP_2)
	v_cndmask_b32_e64 v20, v16, 1, s6
; %bb.71:
	s_and_not1_saveexec_b32 s6, s7
	s_cbranch_execz .LBB197_73
; %bb.72:
	s_delay_alu instid0(VALU_DEP_2)
	v_min_i64 v[2:3], v[14:15], v[2:3]
	v_mov_b32_e32 v20, 1
.LBB197_73:
	s_or_b32 exec_lo, exec_lo, s6
	s_delay_alu instid0(SALU_CYCLE_1)
	s_or_b32 exec_lo, exec_lo, s8
	s_and_saveexec_b32 s7, s5
	s_cbranch_execz .LBB197_48
.LBB197_74:
	v_and_b32_e32 v14, 1, v20
	v_and_b32_e32 v15, 1, v24
                                        ; implicit-def: $vgpr20
	s_delay_alu instid0(VALU_DEP_2) | instskip(NEXT) | instid1(VALU_DEP_2)
	v_cmp_eq_u32_e64 s5, 1, v14
	v_cmp_eq_u32_e64 s6, 1, v15
	s_and_b32 s6, s5, s6
	s_delay_alu instid0(SALU_CYCLE_1) | instskip(NEXT) | instid1(SALU_CYCLE_1)
	s_xor_b32 s6, s6, -1
	s_and_saveexec_b32 s8, s6
	s_delay_alu instid0(SALU_CYCLE_1)
	s_xor_b32 s6, exec_lo, s8
; %bb.75:
	v_and_b32_e32 v14, 0xffff, v24
	v_dual_cndmask_b32 v3, v13, v3, s5 :: v_dual_cndmask_b32 v2, v12, v2, s5
                                        ; implicit-def: $vgpr12_vgpr13
	s_delay_alu instid0(VALU_DEP_2)
	v_cndmask_b32_e64 v20, v14, 1, s5
; %bb.76:
	s_and_not1_saveexec_b32 s5, s6
	s_cbranch_execz .LBB197_78
; %bb.77:
	s_delay_alu instid0(VALU_DEP_2)
	v_min_i64 v[2:3], v[12:13], v[2:3]
	v_mov_b32_e32 v20, 1
.LBB197_78:
	s_or_b32 exec_lo, exec_lo, s5
	s_delay_alu instid0(SALU_CYCLE_1)
	s_or_b32 exec_lo, exec_lo, s7
	s_and_saveexec_b32 s6, s4
	s_cbranch_execz .LBB197_49
.LBB197_79:
	v_and_b32_e32 v12, 1, v20
	v_and_b32_e32 v13, 1, v23
                                        ; implicit-def: $vgpr20
	s_delay_alu instid0(VALU_DEP_2) | instskip(NEXT) | instid1(VALU_DEP_2)
	v_cmp_eq_u32_e64 s4, 1, v12
	v_cmp_eq_u32_e64 s5, 1, v13
	s_and_b32 s5, s4, s5
	s_delay_alu instid0(SALU_CYCLE_1) | instskip(NEXT) | instid1(SALU_CYCLE_1)
	s_xor_b32 s5, s5, -1
	s_and_saveexec_b32 s7, s5
	s_delay_alu instid0(SALU_CYCLE_1)
	s_xor_b32 s5, exec_lo, s7
; %bb.80:
	v_and_b32_e32 v12, 0xffff, v23
	v_dual_cndmask_b32 v3, v11, v3, s4 :: v_dual_cndmask_b32 v2, v10, v2, s4
                                        ; implicit-def: $vgpr10_vgpr11
	s_delay_alu instid0(VALU_DEP_2)
	v_cndmask_b32_e64 v20, v12, 1, s4
; %bb.81:
	s_and_not1_saveexec_b32 s4, s5
	s_cbranch_execz .LBB197_83
; %bb.82:
	s_delay_alu instid0(VALU_DEP_2)
	v_min_i64 v[2:3], v[10:11], v[2:3]
	v_mov_b32_e32 v20, 1
.LBB197_83:
	s_or_b32 exec_lo, exec_lo, s4
	s_delay_alu instid0(SALU_CYCLE_1)
	s_or_b32 exec_lo, exec_lo, s6
	s_and_saveexec_b32 s5, s3
	s_cbranch_execz .LBB197_50
.LBB197_84:
	v_and_b32_e32 v10, 1, v20
	v_and_b32_e32 v11, 1, v22
                                        ; implicit-def: $vgpr20
	s_delay_alu instid0(VALU_DEP_2) | instskip(NEXT) | instid1(VALU_DEP_2)
	v_cmp_eq_u32_e64 s3, 1, v10
	v_cmp_eq_u32_e64 s4, 1, v11
	s_and_b32 s4, s3, s4
	s_delay_alu instid0(SALU_CYCLE_1) | instskip(NEXT) | instid1(SALU_CYCLE_1)
	s_xor_b32 s4, s4, -1
	s_and_saveexec_b32 s6, s4
	s_delay_alu instid0(SALU_CYCLE_1)
	s_xor_b32 s4, exec_lo, s6
; %bb.85:
	v_and_b32_e32 v10, 0xffff, v22
	v_dual_cndmask_b32 v3, v9, v3, s3 :: v_dual_cndmask_b32 v2, v8, v2, s3
                                        ; implicit-def: $vgpr8_vgpr9
	s_delay_alu instid0(VALU_DEP_2)
	v_cndmask_b32_e64 v20, v10, 1, s3
; %bb.86:
	s_and_not1_saveexec_b32 s3, s4
	s_cbranch_execz .LBB197_88
; %bb.87:
	s_delay_alu instid0(VALU_DEP_2)
	v_min_i64 v[2:3], v[8:9], v[2:3]
	v_mov_b32_e32 v20, 1
.LBB197_88:
	s_or_b32 exec_lo, exec_lo, s3
	s_delay_alu instid0(SALU_CYCLE_1)
	s_or_b32 exec_lo, exec_lo, s5
	s_and_saveexec_b32 s4, s2
	s_cbranch_execz .LBB197_51
.LBB197_89:
	v_and_b32_e32 v8, 1, v20
	v_and_b32_e32 v9, 1, v21
                                        ; implicit-def: $vgpr20
	s_delay_alu instid0(VALU_DEP_2) | instskip(NEXT) | instid1(VALU_DEP_2)
	v_cmp_eq_u32_e64 s2, 1, v8
	v_cmp_eq_u32_e64 s3, 1, v9
	s_and_b32 s3, s2, s3
	s_delay_alu instid0(SALU_CYCLE_1) | instskip(NEXT) | instid1(SALU_CYCLE_1)
	s_xor_b32 s3, s3, -1
	s_and_saveexec_b32 s5, s3
	s_delay_alu instid0(SALU_CYCLE_1)
	s_xor_b32 s3, exec_lo, s5
; %bb.90:
	v_and_b32_e32 v8, 0xffff, v21
	v_dual_cndmask_b32 v3, v7, v3, s2 :: v_dual_cndmask_b32 v2, v6, v2, s2
                                        ; implicit-def: $vgpr6_vgpr7
	s_delay_alu instid0(VALU_DEP_2)
	v_cndmask_b32_e64 v20, v8, 1, s2
; %bb.91:
	s_and_not1_saveexec_b32 s2, s3
	s_cbranch_execz .LBB197_93
; %bb.92:
	s_delay_alu instid0(VALU_DEP_2)
	v_min_i64 v[2:3], v[6:7], v[2:3]
	v_mov_b32_e32 v20, 1
.LBB197_93:
	s_or_b32 exec_lo, exec_lo, s2
	s_delay_alu instid0(SALU_CYCLE_1)
	s_or_b32 exec_lo, exec_lo, s4
	s_and_saveexec_b32 s3, vcc_lo
	s_cbranch_execz .LBB197_99
.LBB197_94:
	v_and_b32_e32 v6, 1, v20
	v_and_b32_e32 v7, 1, v1
                                        ; implicit-def: $vgpr20
	s_delay_alu instid0(VALU_DEP_2) | instskip(NEXT) | instid1(VALU_DEP_2)
	v_cmp_eq_u32_e32 vcc_lo, 1, v6
	v_cmp_eq_u32_e64 s2, 1, v7
	s_and_b32 s2, vcc_lo, s2
	s_delay_alu instid0(SALU_CYCLE_1) | instskip(NEXT) | instid1(SALU_CYCLE_1)
	s_xor_b32 s2, s2, -1
	s_and_saveexec_b32 s4, s2
	s_delay_alu instid0(SALU_CYCLE_1)
	s_xor_b32 s2, exec_lo, s4
; %bb.95:
	v_and_b32_e32 v1, 0xffff, v1
	v_dual_cndmask_b32 v3, v5, v3 :: v_dual_cndmask_b32 v2, v4, v2
                                        ; implicit-def: $vgpr4_vgpr5
	s_delay_alu instid0(VALU_DEP_2)
	v_cndmask_b32_e64 v20, v1, 1, vcc_lo
; %bb.96:
	s_and_not1_saveexec_b32 s2, s2
	s_cbranch_execz .LBB197_98
; %bb.97:
	s_delay_alu instid0(VALU_DEP_2)
	v_min_i64 v[2:3], v[4:5], v[2:3]
	v_mov_b32_e32 v20, 1
.LBB197_98:
	s_or_b32 exec_lo, exec_lo, s2
.LBB197_99:
	s_delay_alu instid0(SALU_CYCLE_1) | instskip(SKIP_4) | instid1(VALU_DEP_2)
	s_or_b32 exec_lo, exec_lo, s3
	v_mbcnt_lo_u32_b32 v1, -1, 0
	v_and_b32_e32 v6, 0x60, v0
	s_min_u32 s3, s26, 0x80
	s_mov_b32 s2, exec_lo
	v_cmp_ne_u32_e32 vcc_lo, 31, v1
	s_delay_alu instid0(VALU_DEP_2) | instskip(SKIP_2) | instid1(VALU_DEP_1)
	v_sub_nc_u32_e64 v6, s3, v6 clamp
	v_add_nc_u32_e32 v8, 1, v1
	v_add_co_ci_u32_e64 v4, null, 0, v1, vcc_lo
	v_lshlrev_b32_e32 v5, 2, v4
	ds_bpermute_b32 v7, v5, v20
	ds_bpermute_b32 v4, v5, v2
	;; [unrolled: 1-line block ×3, first 2 shown]
	v_cmpx_lt_u32_e64 v8, v6
	s_xor_b32 s4, exec_lo, s2
	s_cbranch_execz .LBB197_101
; %bb.100:
	s_wait_dscnt 0x0
	v_min_i64 v[8:9], v[4:5], v[2:3]
	v_and_b32_e32 v10, 1, v20
	s_delay_alu instid0(VALU_DEP_1) | instskip(SKIP_3) | instid1(VALU_DEP_3)
	v_cmp_eq_u32_e32 vcc_lo, 1, v10
	v_and_b32_e32 v10, v7, v20
	v_and_b32_e32 v7, 0xff, v7
	v_dual_cndmask_b32 v2, v4, v2 :: v_dual_cndmask_b32 v3, v5, v3
	v_cmp_eq_u32_e64 s2, 0, v10
	s_delay_alu instid0(VALU_DEP_3) | instskip(NEXT) | instid1(VALU_DEP_1)
	v_cndmask_b32_e64 v4, v7, 1, vcc_lo
	v_dual_cndmask_b32 v20, 1, v4, s2 :: v_dual_cndmask_b32 v3, v9, v3, s2
	s_delay_alu instid0(VALU_DEP_4)
	v_cndmask_b32_e64 v2, v8, v2, s2
.LBB197_101:
	s_or_b32 exec_lo, exec_lo, s4
	v_cmp_gt_u32_e32 vcc_lo, 30, v1
	v_add_nc_u32_e32 v8, 2, v1
	s_mov_b32 s4, exec_lo
	s_wait_dscnt 0x1
	v_cndmask_b32_e64 v4, 0, 2, vcc_lo
	s_wait_dscnt 0x0
	s_delay_alu instid0(VALU_DEP_1)
	v_add_lshl_u32 v5, v4, v1, 2
	ds_bpermute_b32 v7, v5, v20
	ds_bpermute_b32 v4, v5, v2
	ds_bpermute_b32 v5, v5, v3
	v_cmpx_lt_u32_e64 v8, v6
	s_cbranch_execz .LBB197_103
; %bb.102:
	s_wait_dscnt 0x0
	v_min_i64 v[8:9], v[4:5], v[2:3]
	v_and_b32_e32 v10, 1, v20
	s_delay_alu instid0(VALU_DEP_1) | instskip(SKIP_3) | instid1(VALU_DEP_3)
	v_cmp_eq_u32_e32 vcc_lo, 1, v10
	v_bitop3_b32 v10, v20, 1, v7 bitop3:0x80
	v_and_b32_e32 v7, 0xff, v7
	v_cndmask_b32_e32 v2, v4, v2, vcc_lo
	v_cmp_eq_u32_e64 s2, 0, v10
	v_cndmask_b32_e32 v3, v5, v3, vcc_lo
	s_delay_alu instid0(VALU_DEP_4) | instskip(NEXT) | instid1(VALU_DEP_1)
	v_cndmask_b32_e64 v4, v7, 1, vcc_lo
	v_dual_cndmask_b32 v20, 1, v4, s2 :: v_dual_cndmask_b32 v2, v8, v2, s2
	s_delay_alu instid0(VALU_DEP_3)
	v_cndmask_b32_e64 v3, v9, v3, s2
.LBB197_103:
	s_or_b32 exec_lo, exec_lo, s4
	v_cmp_gt_u32_e32 vcc_lo, 28, v1
	v_add_nc_u32_e32 v8, 4, v1
	s_mov_b32 s4, exec_lo
	s_wait_dscnt 0x1
	v_cndmask_b32_e64 v4, 0, 4, vcc_lo
	s_wait_dscnt 0x0
	s_delay_alu instid0(VALU_DEP_1)
	v_add_lshl_u32 v5, v4, v1, 2
	ds_bpermute_b32 v7, v5, v20
	ds_bpermute_b32 v4, v5, v2
	ds_bpermute_b32 v5, v5, v3
	v_cmpx_lt_u32_e64 v8, v6
	s_cbranch_execz .LBB197_105
; %bb.104:
	s_wait_dscnt 0x0
	v_min_i64 v[8:9], v[4:5], v[2:3]
	v_and_b32_e32 v10, 1, v20
	s_delay_alu instid0(VALU_DEP_1) | instskip(SKIP_3) | instid1(VALU_DEP_3)
	v_cmp_eq_u32_e32 vcc_lo, 1, v10
	v_bitop3_b32 v10, v20, 1, v7 bitop3:0x80
	v_and_b32_e32 v7, 0xff, v7
	v_cndmask_b32_e32 v2, v4, v2, vcc_lo
	v_cmp_eq_u32_e64 s2, 0, v10
	v_cndmask_b32_e32 v3, v5, v3, vcc_lo
	s_delay_alu instid0(VALU_DEP_4) | instskip(NEXT) | instid1(VALU_DEP_1)
	v_cndmask_b32_e64 v4, v7, 1, vcc_lo
	v_dual_cndmask_b32 v20, 1, v4, s2 :: v_dual_cndmask_b32 v2, v8, v2, s2
	s_delay_alu instid0(VALU_DEP_3)
	v_cndmask_b32_e64 v3, v9, v3, s2
.LBB197_105:
	s_or_b32 exec_lo, exec_lo, s4
	v_cmp_gt_u32_e32 vcc_lo, 24, v1
	v_add_nc_u32_e32 v8, 8, v1
	s_mov_b32 s4, exec_lo
	s_wait_dscnt 0x1
	v_cndmask_b32_e64 v4, 0, 8, vcc_lo
	s_wait_dscnt 0x0
	s_delay_alu instid0(VALU_DEP_1)
	v_add_lshl_u32 v5, v4, v1, 2
	ds_bpermute_b32 v7, v5, v20
	ds_bpermute_b32 v4, v5, v2
	ds_bpermute_b32 v5, v5, v3
	v_cmpx_lt_u32_e64 v8, v6
	s_cbranch_execz .LBB197_107
; %bb.106:
	s_wait_dscnt 0x0
	v_min_i64 v[8:9], v[4:5], v[2:3]
	v_and_b32_e32 v10, 1, v20
	s_delay_alu instid0(VALU_DEP_1) | instskip(SKIP_3) | instid1(VALU_DEP_3)
	v_cmp_eq_u32_e32 vcc_lo, 1, v10
	v_bitop3_b32 v10, v20, 1, v7 bitop3:0x80
	v_and_b32_e32 v7, 0xff, v7
	v_cndmask_b32_e32 v2, v4, v2, vcc_lo
	v_cmp_eq_u32_e64 s2, 0, v10
	v_cndmask_b32_e32 v3, v5, v3, vcc_lo
	s_delay_alu instid0(VALU_DEP_4) | instskip(NEXT) | instid1(VALU_DEP_1)
	v_cndmask_b32_e64 v4, v7, 1, vcc_lo
	v_dual_cndmask_b32 v20, 1, v4, s2 :: v_dual_cndmask_b32 v2, v8, v2, s2
	s_delay_alu instid0(VALU_DEP_3)
	v_cndmask_b32_e64 v3, v9, v3, s2
.LBB197_107:
	s_or_b32 exec_lo, exec_lo, s4
	s_wait_dscnt 0x2
	v_dual_lshlrev_b32 v7, 2, v1 :: v_dual_add_nc_u32 v9, 16, v1
	s_wait_dscnt 0x0
	s_delay_alu instid0(VALU_DEP_1) | instskip(NEXT) | instid1(VALU_DEP_2)
	v_or_b32_e32 v5, 64, v7
	v_cmp_lt_u32_e32 vcc_lo, v9, v6
	v_mov_b32_e32 v6, v20
	ds_bpermute_b32 v8, v5, v20
	ds_bpermute_b32 v4, v5, v2
	;; [unrolled: 1-line block ×3, first 2 shown]
	s_and_saveexec_b32 s4, vcc_lo
	s_cbranch_execz .LBB197_109
; %bb.108:
	s_wait_dscnt 0x0
	v_min_i64 v[10:11], v[4:5], v[2:3]
	v_and_b32_e32 v6, 1, v20
	v_bitop3_b32 v9, v20, 1, v8 bitop3:0x80
	s_delay_alu instid0(VALU_DEP_2) | instskip(NEXT) | instid1(VALU_DEP_2)
	v_cmp_eq_u32_e32 vcc_lo, 1, v6
	v_cmp_eq_u32_e64 s2, 0, v9
	v_cndmask_b32_e64 v6, v8, 1, vcc_lo
	v_dual_cndmask_b32 v3, v5, v3 :: v_dual_cndmask_b32 v2, v4, v2
	s_delay_alu instid0(VALU_DEP_2) | instskip(NEXT) | instid1(VALU_DEP_1)
	v_cndmask_b32_e64 v6, 1, v6, s2
	v_and_b32_e32 v20, 0xff, v6
	s_delay_alu instid0(VALU_DEP_3)
	v_dual_cndmask_b32 v3, v11, v3, s2 :: v_dual_cndmask_b32 v2, v10, v2, s2
.LBB197_109:
	s_or_b32 exec_lo, exec_lo, s4
	s_delay_alu instid0(SALU_CYCLE_1)
	s_mov_b32 s2, exec_lo
	v_cmpx_eq_u32_e32 0, v1
	s_cbranch_execz .LBB197_111
; %bb.110:
	s_wait_dscnt 0x1
	v_lshrrev_b32_e32 v4, 1, v0
	s_delay_alu instid0(VALU_DEP_1)
	v_and_b32_e32 v4, 48, v4
	ds_store_b8 v4, v6 offset:256
	ds_store_b64 v4, v[2:3] offset:264
.LBB197_111:
	s_or_b32 exec_lo, exec_lo, s2
	s_delay_alu instid0(SALU_CYCLE_1)
	s_mov_b32 s4, exec_lo
	s_wait_dscnt 0x0
	s_barrier_signal -1
	s_barrier_wait -1
	v_cmpx_gt_u32_e32 4, v0
	s_cbranch_execz .LBB197_117
; %bb.112:
	v_dual_lshlrev_b32 v2, 4, v1 :: v_dual_bitop2_b32 v6, 3, v1 bitop3:0x40
	s_add_co_i32 s3, s3, 31
	s_mov_b32 s5, exec_lo
	s_lshr_b32 s3, s3, 5
	ds_load_u8 v8, v2 offset:256
	ds_load_b64 v[2:3], v2 offset:264
	v_cmp_ne_u32_e32 vcc_lo, 3, v6
	v_add_nc_u32_e32 v9, 1, v6
	v_add_co_ci_u32_e64 v1, null, 0, v1, vcc_lo
	s_delay_alu instid0(VALU_DEP_1)
	v_lshlrev_b32_e32 v5, 2, v1
	s_wait_dscnt 0x1
	v_and_b32_e32 v20, 0xff, v8
	s_wait_dscnt 0x0
	ds_bpermute_b32 v4, v5, v2
	ds_bpermute_b32 v1, v5, v20
	;; [unrolled: 1-line block ×3, first 2 shown]
	v_cmpx_gt_u32_e64 s3, v9
	s_cbranch_execz .LBB197_114
; %bb.113:
	s_wait_dscnt 0x0
	v_min_i64 v[10:11], v[4:5], v[2:3]
	v_and_b32_e32 v8, 1, v8
	s_delay_alu instid0(VALU_DEP_1) | instskip(SKIP_3) | instid1(VALU_DEP_3)
	v_cmp_eq_u32_e32 vcc_lo, 1, v8
	v_bitop3_b32 v8, v20, 1, v1 bitop3:0x80
	v_and_b32_e32 v1, 0xff, v1
	v_cndmask_b32_e32 v2, v4, v2, vcc_lo
	v_cmp_eq_u32_e64 s2, 0, v8
	v_cndmask_b32_e32 v3, v5, v3, vcc_lo
	s_delay_alu instid0(VALU_DEP_4) | instskip(NEXT) | instid1(VALU_DEP_1)
	v_cndmask_b32_e64 v1, v1, 1, vcc_lo
	v_dual_cndmask_b32 v20, 1, v1, s2 :: v_dual_cndmask_b32 v2, v10, v2, s2
	s_delay_alu instid0(VALU_DEP_3)
	v_cndmask_b32_e64 v3, v11, v3, s2
.LBB197_114:
	s_or_b32 exec_lo, exec_lo, s5
	s_wait_dscnt 0x0
	v_dual_add_nc_u32 v6, 2, v6 :: v_dual_bitop2_b32 v5, 8, v7 bitop3:0x54
	ds_bpermute_b32 v1, v5, v20
	ds_bpermute_b32 v4, v5, v2
	;; [unrolled: 1-line block ×3, first 2 shown]
	v_cmp_gt_u32_e32 vcc_lo, s3, v6
	s_and_saveexec_b32 s3, vcc_lo
	s_cbranch_execz .LBB197_116
; %bb.115:
	s_wait_dscnt 0x0
	v_min_i64 v[6:7], v[4:5], v[2:3]
	v_and_b32_e32 v8, 1, v20
	s_delay_alu instid0(VALU_DEP_1) | instskip(SKIP_2) | instid1(VALU_DEP_2)
	v_cmp_eq_u32_e32 vcc_lo, 1, v8
	v_bitop3_b32 v8, v20, 1, v1 bitop3:0x80
	v_cndmask_b32_e32 v2, v4, v2, vcc_lo
	v_cmp_eq_u32_e64 s2, 0, v8
	v_cndmask_b32_e32 v3, v5, v3, vcc_lo
	v_cndmask_b32_e64 v1, v1, 1, vcc_lo
	s_delay_alu instid0(VALU_DEP_1) | instskip(NEXT) | instid1(VALU_DEP_3)
	v_dual_cndmask_b32 v20, 1, v1, s2 :: v_dual_cndmask_b32 v2, v6, v2, s2
	v_cndmask_b32_e64 v3, v7, v3, s2
.LBB197_116:
	s_or_b32 exec_lo, exec_lo, s3
.LBB197_117:
	s_delay_alu instid0(SALU_CYCLE_1)
	s_or_b32 exec_lo, exec_lo, s4
	v_cmp_eq_u32_e64 s2, 0, v0
	s_and_b32 vcc_lo, exec_lo, s25
	s_cbranch_vccnz .LBB197_17
.LBB197_118:
	s_branch .LBB197_211
.LBB197_119:
	s_clause 0x1
	global_load_u16 v1, v0, s[6:7] offset:768 scale_offset
	global_load_u16 v14, v0, s[8:9] offset:768 scale_offset
	v_mov_b32_e32 v11, 0
	s_delay_alu instid0(VALU_DEP_1) | instskip(SKIP_2) | instid1(VALU_DEP_1)
	v_add_nc_u64_e32 v[4:5], s[4:5], v[10:11]
	s_wait_loadcnt 0x0
	v_cmp_ne_u16_e64 s4, v1, v14
	v_cndmask_b32_e64 v1, 0, 1, s4
	s_or_b32 exec_lo, exec_lo, s21
	s_and_saveexec_b32 s5, s3
	s_cbranch_execz .LBB197_61
.LBB197_120:
	v_and_b32_e32 v10, 1, v20
	v_and_b32_e32 v11, 1, v13
                                        ; implicit-def: $vgpr20
	s_delay_alu instid0(VALU_DEP_2) | instskip(NEXT) | instid1(VALU_DEP_2)
	v_cmp_eq_u32_e64 s3, 1, v10
	v_cmp_eq_u32_e64 s4, 1, v11
	s_and_b32 s4, s3, s4
	s_delay_alu instid0(SALU_CYCLE_1) | instskip(NEXT) | instid1(SALU_CYCLE_1)
	s_xor_b32 s4, s4, -1
	s_and_saveexec_b32 s6, s4
	s_delay_alu instid0(SALU_CYCLE_1)
	s_xor_b32 s4, exec_lo, s6
; %bb.121:
	v_and_b32_e32 v10, 0xffff, v13
	v_dual_cndmask_b32 v3, v9, v3, s3 :: v_dual_cndmask_b32 v2, v8, v2, s3
                                        ; implicit-def: $vgpr8_vgpr9
	s_delay_alu instid0(VALU_DEP_2)
	v_cndmask_b32_e64 v20, v10, 1, s3
; %bb.122:
	s_and_not1_saveexec_b32 s3, s4
	s_cbranch_execz .LBB197_124
; %bb.123:
	s_delay_alu instid0(VALU_DEP_2)
	v_min_i64 v[2:3], v[8:9], v[2:3]
	v_mov_b32_e32 v20, 1
.LBB197_124:
	s_or_b32 exec_lo, exec_lo, s3
	s_delay_alu instid0(SALU_CYCLE_1)
	s_or_b32 exec_lo, exec_lo, s5
	s_and_saveexec_b32 s4, s2
	s_cbranch_execz .LBB197_62
.LBB197_125:
	v_and_b32_e32 v8, 1, v20
	v_and_b32_e32 v9, 1, v12
                                        ; implicit-def: $vgpr20
	s_delay_alu instid0(VALU_DEP_2) | instskip(NEXT) | instid1(VALU_DEP_2)
	v_cmp_eq_u32_e64 s2, 1, v8
	v_cmp_eq_u32_e64 s3, 1, v9
	s_and_b32 s3, s2, s3
	s_delay_alu instid0(SALU_CYCLE_1) | instskip(NEXT) | instid1(SALU_CYCLE_1)
	s_xor_b32 s3, s3, -1
	s_and_saveexec_b32 s5, s3
	s_delay_alu instid0(SALU_CYCLE_1)
	s_xor_b32 s3, exec_lo, s5
; %bb.126:
	v_and_b32_e32 v8, 0xffff, v12
	v_dual_cndmask_b32 v3, v7, v3, s2 :: v_dual_cndmask_b32 v2, v6, v2, s2
                                        ; implicit-def: $vgpr6_vgpr7
	s_delay_alu instid0(VALU_DEP_2)
	v_cndmask_b32_e64 v20, v8, 1, s2
; %bb.127:
	s_and_not1_saveexec_b32 s2, s3
	s_cbranch_execz .LBB197_129
; %bb.128:
	s_delay_alu instid0(VALU_DEP_2)
	v_min_i64 v[2:3], v[6:7], v[2:3]
	v_mov_b32_e32 v20, 1
.LBB197_129:
	s_or_b32 exec_lo, exec_lo, s2
	s_delay_alu instid0(SALU_CYCLE_1)
	s_or_b32 exec_lo, exec_lo, s4
	s_and_saveexec_b32 s3, vcc_lo
	s_cbranch_execz .LBB197_135
.LBB197_130:
	v_and_b32_e32 v6, 1, v20
	v_and_b32_e32 v7, 1, v1
                                        ; implicit-def: $vgpr20
	s_delay_alu instid0(VALU_DEP_2) | instskip(NEXT) | instid1(VALU_DEP_2)
	v_cmp_eq_u32_e32 vcc_lo, 1, v6
	v_cmp_eq_u32_e64 s2, 1, v7
	s_and_b32 s2, vcc_lo, s2
	s_delay_alu instid0(SALU_CYCLE_1) | instskip(NEXT) | instid1(SALU_CYCLE_1)
	s_xor_b32 s2, s2, -1
	s_and_saveexec_b32 s4, s2
	s_delay_alu instid0(SALU_CYCLE_1)
	s_xor_b32 s2, exec_lo, s4
; %bb.131:
	v_and_b32_e32 v1, 0xffff, v1
	v_dual_cndmask_b32 v3, v5, v3 :: v_dual_cndmask_b32 v2, v4, v2
                                        ; implicit-def: $vgpr4_vgpr5
	s_delay_alu instid0(VALU_DEP_2)
	v_cndmask_b32_e64 v20, v1, 1, vcc_lo
; %bb.132:
	s_and_not1_saveexec_b32 s2, s2
	s_cbranch_execz .LBB197_134
; %bb.133:
	s_delay_alu instid0(VALU_DEP_2)
	v_min_i64 v[2:3], v[4:5], v[2:3]
	v_mov_b32_e32 v20, 1
.LBB197_134:
	s_or_b32 exec_lo, exec_lo, s2
.LBB197_135:
	s_delay_alu instid0(SALU_CYCLE_1) | instskip(SKIP_4) | instid1(VALU_DEP_2)
	s_or_b32 exec_lo, exec_lo, s3
	v_mbcnt_lo_u32_b32 v1, -1, 0
	v_and_b32_e32 v6, 0x60, v0
	s_min_u32 s3, s20, 0x80
	s_mov_b32 s2, exec_lo
	v_cmp_ne_u32_e32 vcc_lo, 31, v1
	s_delay_alu instid0(VALU_DEP_2) | instskip(SKIP_2) | instid1(VALU_DEP_1)
	v_sub_nc_u32_e64 v6, s3, v6 clamp
	v_add_nc_u32_e32 v8, 1, v1
	v_add_co_ci_u32_e64 v4, null, 0, v1, vcc_lo
	v_lshlrev_b32_e32 v5, 2, v4
	ds_bpermute_b32 v7, v5, v20
	ds_bpermute_b32 v4, v5, v2
	;; [unrolled: 1-line block ×3, first 2 shown]
	v_cmpx_lt_u32_e64 v8, v6
	s_xor_b32 s4, exec_lo, s2
	s_cbranch_execz .LBB197_137
; %bb.136:
	s_wait_dscnt 0x0
	v_min_i64 v[8:9], v[4:5], v[2:3]
	v_and_b32_e32 v10, 1, v20
	s_delay_alu instid0(VALU_DEP_1) | instskip(SKIP_3) | instid1(VALU_DEP_3)
	v_cmp_eq_u32_e32 vcc_lo, 1, v10
	v_and_b32_e32 v10, v7, v20
	v_and_b32_e32 v7, 0xff, v7
	v_dual_cndmask_b32 v2, v4, v2 :: v_dual_cndmask_b32 v3, v5, v3
	v_cmp_eq_u32_e64 s2, 0, v10
	s_delay_alu instid0(VALU_DEP_3) | instskip(NEXT) | instid1(VALU_DEP_1)
	v_cndmask_b32_e64 v4, v7, 1, vcc_lo
	v_dual_cndmask_b32 v20, 1, v4, s2 :: v_dual_cndmask_b32 v3, v9, v3, s2
	s_delay_alu instid0(VALU_DEP_4)
	v_cndmask_b32_e64 v2, v8, v2, s2
.LBB197_137:
	s_or_b32 exec_lo, exec_lo, s4
	v_cmp_gt_u32_e32 vcc_lo, 30, v1
	v_add_nc_u32_e32 v8, 2, v1
	s_mov_b32 s4, exec_lo
	s_wait_dscnt 0x1
	v_cndmask_b32_e64 v4, 0, 2, vcc_lo
	s_wait_dscnt 0x0
	s_delay_alu instid0(VALU_DEP_1)
	v_add_lshl_u32 v5, v4, v1, 2
	ds_bpermute_b32 v7, v5, v20
	ds_bpermute_b32 v4, v5, v2
	ds_bpermute_b32 v5, v5, v3
	v_cmpx_lt_u32_e64 v8, v6
	s_cbranch_execz .LBB197_139
; %bb.138:
	s_wait_dscnt 0x0
	v_min_i64 v[8:9], v[4:5], v[2:3]
	v_and_b32_e32 v10, 1, v20
	s_delay_alu instid0(VALU_DEP_1) | instskip(SKIP_3) | instid1(VALU_DEP_3)
	v_cmp_eq_u32_e32 vcc_lo, 1, v10
	v_bitop3_b32 v10, v20, 1, v7 bitop3:0x80
	v_and_b32_e32 v7, 0xff, v7
	v_cndmask_b32_e32 v2, v4, v2, vcc_lo
	v_cmp_eq_u32_e64 s2, 0, v10
	v_cndmask_b32_e32 v3, v5, v3, vcc_lo
	s_delay_alu instid0(VALU_DEP_4) | instskip(NEXT) | instid1(VALU_DEP_1)
	v_cndmask_b32_e64 v4, v7, 1, vcc_lo
	v_dual_cndmask_b32 v20, 1, v4, s2 :: v_dual_cndmask_b32 v2, v8, v2, s2
	s_delay_alu instid0(VALU_DEP_3)
	v_cndmask_b32_e64 v3, v9, v3, s2
.LBB197_139:
	s_or_b32 exec_lo, exec_lo, s4
	v_cmp_gt_u32_e32 vcc_lo, 28, v1
	v_add_nc_u32_e32 v8, 4, v1
	s_mov_b32 s4, exec_lo
	s_wait_dscnt 0x1
	v_cndmask_b32_e64 v4, 0, 4, vcc_lo
	s_wait_dscnt 0x0
	s_delay_alu instid0(VALU_DEP_1)
	v_add_lshl_u32 v5, v4, v1, 2
	ds_bpermute_b32 v7, v5, v20
	ds_bpermute_b32 v4, v5, v2
	ds_bpermute_b32 v5, v5, v3
	v_cmpx_lt_u32_e64 v8, v6
	s_cbranch_execz .LBB197_141
; %bb.140:
	s_wait_dscnt 0x0
	v_min_i64 v[8:9], v[4:5], v[2:3]
	v_and_b32_e32 v10, 1, v20
	s_delay_alu instid0(VALU_DEP_1) | instskip(SKIP_3) | instid1(VALU_DEP_3)
	v_cmp_eq_u32_e32 vcc_lo, 1, v10
	v_bitop3_b32 v10, v20, 1, v7 bitop3:0x80
	v_and_b32_e32 v7, 0xff, v7
	v_cndmask_b32_e32 v2, v4, v2, vcc_lo
	v_cmp_eq_u32_e64 s2, 0, v10
	v_cndmask_b32_e32 v3, v5, v3, vcc_lo
	s_delay_alu instid0(VALU_DEP_4) | instskip(NEXT) | instid1(VALU_DEP_1)
	v_cndmask_b32_e64 v4, v7, 1, vcc_lo
	v_dual_cndmask_b32 v20, 1, v4, s2 :: v_dual_cndmask_b32 v2, v8, v2, s2
	s_delay_alu instid0(VALU_DEP_3)
	v_cndmask_b32_e64 v3, v9, v3, s2
.LBB197_141:
	;; [unrolled: 31-line block ×3, first 2 shown]
	s_or_b32 exec_lo, exec_lo, s4
	s_wait_dscnt 0x2
	v_dual_lshlrev_b32 v7, 2, v1 :: v_dual_add_nc_u32 v9, 16, v1
	s_wait_dscnt 0x0
	s_delay_alu instid0(VALU_DEP_1) | instskip(NEXT) | instid1(VALU_DEP_2)
	v_or_b32_e32 v5, 64, v7
	v_cmp_lt_u32_e32 vcc_lo, v9, v6
	v_mov_b32_e32 v6, v20
	ds_bpermute_b32 v8, v5, v20
	ds_bpermute_b32 v4, v5, v2
	;; [unrolled: 1-line block ×3, first 2 shown]
	s_and_saveexec_b32 s4, vcc_lo
	s_cbranch_execz .LBB197_145
; %bb.144:
	s_wait_dscnt 0x0
	v_min_i64 v[10:11], v[4:5], v[2:3]
	v_and_b32_e32 v6, 1, v20
	v_bitop3_b32 v9, v20, 1, v8 bitop3:0x80
	s_delay_alu instid0(VALU_DEP_2) | instskip(NEXT) | instid1(VALU_DEP_2)
	v_cmp_eq_u32_e32 vcc_lo, 1, v6
	v_cmp_eq_u32_e64 s2, 0, v9
	v_cndmask_b32_e64 v6, v8, 1, vcc_lo
	v_dual_cndmask_b32 v3, v5, v3 :: v_dual_cndmask_b32 v2, v4, v2
	s_delay_alu instid0(VALU_DEP_2) | instskip(NEXT) | instid1(VALU_DEP_1)
	v_cndmask_b32_e64 v6, 1, v6, s2
	v_and_b32_e32 v20, 0xff, v6
	s_delay_alu instid0(VALU_DEP_3)
	v_dual_cndmask_b32 v3, v11, v3, s2 :: v_dual_cndmask_b32 v2, v10, v2, s2
.LBB197_145:
	s_or_b32 exec_lo, exec_lo, s4
	s_delay_alu instid0(SALU_CYCLE_1)
	s_mov_b32 s2, exec_lo
	v_cmpx_eq_u32_e32 0, v1
	s_cbranch_execz .LBB197_147
; %bb.146:
	s_wait_dscnt 0x1
	v_lshrrev_b32_e32 v4, 1, v0
	s_delay_alu instid0(VALU_DEP_1)
	v_and_b32_e32 v4, 48, v4
	ds_store_b8 v4, v6 offset:256
	ds_store_b64 v4, v[2:3] offset:264
.LBB197_147:
	s_or_b32 exec_lo, exec_lo, s2
	s_delay_alu instid0(SALU_CYCLE_1)
	s_mov_b32 s4, exec_lo
	s_wait_dscnt 0x0
	s_barrier_signal -1
	s_barrier_wait -1
	v_cmpx_gt_u32_e32 4, v0
	s_cbranch_execz .LBB197_153
; %bb.148:
	v_dual_lshlrev_b32 v2, 4, v1 :: v_dual_bitop2_b32 v6, 3, v1 bitop3:0x40
	s_add_co_i32 s3, s3, 31
	s_mov_b32 s5, exec_lo
	s_lshr_b32 s3, s3, 5
	ds_load_u8 v8, v2 offset:256
	ds_load_b64 v[2:3], v2 offset:264
	v_cmp_ne_u32_e32 vcc_lo, 3, v6
	v_add_nc_u32_e32 v9, 1, v6
	v_add_co_ci_u32_e64 v1, null, 0, v1, vcc_lo
	s_delay_alu instid0(VALU_DEP_1)
	v_lshlrev_b32_e32 v5, 2, v1
	s_wait_dscnt 0x1
	v_and_b32_e32 v20, 0xff, v8
	s_wait_dscnt 0x0
	ds_bpermute_b32 v4, v5, v2
	ds_bpermute_b32 v1, v5, v20
	ds_bpermute_b32 v5, v5, v3
	v_cmpx_gt_u32_e64 s3, v9
	s_cbranch_execz .LBB197_150
; %bb.149:
	s_wait_dscnt 0x0
	v_min_i64 v[10:11], v[4:5], v[2:3]
	v_and_b32_e32 v8, 1, v8
	s_delay_alu instid0(VALU_DEP_1) | instskip(SKIP_3) | instid1(VALU_DEP_3)
	v_cmp_eq_u32_e32 vcc_lo, 1, v8
	v_bitop3_b32 v8, v20, 1, v1 bitop3:0x80
	v_and_b32_e32 v1, 0xff, v1
	v_cndmask_b32_e32 v2, v4, v2, vcc_lo
	v_cmp_eq_u32_e64 s2, 0, v8
	v_cndmask_b32_e32 v3, v5, v3, vcc_lo
	s_delay_alu instid0(VALU_DEP_4) | instskip(NEXT) | instid1(VALU_DEP_1)
	v_cndmask_b32_e64 v1, v1, 1, vcc_lo
	v_dual_cndmask_b32 v20, 1, v1, s2 :: v_dual_cndmask_b32 v2, v10, v2, s2
	s_delay_alu instid0(VALU_DEP_3)
	v_cndmask_b32_e64 v3, v11, v3, s2
.LBB197_150:
	s_or_b32 exec_lo, exec_lo, s5
	s_wait_dscnt 0x0
	v_dual_add_nc_u32 v6, 2, v6 :: v_dual_bitop2_b32 v5, 8, v7 bitop3:0x54
	ds_bpermute_b32 v1, v5, v20
	ds_bpermute_b32 v4, v5, v2
	;; [unrolled: 1-line block ×3, first 2 shown]
	v_cmp_gt_u32_e32 vcc_lo, s3, v6
	s_and_saveexec_b32 s3, vcc_lo
	s_cbranch_execz .LBB197_152
; %bb.151:
	s_wait_dscnt 0x0
	v_min_i64 v[6:7], v[4:5], v[2:3]
	v_and_b32_e32 v8, 1, v20
	s_delay_alu instid0(VALU_DEP_1) | instskip(SKIP_2) | instid1(VALU_DEP_2)
	v_cmp_eq_u32_e32 vcc_lo, 1, v8
	v_bitop3_b32 v8, v20, 1, v1 bitop3:0x80
	v_cndmask_b32_e32 v2, v4, v2, vcc_lo
	v_cmp_eq_u32_e64 s2, 0, v8
	v_cndmask_b32_e32 v3, v5, v3, vcc_lo
	v_cndmask_b32_e64 v1, v1, 1, vcc_lo
	s_delay_alu instid0(VALU_DEP_1) | instskip(NEXT) | instid1(VALU_DEP_3)
	v_dual_cndmask_b32 v20, 1, v1, s2 :: v_dual_cndmask_b32 v2, v6, v2, s2
	v_cndmask_b32_e64 v3, v7, v3, s2
.LBB197_152:
	s_or_b32 exec_lo, exec_lo, s3
.LBB197_153:
	s_delay_alu instid0(SALU_CYCLE_1)
	s_or_b32 exec_lo, exec_lo, s4
.LBB197_154:
	v_cmp_eq_u32_e64 s2, 0, v0
	s_branch .LBB197_211
.LBB197_155:
	s_cmp_gt_i32 s24, 1
	s_cbranch_scc0 .LBB197_167
; %bb.156:
	s_cmp_eq_u32 s24, 2
	s_cbranch_scc0 .LBB197_168
; %bb.157:
	s_bfe_u32 s2, ttmp6, 0x4000c
	s_and_b32 s3, ttmp6, 15
	s_add_co_i32 s2, s2, 1
	s_getreg_b32 s4, hwreg(HW_REG_IB_STS2, 6, 4)
	s_mul_i32 s2, ttmp9, s2
	s_mov_b32 s11, 0
	s_add_co_i32 s3, s3, s2
	s_cmp_eq_u32 s4, 0
	s_mov_b32 s21, s11
	s_cselect_b32 s10, ttmp9, s3
	s_lshr_b64 s[2:3], s[14:15], 8
	s_lshl_b32 s20, s10, 8
	s_delay_alu instid0(SALU_CYCLE_1)
	s_lshl_b64 s[6:7], s[20:21], 1
	s_cmp_lg_u64 s[2:3], s[10:11]
	s_add_nc_u64 s[4:5], s[16:17], s[6:7]
	s_add_nc_u64 s[8:9], s[18:19], s[6:7]
	s_add_nc_u64 s[6:7], s[12:13], s[20:21]
	s_cbranch_scc0 .LBB197_169
; %bb.158:
	s_clause 0x3
	global_load_u16 v6, v0, s[4:5] scale_offset
	global_load_u16 v7, v0, s[8:9] scale_offset
	global_load_u16 v8, v0, s[8:9] offset:256 scale_offset
	global_load_u16 v9, v0, s[4:5] offset:256 scale_offset
	s_wait_loadcnt 0x2
	v_cmp_ne_u16_e32 vcc_lo, v6, v7
	s_wait_dscnt 0x2
	v_mov_b32_e32 v1, 0
	s_wait_loadcnt 0x0
	v_cmp_ne_u16_e64 s2, v9, v8
	s_delay_alu instid0(VALU_DEP_2) | instskip(SKIP_1) | instid1(VALU_DEP_1)
	v_add_nc_u64_e32 v[2:3], s[6:7], v[0:1]
	s_wait_dscnt 0x0
	v_add_nc_u64_e32 v[4:5], 0x80, v[2:3]
	s_delay_alu instid0(VALU_DEP_1) | instskip(SKIP_3) | instid1(VALU_DEP_2)
	v_dual_cndmask_b32 v3, v5, v3 :: v_dual_cndmask_b32 v2, v4, v2
	s_or_b32 vcc_lo, vcc_lo, s2
	s_mov_b32 s2, exec_lo
	v_cndmask_b32_e64 v8, 0, 1, vcc_lo
	v_mov_b32_dpp v5, v3 quad_perm:[1,0,3,2] row_mask:0xf bank_mask:0xf
	s_delay_alu instid0(VALU_DEP_2) | instskip(NEXT) | instid1(VALU_DEP_1)
	v_mov_b32_dpp v9, v8 quad_perm:[1,0,3,2] row_mask:0xf bank_mask:0xf
	v_and_b32_e32 v9, 1, v9
	v_mov_b32_dpp v4, v2 quad_perm:[1,0,3,2] row_mask:0xf bank_mask:0xf
	s_delay_alu instid0(VALU_DEP_1) | instskip(NEXT) | instid1(VALU_DEP_1)
	v_min_i64 v[6:7], v[2:3], v[4:5]
	v_dual_cndmask_b32 v4, v4, v6 :: v_dual_cndmask_b32 v5, v5, v7
	s_delay_alu instid0(VALU_DEP_4) | instskip(NEXT) | instid1(VALU_DEP_2)
	v_cmp_eq_u32_e32 vcc_lo, 1, v9
	v_dual_cndmask_b32 v3, v3, v5 :: v_dual_cndmask_b32 v2, v2, v4
	v_cndmask_b32_e64 v8, v8, 1, vcc_lo
	s_delay_alu instid0(VALU_DEP_2) | instskip(NEXT) | instid1(VALU_DEP_3)
	v_mov_b32_dpp v5, v3 quad_perm:[2,3,0,1] row_mask:0xf bank_mask:0xf
	v_mov_b32_dpp v4, v2 quad_perm:[2,3,0,1] row_mask:0xf bank_mask:0xf
	s_delay_alu instid0(VALU_DEP_3) | instskip(NEXT) | instid1(VALU_DEP_2)
	v_mov_b32_dpp v10, v8 quad_perm:[2,3,0,1] row_mask:0xf bank_mask:0xf
	v_min_i64 v[6:7], v[2:3], v[4:5]
	v_and_b32_e32 v9, 1, v8
	s_delay_alu instid0(VALU_DEP_1) | instskip(NEXT) | instid1(VALU_DEP_3)
	v_cmp_eq_u32_e32 vcc_lo, 1, v9
	v_dual_cndmask_b32 v5, v5, v7, vcc_lo :: v_dual_bitop2_b32 v9, 1, v10 bitop3:0x40
	s_delay_alu instid0(VALU_DEP_4) | instskip(NEXT) | instid1(VALU_DEP_2)
	v_cndmask_b32_e32 v4, v4, v6, vcc_lo
	v_cmp_eq_u32_e32 vcc_lo, 1, v9
	s_delay_alu instid0(VALU_DEP_2) | instskip(SKIP_1) | instid1(VALU_DEP_2)
	v_dual_cndmask_b32 v3, v3, v5 :: v_dual_cndmask_b32 v2, v2, v4
	v_cndmask_b32_e64 v8, v8, 1, vcc_lo
	v_mov_b32_dpp v5, v3 row_ror:4 row_mask:0xf bank_mask:0xf
	s_delay_alu instid0(VALU_DEP_3) | instskip(NEXT) | instid1(VALU_DEP_3)
	v_mov_b32_dpp v4, v2 row_ror:4 row_mask:0xf bank_mask:0xf
	v_mov_b32_dpp v10, v8 row_ror:4 row_mask:0xf bank_mask:0xf
	s_delay_alu instid0(VALU_DEP_2) | instskip(SKIP_1) | instid1(VALU_DEP_1)
	v_min_i64 v[6:7], v[2:3], v[4:5]
	v_and_b32_e32 v9, 1, v8
	v_cmp_eq_u32_e32 vcc_lo, 1, v9
	s_delay_alu instid0(VALU_DEP_3) | instskip(NEXT) | instid1(VALU_DEP_4)
	v_dual_cndmask_b32 v5, v5, v7, vcc_lo :: v_dual_bitop2_b32 v9, 1, v10 bitop3:0x40
	v_cndmask_b32_e32 v4, v4, v6, vcc_lo
	s_delay_alu instid0(VALU_DEP_2) | instskip(NEXT) | instid1(VALU_DEP_2)
	v_cmp_eq_u32_e32 vcc_lo, 1, v9
	v_dual_cndmask_b32 v3, v3, v5 :: v_dual_cndmask_b32 v2, v2, v4
	v_cndmask_b32_e64 v8, v8, 1, vcc_lo
	s_delay_alu instid0(VALU_DEP_2) | instskip(NEXT) | instid1(VALU_DEP_3)
	v_mov_b32_dpp v5, v3 row_ror:8 row_mask:0xf bank_mask:0xf
	v_mov_b32_dpp v4, v2 row_ror:8 row_mask:0xf bank_mask:0xf
	s_delay_alu instid0(VALU_DEP_3) | instskip(NEXT) | instid1(VALU_DEP_2)
	v_mov_b32_dpp v10, v8 row_ror:8 row_mask:0xf bank_mask:0xf
	v_min_i64 v[6:7], v[2:3], v[4:5]
	v_and_b32_e32 v9, 1, v8
	s_delay_alu instid0(VALU_DEP_1) | instskip(NEXT) | instid1(VALU_DEP_3)
	v_cmp_eq_u32_e32 vcc_lo, 1, v9
	v_dual_cndmask_b32 v5, v5, v7, vcc_lo :: v_dual_bitop2_b32 v9, 1, v10 bitop3:0x40
	s_delay_alu instid0(VALU_DEP_4) | instskip(NEXT) | instid1(VALU_DEP_2)
	v_cndmask_b32_e32 v4, v4, v6, vcc_lo
	v_cmp_eq_u32_e32 vcc_lo, 1, v9
	s_delay_alu instid0(VALU_DEP_2)
	v_dual_cndmask_b32 v3, v3, v5 :: v_dual_cndmask_b32 v2, v2, v4
	v_cndmask_b32_e64 v8, v8, 1, vcc_lo
	ds_swizzle_b32 v5, v3 offset:swizzle(BROADCAST,32,15)
	ds_swizzle_b32 v4, v2 offset:swizzle(BROADCAST,32,15)
	;; [unrolled: 1-line block ×3, first 2 shown]
	s_wait_dscnt 0x1
	v_min_i64 v[6:7], v[2:3], v[4:5]
	v_and_b32_e32 v10, 1, v8
	s_delay_alu instid0(VALU_DEP_1) | instskip(SKIP_1) | instid1(VALU_DEP_3)
	v_cmp_eq_u32_e32 vcc_lo, 1, v10
	s_wait_dscnt 0x0
	v_dual_cndmask_b32 v5, v5, v7, vcc_lo :: v_dual_bitop2_b32 v9, 1, v9 bitop3:0x40
	s_delay_alu instid0(VALU_DEP_4) | instskip(NEXT) | instid1(VALU_DEP_2)
	v_cndmask_b32_e32 v4, v4, v6, vcc_lo
	v_cmp_eq_u32_e32 vcc_lo, 1, v9
	s_delay_alu instid0(VALU_DEP_2)
	v_dual_cndmask_b32 v3, v3, v5 :: v_dual_cndmask_b32 v2, v2, v4
	v_cndmask_b32_e64 v5, v8, 1, vcc_lo
	ds_bpermute_b32 v3, v1, v3 offset:124
	ds_bpermute_b32 v2, v1, v2 offset:124
	;; [unrolled: 1-line block ×3, first 2 shown]
	v_mbcnt_lo_u32_b32 v1, -1, 0
	s_delay_alu instid0(VALU_DEP_1)
	v_cmpx_eq_u32_e32 0, v1
	s_cbranch_execz .LBB197_160
; %bb.159:
	v_lshrrev_b32_e32 v4, 1, v0
	s_delay_alu instid0(VALU_DEP_1)
	v_and_b32_e32 v4, 48, v4
	s_wait_dscnt 0x0
	ds_store_b8 v4, v20 offset:64
	ds_store_b64 v4, v[2:3] offset:72
.LBB197_160:
	s_or_b32 exec_lo, exec_lo, s2
	s_delay_alu instid0(SALU_CYCLE_1)
	s_mov_b32 s2, exec_lo
	s_wait_dscnt 0x0
	s_barrier_signal -1
	s_barrier_wait -1
	v_cmpx_gt_u32_e32 32, v0
	s_cbranch_execz .LBB197_166
; %bb.161:
	v_and_b32_e32 v2, 3, v1
	s_delay_alu instid0(VALU_DEP_1) | instskip(SKIP_2) | instid1(VALU_DEP_1)
	v_cmp_ne_u32_e32 vcc_lo, 3, v2
	v_lshlrev_b32_e32 v3, 4, v2
	v_add_co_ci_u32_e64 v2, null, 0, v1, vcc_lo
	v_lshlrev_b32_e32 v2, 2, v2
	ds_load_u8 v8, v3 offset:64
	ds_load_b64 v[4:5], v3 offset:72
	s_wait_dscnt 0x1
	v_and_b32_e32 v3, 0xff, v8
	s_wait_dscnt 0x0
	ds_bpermute_b32 v6, v2, v4
	ds_bpermute_b32 v7, v2, v5
	;; [unrolled: 1-line block ×3, first 2 shown]
	s_wait_dscnt 0x0
	v_and_b32_e32 v2, v8, v9
	s_delay_alu instid0(VALU_DEP_1) | instskip(NEXT) | instid1(VALU_DEP_1)
	v_and_b32_e32 v2, 1, v2
	v_cmp_eq_u32_e32 vcc_lo, 1, v2
                                        ; implicit-def: $vgpr2_vgpr3
	s_and_saveexec_b32 s3, vcc_lo
	s_delay_alu instid0(SALU_CYCLE_1)
	s_xor_b32 s3, exec_lo, s3
; %bb.162:
	v_min_i64 v[2:3], v[6:7], v[4:5]
                                        ; implicit-def: $vgpr8
                                        ; implicit-def: $vgpr6_vgpr7
                                        ; implicit-def: $vgpr4_vgpr5
                                        ; implicit-def: $vgpr9
; %bb.163:
	s_or_saveexec_b32 s3, s3
	v_dual_mov_b32 v10, 1 :: v_dual_lshlrev_b32 v1, 2, v1
	s_xor_b32 exec_lo, exec_lo, s3
; %bb.164:
	v_and_b32_e32 v2, 1, v8
	v_and_b32_e32 v8, 0xff, v9
	s_delay_alu instid0(VALU_DEP_2) | instskip(SKIP_1) | instid1(VALU_DEP_3)
	v_cmp_eq_u32_e32 vcc_lo, 1, v2
	v_dual_cndmask_b32 v3, v7, v5 :: v_dual_cndmask_b32 v2, v6, v4
	v_cndmask_b32_e64 v10, v8, 1, vcc_lo
; %bb.165:
	s_or_b32 exec_lo, exec_lo, s3
	s_delay_alu instid0(VALU_DEP_1) | instskip(NEXT) | instid1(VALU_DEP_1)
	v_and_b32_e32 v8, 1, v10
	v_cmp_eq_u32_e32 vcc_lo, 1, v8
	v_or_b32_e32 v1, 8, v1
	ds_bpermute_b32 v4, v1, v2
	ds_bpermute_b32 v5, v1, v3
	s_wait_dscnt 0x0
	v_min_i64 v[6:7], v[4:5], v[2:3]
	v_cndmask_b32_e32 v2, v4, v2, vcc_lo
	ds_bpermute_b32 v1, v1, v10
	v_cndmask_b32_e32 v3, v5, v3, vcc_lo
	s_wait_dscnt 0x0
	v_bitop3_b32 v8, v10, 1, v1 bitop3:0x80
	v_cndmask_b32_e64 v1, v1, 1, vcc_lo
	s_delay_alu instid0(VALU_DEP_2) | instskip(NEXT) | instid1(VALU_DEP_2)
	v_cmp_eq_u32_e32 vcc_lo, 0, v8
	v_dual_cndmask_b32 v20, 1, v1 :: v_dual_cndmask_b32 v3, v7, v3
	v_cndmask_b32_e32 v2, v6, v2, vcc_lo
.LBB197_166:
	s_or_b32 exec_lo, exec_lo, s2
	s_branch .LBB197_193
.LBB197_167:
                                        ; implicit-def: $sgpr10_sgpr11
                                        ; implicit-def: $vgpr2_vgpr3
                                        ; implicit-def: $vgpr20
	s_cbranch_execnz .LBB197_194
	s_branch .LBB197_211
.LBB197_168:
                                        ; implicit-def: $sgpr10_sgpr11
                                        ; implicit-def: $vgpr2_vgpr3
                                        ; implicit-def: $vgpr20
	s_branch .LBB197_211
.LBB197_169:
                                        ; implicit-def: $vgpr2_vgpr3
                                        ; implicit-def: $vgpr20
	s_cbranch_execz .LBB197_193
; %bb.170:
	s_wait_dscnt 0x0
	v_mov_b64_e32 v[4:5], 0
	v_mov_b64_e32 v[2:3], 0
	v_dual_mov_b32 v7, 0 :: v_dual_mov_b32 v1, 0
	s_sub_co_i32 s20, s14, s20
	s_mov_b32 s2, exec_lo
	v_cmpx_gt_u32_e64 s20, v0
	s_cbranch_execz .LBB197_172
; %bb.171:
	s_clause 0x1
	global_load_u16 v6, v0, s[4:5] scale_offset
	global_load_u16 v8, v0, s[8:9] scale_offset
	v_mov_b32_e32 v1, 0
	s_delay_alu instid0(VALU_DEP_1)
	v_add_nc_u64_e32 v[2:3], s[6:7], v[0:1]
	s_wait_loadcnt 0x0
	v_cmp_ne_u16_e32 vcc_lo, v6, v8
	v_cndmask_b32_e64 v1, 0, 1, vcc_lo
.LBB197_172:
	s_or_b32 exec_lo, exec_lo, s2
	v_or_b32_e32 v6, 0x80, v0
	s_delay_alu instid0(VALU_DEP_1)
	v_cmp_gt_u32_e32 vcc_lo, s20, v6
	s_and_saveexec_b32 s3, vcc_lo
	s_cbranch_execz .LBB197_174
; %bb.173:
	s_clause 0x1
	global_load_u16 v8, v0, s[4:5] offset:256 scale_offset
	global_load_u16 v9, v0, s[8:9] offset:256 scale_offset
	v_mov_b32_e32 v7, 0
	s_delay_alu instid0(VALU_DEP_1) | instskip(SKIP_2) | instid1(VALU_DEP_1)
	v_add_nc_u64_e32 v[4:5], s[6:7], v[6:7]
	s_wait_loadcnt 0x0
	v_cmp_ne_u16_e64 s2, v8, v9
	v_cndmask_b32_e64 v7, 0, 1, s2
.LBB197_174:
	s_or_b32 exec_lo, exec_lo, s3
	s_delay_alu instid0(VALU_DEP_3) | instskip(NEXT) | instid1(VALU_DEP_2)
	v_min_i64 v[8:9], v[4:5], v[2:3]
	v_and_b32_e32 v6, 1, v7
	v_and_b32_e32 v10, 0xffff, v1
	;; [unrolled: 1-line block ×3, first 2 shown]
	s_mov_b32 s4, exec_lo
	s_delay_alu instid0(VALU_DEP_3) | instskip(SKIP_2) | instid1(VALU_DEP_1)
	v_cmp_eq_u32_e64 s2, 1, v6
	v_and_b32_e32 v6, 1, v1
	v_mbcnt_lo_u32_b32 v1, -1, 0
	v_cmp_ne_u32_e64 s3, 31, v1
	s_delay_alu instid0(VALU_DEP_4) | instskip(NEXT) | instid1(VALU_DEP_4)
	v_dual_cndmask_b32 v9, v3, v9, s2 :: v_dual_cndmask_b32 v8, v2, v8, s2
	v_cmp_eq_u32_e64 s2, 1, v6
	s_delay_alu instid0(VALU_DEP_1) | instskip(NEXT) | instid1(VALU_DEP_4)
	v_cndmask_b32_e64 v6, v7, 1, s2
	v_add_co_ci_u32_e64 v7, null, 0, v1, s3
	s_delay_alu instid0(VALU_DEP_4) | instskip(NEXT) | instid1(VALU_DEP_2)
	v_dual_cndmask_b32 v4, v4, v8, s2 :: v_dual_cndmask_b32 v5, v5, v9, s2
	v_dual_cndmask_b32 v20, v10, v6, vcc_lo :: v_dual_lshlrev_b32 v6, 2, v7
	s_min_u32 s3, s20, 0x80
	s_delay_alu instid0(VALU_DEP_2)
	v_dual_cndmask_b32 v2, v2, v4 :: v_dual_cndmask_b32 v3, v3, v5
	v_add_nc_u32_e32 v8, 1, v1
	ds_bpermute_b32 v7, v6, v20
	ds_bpermute_b32 v4, v6, v2
	;; [unrolled: 1-line block ×3, first 2 shown]
	v_and_b32_e32 v6, 0x60, v0
	s_delay_alu instid0(VALU_DEP_1) | instskip(NEXT) | instid1(VALU_DEP_1)
	v_sub_nc_u32_e64 v6, s3, v6 clamp
	v_cmpx_lt_u32_e64 v8, v6
	s_cbranch_execz .LBB197_176
; %bb.175:
	s_wait_dscnt 0x0
	v_min_i64 v[8:9], v[4:5], v[2:3]
	v_and_b32_e32 v10, 1, v20
	s_delay_alu instid0(VALU_DEP_1) | instskip(SKIP_3) | instid1(VALU_DEP_3)
	v_cmp_eq_u32_e32 vcc_lo, 1, v10
	v_and_b32_e32 v10, v20, v7
	v_and_b32_e32 v7, 0xff, v7
	v_cndmask_b32_e32 v2, v4, v2, vcc_lo
	v_cmp_eq_u32_e64 s2, 0, v10
	v_cndmask_b32_e32 v3, v5, v3, vcc_lo
	s_delay_alu instid0(VALU_DEP_4) | instskip(NEXT) | instid1(VALU_DEP_1)
	v_cndmask_b32_e64 v4, v7, 1, vcc_lo
	v_dual_cndmask_b32 v20, 1, v4, s2 :: v_dual_cndmask_b32 v2, v8, v2, s2
	s_delay_alu instid0(VALU_DEP_3)
	v_cndmask_b32_e64 v3, v9, v3, s2
.LBB197_176:
	s_or_b32 exec_lo, exec_lo, s4
	v_cmp_gt_u32_e32 vcc_lo, 30, v1
	v_add_nc_u32_e32 v8, 2, v1
	s_mov_b32 s4, exec_lo
	s_wait_dscnt 0x1
	v_cndmask_b32_e64 v4, 0, 2, vcc_lo
	s_wait_dscnt 0x0
	s_delay_alu instid0(VALU_DEP_1)
	v_add_lshl_u32 v5, v4, v1, 2
	ds_bpermute_b32 v7, v5, v20
	ds_bpermute_b32 v4, v5, v2
	ds_bpermute_b32 v5, v5, v3
	v_cmpx_lt_u32_e64 v8, v6
	s_cbranch_execz .LBB197_178
; %bb.177:
	s_wait_dscnt 0x0
	v_min_i64 v[8:9], v[4:5], v[2:3]
	v_and_b32_e32 v10, 1, v20
	s_delay_alu instid0(VALU_DEP_1) | instskip(SKIP_3) | instid1(VALU_DEP_3)
	v_cmp_eq_u32_e32 vcc_lo, 1, v10
	v_bitop3_b32 v10, v20, 1, v7 bitop3:0x80
	v_and_b32_e32 v7, 0xff, v7
	v_cndmask_b32_e32 v2, v4, v2, vcc_lo
	v_cmp_eq_u32_e64 s2, 0, v10
	v_cndmask_b32_e32 v3, v5, v3, vcc_lo
	s_delay_alu instid0(VALU_DEP_4) | instskip(NEXT) | instid1(VALU_DEP_1)
	v_cndmask_b32_e64 v4, v7, 1, vcc_lo
	v_dual_cndmask_b32 v20, 1, v4, s2 :: v_dual_cndmask_b32 v2, v8, v2, s2
	s_delay_alu instid0(VALU_DEP_3)
	v_cndmask_b32_e64 v3, v9, v3, s2
.LBB197_178:
	s_or_b32 exec_lo, exec_lo, s4
	v_cmp_gt_u32_e32 vcc_lo, 28, v1
	v_add_nc_u32_e32 v8, 4, v1
	s_mov_b32 s4, exec_lo
	s_wait_dscnt 0x1
	v_cndmask_b32_e64 v4, 0, 4, vcc_lo
	s_wait_dscnt 0x0
	s_delay_alu instid0(VALU_DEP_1)
	v_add_lshl_u32 v5, v4, v1, 2
	ds_bpermute_b32 v7, v5, v20
	ds_bpermute_b32 v4, v5, v2
	ds_bpermute_b32 v5, v5, v3
	v_cmpx_lt_u32_e64 v8, v6
	s_cbranch_execz .LBB197_180
; %bb.179:
	s_wait_dscnt 0x0
	v_min_i64 v[8:9], v[4:5], v[2:3]
	v_and_b32_e32 v10, 1, v20
	s_delay_alu instid0(VALU_DEP_1) | instskip(SKIP_3) | instid1(VALU_DEP_3)
	v_cmp_eq_u32_e32 vcc_lo, 1, v10
	v_bitop3_b32 v10, v20, 1, v7 bitop3:0x80
	v_and_b32_e32 v7, 0xff, v7
	v_cndmask_b32_e32 v2, v4, v2, vcc_lo
	v_cmp_eq_u32_e64 s2, 0, v10
	v_cndmask_b32_e32 v3, v5, v3, vcc_lo
	s_delay_alu instid0(VALU_DEP_4) | instskip(NEXT) | instid1(VALU_DEP_1)
	v_cndmask_b32_e64 v4, v7, 1, vcc_lo
	v_dual_cndmask_b32 v20, 1, v4, s2 :: v_dual_cndmask_b32 v2, v8, v2, s2
	s_delay_alu instid0(VALU_DEP_3)
	v_cndmask_b32_e64 v3, v9, v3, s2
.LBB197_180:
	;; [unrolled: 31-line block ×3, first 2 shown]
	s_or_b32 exec_lo, exec_lo, s4
	s_wait_dscnt 0x2
	v_dual_lshlrev_b32 v7, 2, v1 :: v_dual_add_nc_u32 v9, 16, v1
	s_wait_dscnt 0x0
	s_delay_alu instid0(VALU_DEP_1) | instskip(NEXT) | instid1(VALU_DEP_2)
	v_or_b32_e32 v5, 64, v7
	v_cmp_lt_u32_e32 vcc_lo, v9, v6
	v_mov_b32_e32 v6, v20
	ds_bpermute_b32 v8, v5, v20
	ds_bpermute_b32 v4, v5, v2
	;; [unrolled: 1-line block ×3, first 2 shown]
	s_and_saveexec_b32 s4, vcc_lo
	s_cbranch_execz .LBB197_184
; %bb.183:
	s_wait_dscnt 0x0
	v_min_i64 v[10:11], v[4:5], v[2:3]
	v_and_b32_e32 v6, 1, v20
	v_bitop3_b32 v9, v20, 1, v8 bitop3:0x80
	s_delay_alu instid0(VALU_DEP_2) | instskip(NEXT) | instid1(VALU_DEP_2)
	v_cmp_eq_u32_e32 vcc_lo, 1, v6
	v_cmp_eq_u32_e64 s2, 0, v9
	v_cndmask_b32_e64 v6, v8, 1, vcc_lo
	v_dual_cndmask_b32 v3, v5, v3 :: v_dual_cndmask_b32 v2, v4, v2
	s_delay_alu instid0(VALU_DEP_2) | instskip(NEXT) | instid1(VALU_DEP_1)
	v_cndmask_b32_e64 v6, 1, v6, s2
	v_and_b32_e32 v20, 0xff, v6
	s_delay_alu instid0(VALU_DEP_3)
	v_dual_cndmask_b32 v3, v11, v3, s2 :: v_dual_cndmask_b32 v2, v10, v2, s2
.LBB197_184:
	s_or_b32 exec_lo, exec_lo, s4
	s_delay_alu instid0(SALU_CYCLE_1)
	s_mov_b32 s2, exec_lo
	v_cmpx_eq_u32_e32 0, v1
	s_cbranch_execz .LBB197_186
; %bb.185:
	s_wait_dscnt 0x1
	v_lshrrev_b32_e32 v4, 1, v0
	s_delay_alu instid0(VALU_DEP_1)
	v_and_b32_e32 v4, 48, v4
	ds_store_b8 v4, v6 offset:256
	ds_store_b64 v4, v[2:3] offset:264
.LBB197_186:
	s_or_b32 exec_lo, exec_lo, s2
	s_delay_alu instid0(SALU_CYCLE_1)
	s_mov_b32 s4, exec_lo
	s_wait_dscnt 0x0
	s_barrier_signal -1
	s_barrier_wait -1
	v_cmpx_gt_u32_e32 4, v0
	s_cbranch_execz .LBB197_192
; %bb.187:
	v_dual_lshlrev_b32 v2, 4, v1 :: v_dual_bitop2_b32 v6, 3, v1 bitop3:0x40
	s_add_co_i32 s3, s3, 31
	s_mov_b32 s5, exec_lo
	s_lshr_b32 s3, s3, 5
	ds_load_u8 v8, v2 offset:256
	ds_load_b64 v[2:3], v2 offset:264
	v_cmp_ne_u32_e32 vcc_lo, 3, v6
	v_add_nc_u32_e32 v9, 1, v6
	v_add_co_ci_u32_e64 v1, null, 0, v1, vcc_lo
	s_delay_alu instid0(VALU_DEP_1)
	v_lshlrev_b32_e32 v5, 2, v1
	s_wait_dscnt 0x1
	v_and_b32_e32 v20, 0xff, v8
	s_wait_dscnt 0x0
	ds_bpermute_b32 v4, v5, v2
	ds_bpermute_b32 v1, v5, v20
	;; [unrolled: 1-line block ×3, first 2 shown]
	v_cmpx_gt_u32_e64 s3, v9
	s_cbranch_execz .LBB197_189
; %bb.188:
	s_wait_dscnt 0x0
	v_min_i64 v[10:11], v[4:5], v[2:3]
	v_and_b32_e32 v8, 1, v8
	s_delay_alu instid0(VALU_DEP_1) | instskip(SKIP_3) | instid1(VALU_DEP_3)
	v_cmp_eq_u32_e32 vcc_lo, 1, v8
	v_bitop3_b32 v8, v20, 1, v1 bitop3:0x80
	v_and_b32_e32 v1, 0xff, v1
	v_cndmask_b32_e32 v2, v4, v2, vcc_lo
	v_cmp_eq_u32_e64 s2, 0, v8
	v_cndmask_b32_e32 v3, v5, v3, vcc_lo
	s_delay_alu instid0(VALU_DEP_4) | instskip(NEXT) | instid1(VALU_DEP_1)
	v_cndmask_b32_e64 v1, v1, 1, vcc_lo
	v_dual_cndmask_b32 v20, 1, v1, s2 :: v_dual_cndmask_b32 v2, v10, v2, s2
	s_delay_alu instid0(VALU_DEP_3)
	v_cndmask_b32_e64 v3, v11, v3, s2
.LBB197_189:
	s_or_b32 exec_lo, exec_lo, s5
	s_wait_dscnt 0x0
	v_dual_add_nc_u32 v6, 2, v6 :: v_dual_bitop2_b32 v5, 8, v7 bitop3:0x54
	ds_bpermute_b32 v1, v5, v20
	ds_bpermute_b32 v4, v5, v2
	;; [unrolled: 1-line block ×3, first 2 shown]
	v_cmp_gt_u32_e32 vcc_lo, s3, v6
	s_and_saveexec_b32 s3, vcc_lo
	s_cbranch_execz .LBB197_191
; %bb.190:
	s_wait_dscnt 0x0
	v_min_i64 v[6:7], v[4:5], v[2:3]
	v_and_b32_e32 v8, 1, v20
	s_delay_alu instid0(VALU_DEP_1) | instskip(SKIP_2) | instid1(VALU_DEP_2)
	v_cmp_eq_u32_e32 vcc_lo, 1, v8
	v_bitop3_b32 v8, v20, 1, v1 bitop3:0x80
	v_cndmask_b32_e32 v2, v4, v2, vcc_lo
	v_cmp_eq_u32_e64 s2, 0, v8
	v_cndmask_b32_e32 v3, v5, v3, vcc_lo
	v_cndmask_b32_e64 v1, v1, 1, vcc_lo
	s_delay_alu instid0(VALU_DEP_1) | instskip(NEXT) | instid1(VALU_DEP_3)
	v_dual_cndmask_b32 v20, 1, v1, s2 :: v_dual_cndmask_b32 v2, v6, v2, s2
	v_cndmask_b32_e64 v3, v7, v3, s2
.LBB197_191:
	s_or_b32 exec_lo, exec_lo, s3
.LBB197_192:
	s_delay_alu instid0(SALU_CYCLE_1)
	s_or_b32 exec_lo, exec_lo, s4
.LBB197_193:
	v_cmp_eq_u32_e64 s2, 0, v0
	s_branch .LBB197_211
.LBB197_194:
	s_cmp_eq_u32 s24, 1
	s_cbranch_scc0 .LBB197_210
; %bb.195:
	s_bfe_u32 s2, ttmp6, 0x4000c
	s_and_b32 s3, ttmp6, 15
	s_add_co_i32 s2, s2, 1
	s_getreg_b32 s4, hwreg(HW_REG_IB_STS2, 6, 4)
	s_mul_i32 s2, ttmp9, s2
	s_mov_b32 s5, 0
	s_add_co_i32 s3, s3, s2
	s_cmp_eq_u32 s4, 0
	v_mbcnt_lo_u32_b32 v8, -1, 0
	s_cselect_b32 s10, ttmp9, s3
	s_mov_b32 s11, s5
	s_lshr_b64 s[2:3], s[14:15], 7
	s_lshl_b32 s4, s10, 7
	s_cmp_lg_u64 s[2:3], s[10:11]
	s_cbranch_scc0 .LBB197_214
; %bb.196:
	s_lshl_b64 s[2:3], s[4:5], 1
	s_delay_alu instid0(SALU_CYCLE_1)
	s_add_nc_u64 s[6:7], s[16:17], s[2:3]
	s_add_nc_u64 s[2:3], s[18:19], s[2:3]
	s_clause 0x1
	global_load_u16 v9, v0, s[6:7] scale_offset
	global_load_u16 v10, v0, s[2:3] scale_offset
	s_wait_xcnt 0x0
	s_add_nc_u64 s[2:3], s[12:13], s[4:5]
	s_wait_loadcnt 0x0
	v_cmp_ne_u16_e32 vcc_lo, v9, v10
	v_cndmask_b32_e64 v9, 0, 1, vcc_lo
	s_delay_alu instid0(VALU_DEP_1) | instskip(SKIP_1) | instid1(VALU_DEP_1)
	v_mov_b32_dpp v9, v9 quad_perm:[1,0,3,2] row_mask:0xf bank_mask:0xf
	s_wait_dscnt 0x2
	v_dual_mov_b32 v1, 0 :: v_dual_bitop2_b32 v9, 1, v9 bitop3:0x40
	s_delay_alu instid0(VALU_DEP_1) | instskip(NEXT) | instid1(VALU_DEP_2)
	v_add_nc_u64_e32 v[2:3], s[2:3], v[0:1]
	v_cmp_eq_u32_e64 s2, 1, v9
	s_wait_dscnt 0x1
	s_delay_alu instid0(VALU_DEP_2) | instskip(SKIP_1) | instid1(VALU_DEP_3)
	v_mov_b32_dpp v4, v2 quad_perm:[1,0,3,2] row_mask:0xf bank_mask:0xf
	s_wait_dscnt 0x0
	v_mov_b32_dpp v5, v3 quad_perm:[1,0,3,2] row_mask:0xf bank_mask:0xf
	s_delay_alu instid0(VALU_DEP_1) | instskip(NEXT) | instid1(VALU_DEP_1)
	v_min_i64 v[6:7], v[2:3], v[4:5]
	v_dual_cndmask_b32 v4, v4, v6 :: v_dual_cndmask_b32 v5, v5, v7
	s_or_b32 vcc_lo, s2, vcc_lo
	s_delay_alu instid0(SALU_CYCLE_1) | instskip(NEXT) | instid1(VALU_DEP_2)
	v_cndmask_b32_e64 v9, 0, 1, vcc_lo
	v_dual_cndmask_b32 v2, v2, v4, s2 :: v_dual_cndmask_b32 v3, v3, v5, s2
	s_delay_alu instid0(VALU_DEP_2) | instskip(NEXT) | instid1(VALU_DEP_2)
	v_mov_b32_dpp v9, v9 quad_perm:[2,3,0,1] row_mask:0xf bank_mask:0xf
	v_mov_b32_dpp v4, v2 quad_perm:[2,3,0,1] row_mask:0xf bank_mask:0xf
	s_delay_alu instid0(VALU_DEP_3) | instskip(NEXT) | instid1(VALU_DEP_1)
	v_mov_b32_dpp v5, v3 quad_perm:[2,3,0,1] row_mask:0xf bank_mask:0xf
	v_min_i64 v[6:7], v[2:3], v[4:5]
	s_delay_alu instid0(VALU_DEP_1) | instskip(NEXT) | instid1(VALU_DEP_1)
	v_dual_cndmask_b32 v4, v4, v6, vcc_lo :: v_dual_bitop2_b32 v9, 1, v9 bitop3:0x40
	v_cmp_eq_u32_e64 s2, 1, v9
	s_delay_alu instid0(VALU_DEP_1) | instskip(SKIP_1) | instid1(SALU_CYCLE_1)
	v_dual_cndmask_b32 v5, v5, v7, vcc_lo :: v_dual_cndmask_b32 v2, v2, v4, s2
	s_or_b32 vcc_lo, s2, vcc_lo
	v_cndmask_b32_e64 v9, 0, 1, vcc_lo
	s_delay_alu instid0(VALU_DEP_2) | instskip(NEXT) | instid1(VALU_DEP_3)
	v_mov_b32_dpp v4, v2 row_ror:4 row_mask:0xf bank_mask:0xf
	v_cndmask_b32_e64 v3, v3, v5, s2
	s_delay_alu instid0(VALU_DEP_3) | instskip(NEXT) | instid1(VALU_DEP_2)
	v_mov_b32_dpp v9, v9 row_ror:4 row_mask:0xf bank_mask:0xf
	v_mov_b32_dpp v5, v3 row_ror:4 row_mask:0xf bank_mask:0xf
	s_delay_alu instid0(VALU_DEP_1) | instskip(NEXT) | instid1(VALU_DEP_1)
	v_min_i64 v[6:7], v[2:3], v[4:5]
	v_dual_cndmask_b32 v5, v5, v7, vcc_lo :: v_dual_bitop2_b32 v9, 1, v9 bitop3:0x40
	s_delay_alu instid0(VALU_DEP_2) | instskip(NEXT) | instid1(VALU_DEP_2)
	v_cndmask_b32_e32 v4, v4, v6, vcc_lo
	v_cmp_eq_u32_e64 s2, 1, v9
	s_delay_alu instid0(VALU_DEP_1) | instskip(SKIP_1) | instid1(SALU_CYCLE_1)
	v_dual_cndmask_b32 v3, v3, v5, s2 :: v_dual_cndmask_b32 v2, v2, v4, s2
	s_or_b32 vcc_lo, s2, vcc_lo
	v_cndmask_b32_e64 v9, 0, 1, vcc_lo
	s_delay_alu instid0(VALU_DEP_2) | instskip(NEXT) | instid1(VALU_DEP_3)
	v_mov_b32_dpp v5, v3 row_ror:8 row_mask:0xf bank_mask:0xf
	v_mov_b32_dpp v4, v2 row_ror:8 row_mask:0xf bank_mask:0xf
	s_delay_alu instid0(VALU_DEP_3) | instskip(NEXT) | instid1(VALU_DEP_2)
	v_mov_b32_dpp v9, v9 row_ror:8 row_mask:0xf bank_mask:0xf
	v_min_i64 v[6:7], v[2:3], v[4:5]
	s_delay_alu instid0(VALU_DEP_1) | instskip(NEXT) | instid1(VALU_DEP_1)
	v_dual_cndmask_b32 v4, v4, v6, vcc_lo :: v_dual_bitop2_b32 v9, 1, v9 bitop3:0x40
	v_cmp_eq_u32_e64 s2, 1, v9
	s_delay_alu instid0(VALU_DEP_1) | instskip(SKIP_1) | instid1(VALU_DEP_1)
	v_dual_cndmask_b32 v5, v5, v7, vcc_lo :: v_dual_cndmask_b32 v2, v2, v4, s2
	s_or_b32 vcc_lo, s2, vcc_lo
	v_cndmask_b32_e64 v3, v3, v5, s2
	v_cndmask_b32_e64 v9, 0, 1, vcc_lo
	ds_swizzle_b32 v4, v2 offset:swizzle(BROADCAST,32,15)
	ds_swizzle_b32 v5, v3 offset:swizzle(BROADCAST,32,15)
	;; [unrolled: 1-line block ×3, first 2 shown]
	s_wait_dscnt 0x1
	v_min_i64 v[6:7], v[2:3], v[4:5]
	s_wait_dscnt 0x0
	s_delay_alu instid0(VALU_DEP_1) | instskip(NEXT) | instid1(VALU_DEP_1)
	v_dual_cndmask_b32 v4, v4, v6, vcc_lo :: v_dual_bitop2_b32 v9, 1, v9 bitop3:0x40
	v_cmp_eq_u32_e64 s2, 1, v9
	s_delay_alu instid0(VALU_DEP_3) | instskip(SKIP_1) | instid1(VALU_DEP_1)
	v_cndmask_b32_e32 v5, v5, v7, vcc_lo
	s_or_b32 s3, s2, vcc_lo
	v_dual_cndmask_b32 v3, v3, v5, s2 :: v_dual_cndmask_b32 v2, v2, v4, s2
	v_cndmask_b32_e64 v5, 0, 1, s3
	s_mov_b32 s2, exec_lo
	ds_bpermute_b32 v3, v1, v3 offset:124
	ds_bpermute_b32 v2, v1, v2 offset:124
	;; [unrolled: 1-line block ×3, first 2 shown]
	v_cmpx_eq_u32_e32 0, v8
	s_cbranch_execz .LBB197_198
; %bb.197:
	v_lshrrev_b32_e32 v1, 1, v0
	s_delay_alu instid0(VALU_DEP_1)
	v_and_b32_e32 v1, 48, v1
	s_wait_dscnt 0x0
	ds_store_b8 v1, v20
	ds_store_b64 v1, v[2:3] offset:8
.LBB197_198:
	s_or_b32 exec_lo, exec_lo, s2
	s_delay_alu instid0(SALU_CYCLE_1)
	s_mov_b32 s2, exec_lo
	s_wait_dscnt 0x0
	s_barrier_signal -1
	s_barrier_wait -1
	v_cmpx_gt_u32_e32 32, v0
	s_cbranch_execz .LBB197_208
; %bb.199:
	v_and_b32_e32 v1, 3, v8
	s_mov_b32 s3, exec_lo
	s_delay_alu instid0(VALU_DEP_1) | instskip(SKIP_2) | instid1(VALU_DEP_1)
	v_cmp_ne_u32_e32 vcc_lo, 3, v1
	v_lshlrev_b32_e32 v2, 4, v1
	v_add_co_ci_u32_e64 v1, null, 0, v8, vcc_lo
	v_lshlrev_b32_e32 v1, 2, v1
	ds_load_u8 v9, v2
	ds_load_b64 v[2:3], v2 offset:8
	s_wait_dscnt 0x1
	v_and_b32_e32 v4, 0xff, v9
	s_wait_dscnt 0x0
	ds_bpermute_b32 v6, v1, v2
	ds_bpermute_b32 v7, v1, v3
	;; [unrolled: 1-line block ×3, first 2 shown]
                                        ; implicit-def: $vgpr4_vgpr5
	s_wait_dscnt 0x0
	v_and_b32_e32 v1, v9, v10
	s_delay_alu instid0(VALU_DEP_1) | instskip(NEXT) | instid1(VALU_DEP_1)
	v_and_b32_e32 v1, 1, v1
	v_cmpx_eq_u32_e32 1, v1
	s_xor_b32 s3, exec_lo, s3
; %bb.200:
	v_min_i64 v[4:5], v[6:7], v[2:3]
                                        ; implicit-def: $vgpr9
                                        ; implicit-def: $vgpr6_vgpr7
                                        ; implicit-def: $vgpr2_vgpr3
                                        ; implicit-def: $vgpr10
; %bb.201:
	s_or_saveexec_b32 s3, s3
	v_dual_lshlrev_b32 v11, 2, v8 :: v_dual_mov_b32 v1, 1
	s_xor_b32 exec_lo, exec_lo, s3
; %bb.202:
	v_and_b32_e32 v1, 1, v9
	s_delay_alu instid0(VALU_DEP_1) | instskip(SKIP_2) | instid1(VALU_DEP_2)
	v_cmp_eq_u32_e32 vcc_lo, 1, v1
	v_and_b32_e32 v1, 0xff, v10
	v_dual_cndmask_b32 v5, v7, v3 :: v_dual_cndmask_b32 v4, v6, v2
	v_cndmask_b32_e64 v1, v1, 1, vcc_lo
; %bb.203:
	s_or_b32 exec_lo, exec_lo, s3
	v_or_b32_e32 v2, 8, v11
	ds_bpermute_b32 v9, v2, v1
	ds_bpermute_b32 v6, v2, v4
	;; [unrolled: 1-line block ×3, first 2 shown]
	s_wait_dscnt 0x2
	v_and_b32_e32 v2, v1, v9
	s_delay_alu instid0(VALU_DEP_1) | instskip(NEXT) | instid1(VALU_DEP_1)
	v_and_b32_e32 v2, 1, v2
	v_cmp_eq_u32_e32 vcc_lo, 1, v2
                                        ; implicit-def: $vgpr2_vgpr3
	s_and_saveexec_b32 s3, vcc_lo
	s_delay_alu instid0(SALU_CYCLE_1)
	s_xor_b32 s3, exec_lo, s3
	s_cbranch_execz .LBB197_205
; %bb.204:
	s_wait_dscnt 0x0
	v_min_i64 v[2:3], v[6:7], v[4:5]
                                        ; implicit-def: $vgpr1
                                        ; implicit-def: $vgpr6_vgpr7
                                        ; implicit-def: $vgpr4_vgpr5
                                        ; implicit-def: $vgpr9
.LBB197_205:
	s_or_saveexec_b32 s3, s3
	v_mov_b32_e32 v20, 1
	s_xor_b32 exec_lo, exec_lo, s3
	s_cbranch_execz .LBB197_207
; %bb.206:
	v_and_b32_e32 v1, 1, v1
	s_delay_alu instid0(VALU_DEP_1)
	v_cmp_eq_u32_e32 vcc_lo, 1, v1
	s_wait_dscnt 0x0
	v_dual_cndmask_b32 v3, v7, v5 :: v_dual_cndmask_b32 v2, v6, v4
	v_cndmask_b32_e64 v20, v9, 1, vcc_lo
.LBB197_207:
	s_or_b32 exec_lo, exec_lo, s3
.LBB197_208:
	s_delay_alu instid0(SALU_CYCLE_1)
	s_or_b32 exec_lo, exec_lo, s2
.LBB197_209:
	v_cmp_eq_u32_e64 s2, 0, v0
	s_and_saveexec_b32 s3, s2
	s_cbranch_execnz .LBB197_212
	s_branch .LBB197_213
.LBB197_210:
                                        ; implicit-def: $sgpr10_sgpr11
                                        ; implicit-def: $vgpr2_vgpr3
                                        ; implicit-def: $vgpr20
.LBB197_211:
	s_delay_alu instid0(VALU_DEP_1)
	s_and_saveexec_b32 s3, s2
	s_cbranch_execz .LBB197_213
.LBB197_212:
	s_clause 0x1
	s_load_b64 s[2:3], s[0:1], 0x48
	s_load_b96 s[4:6], s[0:1], 0x38
	s_cmp_eq_u64 s[14:15], 0
	s_wait_xcnt 0x0
	s_cselect_b32 s0, -1, 0
	s_wait_dscnt 0x2
	s_wait_kmcnt 0x0
	v_min_i64 v[0:1], v[2:3], s[2:3]
	s_wait_dscnt 0x1
	v_and_b32_e32 v4, 1, v20
	s_bitcmp1_b32 s6, 0
	s_delay_alu instid0(VALU_DEP_1) | instskip(NEXT) | instid1(VALU_DEP_3)
	v_cmp_eq_u32_e32 vcc_lo, 1, v4
	v_cndmask_b32_e32 v1, s3, v1, vcc_lo
	s_delay_alu instid0(VALU_DEP_4) | instskip(SKIP_1) | instid1(SALU_CYCLE_1)
	v_cndmask_b32_e32 v0, s2, v0, vcc_lo
	s_cselect_b32 vcc_lo, -1, 0
	v_cndmask_b32_e64 v4, v20, 1, vcc_lo
	s_delay_alu instid0(VALU_DEP_2) | instskip(SKIP_1) | instid1(VALU_DEP_3)
	v_dual_cndmask_b32 v1, v3, v1 :: v_dual_cndmask_b32 v0, v2, v0
	v_mov_b32_e32 v2, 0
	v_cndmask_b32_e64 v3, v4, s6, s0
	s_delay_alu instid0(VALU_DEP_3) | instskip(NEXT) | instid1(VALU_DEP_4)
	v_cndmask_b32_e64 v1, v1, s3, s0
	v_cndmask_b32_e64 v0, v0, s2, s0
	s_lshl_b64 s[0:1], s[10:11], 4
	s_delay_alu instid0(SALU_CYCLE_1)
	s_add_nc_u64 s[0:1], s[4:5], s[0:1]
	s_clause 0x1
	global_store_b8 v2, v3, s[0:1]
	global_store_b64 v2, v[0:1], s[0:1] offset:8
.LBB197_213:
	s_endpgm
.LBB197_214:
                                        ; implicit-def: $vgpr2_vgpr3
                                        ; implicit-def: $vgpr20
	s_cbranch_execz .LBB197_209
; %bb.215:
	v_mov_b64_e32 v[2:3], 0
	s_wait_dscnt 0x1
	v_mov_b32_e32 v6, 0
	s_sub_co_i32 s2, s14, s4
	s_mov_b32 s3, exec_lo
	v_cmpx_gt_u32_e64 s2, v0
	s_cbranch_execz .LBB197_217
; %bb.216:
	s_lshl_b64 s[6:7], s[4:5], 1
	v_mov_b32_e32 v1, 0
	s_add_nc_u64 s[8:9], s[16:17], s[6:7]
	s_add_nc_u64 s[6:7], s[18:19], s[6:7]
	global_load_u16 v4, v0, s[8:9] scale_offset
	s_wait_dscnt 0x0
	global_load_u16 v5, v0, s[6:7] scale_offset
	s_add_nc_u64 s[4:5], s[12:13], s[4:5]
	s_delay_alu instid0(SALU_CYCLE_1)
	v_add_nc_u64_e32 v[2:3], s[4:5], v[0:1]
	s_wait_loadcnt 0x0
	v_cmp_ne_u16_e32 vcc_lo, v4, v5
	v_cndmask_b32_e64 v6, 0, 1, vcc_lo
.LBB197_217:
	s_or_b32 exec_lo, exec_lo, s3
	v_cmp_ne_u32_e32 vcc_lo, 31, v8
	s_delay_alu instid0(VALU_DEP_2) | instskip(SKIP_4) | instid1(VALU_DEP_1)
	v_and_b32_e32 v20, 0xffff, v6
	s_min_u32 s3, s2, 0x80
	s_mov_b32 s4, exec_lo
	v_add_nc_u32_e32 v9, 1, v8
	v_add_co_ci_u32_e64 v1, null, 0, v8, vcc_lo
	v_lshlrev_b32_e32 v1, 2, v1
	s_wait_dscnt 0x0
	ds_bpermute_b32 v7, v1, v20
	ds_bpermute_b32 v4, v1, v2
	;; [unrolled: 1-line block ×3, first 2 shown]
	v_and_b32_e32 v1, 0x60, v0
	s_delay_alu instid0(VALU_DEP_1) | instskip(NEXT) | instid1(VALU_DEP_1)
	v_sub_nc_u32_e64 v1, s3, v1 clamp
	v_cmpx_lt_u32_e64 v9, v1
	s_cbranch_execz .LBB197_219
; %bb.218:
	s_wait_dscnt 0x0
	v_min_i64 v[10:11], v[4:5], v[2:3]
	v_and_b32_e32 v6, 1, v6
	s_delay_alu instid0(VALU_DEP_1) | instskip(SKIP_3) | instid1(VALU_DEP_3)
	v_cmp_eq_u32_e32 vcc_lo, 1, v6
	v_and_b32_e32 v6, v7, v20
	v_and_b32_e32 v7, 0xff, v7
	v_dual_cndmask_b32 v2, v4, v2 :: v_dual_cndmask_b32 v3, v5, v3
	v_cmp_eq_u32_e64 s2, 0, v6
	s_delay_alu instid0(VALU_DEP_3) | instskip(NEXT) | instid1(VALU_DEP_1)
	v_cndmask_b32_e64 v4, v7, 1, vcc_lo
	v_dual_cndmask_b32 v20, 1, v4, s2 :: v_dual_cndmask_b32 v3, v11, v3, s2
	s_delay_alu instid0(VALU_DEP_4)
	v_cndmask_b32_e64 v2, v10, v2, s2
.LBB197_219:
	s_or_b32 exec_lo, exec_lo, s4
	v_cmp_gt_u32_e32 vcc_lo, 30, v8
	s_wait_dscnt 0x2
	v_add_nc_u32_e32 v7, 2, v8
	s_mov_b32 s4, exec_lo
	s_wait_dscnt 0x1
	v_cndmask_b32_e64 v4, 0, 2, vcc_lo
	s_wait_dscnt 0x0
	s_delay_alu instid0(VALU_DEP_1)
	v_add_lshl_u32 v5, v4, v8, 2
	ds_bpermute_b32 v6, v5, v20
	ds_bpermute_b32 v4, v5, v2
	;; [unrolled: 1-line block ×3, first 2 shown]
	v_cmpx_lt_u32_e64 v7, v1
	s_cbranch_execz .LBB197_221
; %bb.220:
	s_wait_dscnt 0x0
	v_min_i64 v[10:11], v[4:5], v[2:3]
	v_and_b32_e32 v7, 1, v20
	s_delay_alu instid0(VALU_DEP_1) | instskip(SKIP_3) | instid1(VALU_DEP_3)
	v_cmp_eq_u32_e32 vcc_lo, 1, v7
	v_bitop3_b32 v7, v20, 1, v6 bitop3:0x80
	v_and_b32_e32 v6, 0xff, v6
	v_cndmask_b32_e32 v2, v4, v2, vcc_lo
	v_cmp_eq_u32_e64 s2, 0, v7
	v_cndmask_b32_e32 v3, v5, v3, vcc_lo
	s_delay_alu instid0(VALU_DEP_4) | instskip(NEXT) | instid1(VALU_DEP_1)
	v_cndmask_b32_e64 v4, v6, 1, vcc_lo
	v_dual_cndmask_b32 v20, 1, v4, s2 :: v_dual_cndmask_b32 v2, v10, v2, s2
	s_delay_alu instid0(VALU_DEP_3)
	v_cndmask_b32_e64 v3, v11, v3, s2
.LBB197_221:
	s_or_b32 exec_lo, exec_lo, s4
	v_cmp_gt_u32_e32 vcc_lo, 28, v8
	v_add_nc_u32_e32 v7, 4, v8
	s_mov_b32 s4, exec_lo
	s_wait_dscnt 0x1
	v_cndmask_b32_e64 v4, 0, 4, vcc_lo
	s_wait_dscnt 0x0
	s_delay_alu instid0(VALU_DEP_1)
	v_add_lshl_u32 v5, v4, v8, 2
	ds_bpermute_b32 v6, v5, v20
	ds_bpermute_b32 v4, v5, v2
	;; [unrolled: 1-line block ×3, first 2 shown]
	v_cmpx_lt_u32_e64 v7, v1
	s_cbranch_execz .LBB197_223
; %bb.222:
	s_wait_dscnt 0x0
	v_min_i64 v[10:11], v[4:5], v[2:3]
	v_and_b32_e32 v7, 1, v20
	s_delay_alu instid0(VALU_DEP_1) | instskip(SKIP_3) | instid1(VALU_DEP_3)
	v_cmp_eq_u32_e32 vcc_lo, 1, v7
	v_bitop3_b32 v7, v20, 1, v6 bitop3:0x80
	v_and_b32_e32 v6, 0xff, v6
	v_cndmask_b32_e32 v2, v4, v2, vcc_lo
	v_cmp_eq_u32_e64 s2, 0, v7
	v_cndmask_b32_e32 v3, v5, v3, vcc_lo
	s_delay_alu instid0(VALU_DEP_4) | instskip(NEXT) | instid1(VALU_DEP_1)
	v_cndmask_b32_e64 v4, v6, 1, vcc_lo
	v_dual_cndmask_b32 v20, 1, v4, s2 :: v_dual_cndmask_b32 v2, v10, v2, s2
	s_delay_alu instid0(VALU_DEP_3)
	v_cndmask_b32_e64 v3, v11, v3, s2
.LBB197_223:
	s_or_b32 exec_lo, exec_lo, s4
	v_cmp_gt_u32_e32 vcc_lo, 24, v8
	v_add_nc_u32_e32 v7, 8, v8
	s_mov_b32 s4, exec_lo
	s_wait_dscnt 0x1
	v_cndmask_b32_e64 v4, 0, 8, vcc_lo
	s_wait_dscnt 0x0
	s_delay_alu instid0(VALU_DEP_1)
	v_add_lshl_u32 v5, v4, v8, 2
	ds_bpermute_b32 v6, v5, v20
	ds_bpermute_b32 v4, v5, v2
	;; [unrolled: 1-line block ×3, first 2 shown]
	v_cmpx_lt_u32_e64 v7, v1
	s_cbranch_execz .LBB197_225
; %bb.224:
	s_wait_dscnt 0x0
	v_min_i64 v[10:11], v[4:5], v[2:3]
	v_and_b32_e32 v7, 1, v20
	s_delay_alu instid0(VALU_DEP_1) | instskip(SKIP_3) | instid1(VALU_DEP_3)
	v_cmp_eq_u32_e32 vcc_lo, 1, v7
	v_bitop3_b32 v7, v20, 1, v6 bitop3:0x80
	v_and_b32_e32 v6, 0xff, v6
	v_cndmask_b32_e32 v2, v4, v2, vcc_lo
	v_cmp_eq_u32_e64 s2, 0, v7
	v_cndmask_b32_e32 v3, v5, v3, vcc_lo
	s_delay_alu instid0(VALU_DEP_4) | instskip(NEXT) | instid1(VALU_DEP_1)
	v_cndmask_b32_e64 v4, v6, 1, vcc_lo
	v_dual_cndmask_b32 v20, 1, v4, s2 :: v_dual_cndmask_b32 v2, v10, v2, s2
	s_delay_alu instid0(VALU_DEP_3)
	v_cndmask_b32_e64 v3, v11, v3, s2
.LBB197_225:
	s_or_b32 exec_lo, exec_lo, s4
	s_wait_dscnt 0x2
	v_dual_lshlrev_b32 v6, 2, v8 :: v_dual_add_nc_u32 v9, 16, v8
	s_wait_dscnt 0x0
	s_delay_alu instid0(VALU_DEP_1) | instskip(NEXT) | instid1(VALU_DEP_2)
	v_or_b32_e32 v5, 64, v6
	v_cmp_lt_u32_e32 vcc_lo, v9, v1
	v_mov_b32_e32 v1, v20
	ds_bpermute_b32 v7, v5, v20
	ds_bpermute_b32 v4, v5, v2
	;; [unrolled: 1-line block ×3, first 2 shown]
	s_and_saveexec_b32 s4, vcc_lo
	s_cbranch_execz .LBB197_227
; %bb.226:
	s_wait_dscnt 0x0
	v_min_i64 v[10:11], v[4:5], v[2:3]
	v_and_b32_e32 v1, 1, v20
	v_bitop3_b32 v9, v20, 1, v7 bitop3:0x80
	s_delay_alu instid0(VALU_DEP_2) | instskip(NEXT) | instid1(VALU_DEP_2)
	v_cmp_eq_u32_e32 vcc_lo, 1, v1
	v_cmp_eq_u32_e64 s2, 0, v9
	v_cndmask_b32_e64 v1, v7, 1, vcc_lo
	v_dual_cndmask_b32 v3, v5, v3 :: v_dual_cndmask_b32 v2, v4, v2
	s_delay_alu instid0(VALU_DEP_2) | instskip(NEXT) | instid1(VALU_DEP_1)
	v_cndmask_b32_e64 v1, 1, v1, s2
	v_and_b32_e32 v20, 0xff, v1
	s_delay_alu instid0(VALU_DEP_3)
	v_dual_cndmask_b32 v3, v11, v3, s2 :: v_dual_cndmask_b32 v2, v10, v2, s2
.LBB197_227:
	s_or_b32 exec_lo, exec_lo, s4
	s_delay_alu instid0(SALU_CYCLE_1)
	s_mov_b32 s2, exec_lo
	v_cmpx_eq_u32_e32 0, v8
	s_cbranch_execz .LBB197_229
; %bb.228:
	s_wait_dscnt 0x1
	v_lshrrev_b32_e32 v4, 1, v0
	s_delay_alu instid0(VALU_DEP_1)
	v_and_b32_e32 v4, 48, v4
	ds_store_b8 v4, v1 offset:256
	ds_store_b64 v4, v[2:3] offset:264
.LBB197_229:
	s_or_b32 exec_lo, exec_lo, s2
	s_delay_alu instid0(SALU_CYCLE_1)
	s_mov_b32 s4, exec_lo
	s_wait_dscnt 0x0
	s_barrier_signal -1
	s_barrier_wait -1
	v_cmpx_gt_u32_e32 4, v0
	s_cbranch_execz .LBB197_235
; %bb.230:
	v_lshlrev_b32_e32 v1, 4, v8
	s_add_co_i32 s3, s3, 31
	s_mov_b32 s5, exec_lo
	s_lshr_b32 s3, s3, 5
	ds_load_u8 v7, v1 offset:256
	ds_load_b64 v[2:3], v1 offset:264
	v_and_b32_e32 v1, 3, v8
	s_delay_alu instid0(VALU_DEP_1) | instskip(SKIP_2) | instid1(VALU_DEP_1)
	v_cmp_ne_u32_e32 vcc_lo, 3, v1
	v_add_nc_u32_e32 v9, 1, v1
	v_add_co_ci_u32_e64 v4, null, 0, v8, vcc_lo
	v_lshlrev_b32_e32 v5, 2, v4
	s_wait_dscnt 0x1
	v_and_b32_e32 v20, 0xff, v7
	s_wait_dscnt 0x0
	ds_bpermute_b32 v4, v5, v2
	ds_bpermute_b32 v8, v5, v20
	;; [unrolled: 1-line block ×3, first 2 shown]
	v_cmpx_gt_u32_e64 s3, v9
	s_cbranch_execz .LBB197_232
; %bb.231:
	s_wait_dscnt 0x0
	v_min_i64 v[10:11], v[4:5], v[2:3]
	v_and_b32_e32 v7, 1, v7
	s_delay_alu instid0(VALU_DEP_1) | instskip(SKIP_3) | instid1(VALU_DEP_3)
	v_cmp_eq_u32_e32 vcc_lo, 1, v7
	v_bitop3_b32 v7, v20, 1, v8 bitop3:0x80
	v_and_b32_e32 v8, 0xff, v8
	v_cndmask_b32_e32 v2, v4, v2, vcc_lo
	v_cmp_eq_u32_e64 s2, 0, v7
	v_cndmask_b32_e32 v3, v5, v3, vcc_lo
	s_delay_alu instid0(VALU_DEP_4) | instskip(NEXT) | instid1(VALU_DEP_1)
	v_cndmask_b32_e64 v4, v8, 1, vcc_lo
	v_dual_cndmask_b32 v20, 1, v4, s2 :: v_dual_cndmask_b32 v2, v10, v2, s2
	s_delay_alu instid0(VALU_DEP_3)
	v_cndmask_b32_e64 v3, v11, v3, s2
.LBB197_232:
	s_or_b32 exec_lo, exec_lo, s5
	s_wait_dscnt 0x0
	v_dual_add_nc_u32 v1, 2, v1 :: v_dual_bitop2_b32 v5, 8, v6 bitop3:0x54
	ds_bpermute_b32 v6, v5, v20
	ds_bpermute_b32 v4, v5, v2
	;; [unrolled: 1-line block ×3, first 2 shown]
	v_cmp_gt_u32_e32 vcc_lo, s3, v1
	s_and_saveexec_b32 s3, vcc_lo
	s_cbranch_execz .LBB197_234
; %bb.233:
	s_wait_dscnt 0x0
	v_min_i64 v[8:9], v[4:5], v[2:3]
	v_and_b32_e32 v1, 1, v20
	s_delay_alu instid0(VALU_DEP_1) | instskip(SKIP_2) | instid1(VALU_DEP_2)
	v_cmp_eq_u32_e32 vcc_lo, 1, v1
	v_bitop3_b32 v1, v20, 1, v6 bitop3:0x80
	v_cndmask_b32_e32 v2, v4, v2, vcc_lo
	v_cmp_eq_u32_e64 s2, 0, v1
	v_cndmask_b32_e32 v3, v5, v3, vcc_lo
	v_cndmask_b32_e64 v1, v6, 1, vcc_lo
	s_delay_alu instid0(VALU_DEP_1) | instskip(NEXT) | instid1(VALU_DEP_3)
	v_dual_cndmask_b32 v20, 1, v1, s2 :: v_dual_cndmask_b32 v2, v8, v2, s2
	v_cndmask_b32_e64 v3, v9, v3, s2
.LBB197_234:
	s_or_b32 exec_lo, exec_lo, s3
.LBB197_235:
	s_delay_alu instid0(SALU_CYCLE_1)
	s_or_b32 exec_lo, exec_lo, s4
	v_cmp_eq_u32_e64 s2, 0, v0
	s_and_saveexec_b32 s3, s2
	s_cbranch_execnz .LBB197_212
	s_branch .LBB197_213
	.section	.rodata,"a",@progbits
	.p2align	6, 0x0
	.amdhsa_kernel _ZN7rocprim17ROCPRIM_400000_NS6detail17trampoline_kernelINS0_14default_configENS1_22reduce_config_selectorIN6thrust23THRUST_200600_302600_NS5tupleIblNS6_9null_typeES8_S8_S8_S8_S8_S8_S8_EEEEZNS1_11reduce_implILb1ES3_NS6_12zip_iteratorINS7_INS6_11hip_rocprim26transform_input_iterator_tIbNSD_35transform_pair_of_input_iterators_tIbNS6_6detail15normal_iteratorINS6_10device_ptrIKtEEEESL_NS6_8equal_toItEEEENSG_9not_fun_tINSD_8identityEEEEENSD_19counting_iterator_tIlEES8_S8_S8_S8_S8_S8_S8_S8_EEEEPS9_S9_NSD_9__find_if7functorIS9_EEEE10hipError_tPvRmT1_T2_T3_mT4_P12ihipStream_tbEUlT_E1_NS1_11comp_targetILNS1_3genE0ELNS1_11target_archE4294967295ELNS1_3gpuE0ELNS1_3repE0EEENS1_30default_config_static_selectorELNS0_4arch9wavefront6targetE0EEEvS14_
		.amdhsa_group_segment_fixed_size 320
		.amdhsa_private_segment_fixed_size 0
		.amdhsa_kernarg_size 88
		.amdhsa_user_sgpr_count 2
		.amdhsa_user_sgpr_dispatch_ptr 0
		.amdhsa_user_sgpr_queue_ptr 0
		.amdhsa_user_sgpr_kernarg_segment_ptr 1
		.amdhsa_user_sgpr_dispatch_id 0
		.amdhsa_user_sgpr_kernarg_preload_length 0
		.amdhsa_user_sgpr_kernarg_preload_offset 0
		.amdhsa_user_sgpr_private_segment_size 0
		.amdhsa_wavefront_size32 1
		.amdhsa_uses_dynamic_stack 0
		.amdhsa_enable_private_segment 0
		.amdhsa_system_sgpr_workgroup_id_x 1
		.amdhsa_system_sgpr_workgroup_id_y 0
		.amdhsa_system_sgpr_workgroup_id_z 0
		.amdhsa_system_sgpr_workgroup_info 0
		.amdhsa_system_vgpr_workitem_id 0
		.amdhsa_next_free_vgpr 28
		.amdhsa_next_free_sgpr 28
		.amdhsa_named_barrier_count 0
		.amdhsa_reserve_vcc 1
		.amdhsa_float_round_mode_32 0
		.amdhsa_float_round_mode_16_64 0
		.amdhsa_float_denorm_mode_32 3
		.amdhsa_float_denorm_mode_16_64 3
		.amdhsa_fp16_overflow 0
		.amdhsa_memory_ordered 1
		.amdhsa_forward_progress 1
		.amdhsa_inst_pref_size 104
		.amdhsa_round_robin_scheduling 0
		.amdhsa_exception_fp_ieee_invalid_op 0
		.amdhsa_exception_fp_denorm_src 0
		.amdhsa_exception_fp_ieee_div_zero 0
		.amdhsa_exception_fp_ieee_overflow 0
		.amdhsa_exception_fp_ieee_underflow 0
		.amdhsa_exception_fp_ieee_inexact 0
		.amdhsa_exception_int_div_zero 0
	.end_amdhsa_kernel
	.section	.text._ZN7rocprim17ROCPRIM_400000_NS6detail17trampoline_kernelINS0_14default_configENS1_22reduce_config_selectorIN6thrust23THRUST_200600_302600_NS5tupleIblNS6_9null_typeES8_S8_S8_S8_S8_S8_S8_EEEEZNS1_11reduce_implILb1ES3_NS6_12zip_iteratorINS7_INS6_11hip_rocprim26transform_input_iterator_tIbNSD_35transform_pair_of_input_iterators_tIbNS6_6detail15normal_iteratorINS6_10device_ptrIKtEEEESL_NS6_8equal_toItEEEENSG_9not_fun_tINSD_8identityEEEEENSD_19counting_iterator_tIlEES8_S8_S8_S8_S8_S8_S8_S8_EEEEPS9_S9_NSD_9__find_if7functorIS9_EEEE10hipError_tPvRmT1_T2_T3_mT4_P12ihipStream_tbEUlT_E1_NS1_11comp_targetILNS1_3genE0ELNS1_11target_archE4294967295ELNS1_3gpuE0ELNS1_3repE0EEENS1_30default_config_static_selectorELNS0_4arch9wavefront6targetE0EEEvS14_,"axG",@progbits,_ZN7rocprim17ROCPRIM_400000_NS6detail17trampoline_kernelINS0_14default_configENS1_22reduce_config_selectorIN6thrust23THRUST_200600_302600_NS5tupleIblNS6_9null_typeES8_S8_S8_S8_S8_S8_S8_EEEEZNS1_11reduce_implILb1ES3_NS6_12zip_iteratorINS7_INS6_11hip_rocprim26transform_input_iterator_tIbNSD_35transform_pair_of_input_iterators_tIbNS6_6detail15normal_iteratorINS6_10device_ptrIKtEEEESL_NS6_8equal_toItEEEENSG_9not_fun_tINSD_8identityEEEEENSD_19counting_iterator_tIlEES8_S8_S8_S8_S8_S8_S8_S8_EEEEPS9_S9_NSD_9__find_if7functorIS9_EEEE10hipError_tPvRmT1_T2_T3_mT4_P12ihipStream_tbEUlT_E1_NS1_11comp_targetILNS1_3genE0ELNS1_11target_archE4294967295ELNS1_3gpuE0ELNS1_3repE0EEENS1_30default_config_static_selectorELNS0_4arch9wavefront6targetE0EEEvS14_,comdat
.Lfunc_end197:
	.size	_ZN7rocprim17ROCPRIM_400000_NS6detail17trampoline_kernelINS0_14default_configENS1_22reduce_config_selectorIN6thrust23THRUST_200600_302600_NS5tupleIblNS6_9null_typeES8_S8_S8_S8_S8_S8_S8_EEEEZNS1_11reduce_implILb1ES3_NS6_12zip_iteratorINS7_INS6_11hip_rocprim26transform_input_iterator_tIbNSD_35transform_pair_of_input_iterators_tIbNS6_6detail15normal_iteratorINS6_10device_ptrIKtEEEESL_NS6_8equal_toItEEEENSG_9not_fun_tINSD_8identityEEEEENSD_19counting_iterator_tIlEES8_S8_S8_S8_S8_S8_S8_S8_EEEEPS9_S9_NSD_9__find_if7functorIS9_EEEE10hipError_tPvRmT1_T2_T3_mT4_P12ihipStream_tbEUlT_E1_NS1_11comp_targetILNS1_3genE0ELNS1_11target_archE4294967295ELNS1_3gpuE0ELNS1_3repE0EEENS1_30default_config_static_selectorELNS0_4arch9wavefront6targetE0EEEvS14_, .Lfunc_end197-_ZN7rocprim17ROCPRIM_400000_NS6detail17trampoline_kernelINS0_14default_configENS1_22reduce_config_selectorIN6thrust23THRUST_200600_302600_NS5tupleIblNS6_9null_typeES8_S8_S8_S8_S8_S8_S8_EEEEZNS1_11reduce_implILb1ES3_NS6_12zip_iteratorINS7_INS6_11hip_rocprim26transform_input_iterator_tIbNSD_35transform_pair_of_input_iterators_tIbNS6_6detail15normal_iteratorINS6_10device_ptrIKtEEEESL_NS6_8equal_toItEEEENSG_9not_fun_tINSD_8identityEEEEENSD_19counting_iterator_tIlEES8_S8_S8_S8_S8_S8_S8_S8_EEEEPS9_S9_NSD_9__find_if7functorIS9_EEEE10hipError_tPvRmT1_T2_T3_mT4_P12ihipStream_tbEUlT_E1_NS1_11comp_targetILNS1_3genE0ELNS1_11target_archE4294967295ELNS1_3gpuE0ELNS1_3repE0EEENS1_30default_config_static_selectorELNS0_4arch9wavefront6targetE0EEEvS14_
                                        ; -- End function
	.set _ZN7rocprim17ROCPRIM_400000_NS6detail17trampoline_kernelINS0_14default_configENS1_22reduce_config_selectorIN6thrust23THRUST_200600_302600_NS5tupleIblNS6_9null_typeES8_S8_S8_S8_S8_S8_S8_EEEEZNS1_11reduce_implILb1ES3_NS6_12zip_iteratorINS7_INS6_11hip_rocprim26transform_input_iterator_tIbNSD_35transform_pair_of_input_iterators_tIbNS6_6detail15normal_iteratorINS6_10device_ptrIKtEEEESL_NS6_8equal_toItEEEENSG_9not_fun_tINSD_8identityEEEEENSD_19counting_iterator_tIlEES8_S8_S8_S8_S8_S8_S8_S8_EEEEPS9_S9_NSD_9__find_if7functorIS9_EEEE10hipError_tPvRmT1_T2_T3_mT4_P12ihipStream_tbEUlT_E1_NS1_11comp_targetILNS1_3genE0ELNS1_11target_archE4294967295ELNS1_3gpuE0ELNS1_3repE0EEENS1_30default_config_static_selectorELNS0_4arch9wavefront6targetE0EEEvS14_.num_vgpr, 28
	.set _ZN7rocprim17ROCPRIM_400000_NS6detail17trampoline_kernelINS0_14default_configENS1_22reduce_config_selectorIN6thrust23THRUST_200600_302600_NS5tupleIblNS6_9null_typeES8_S8_S8_S8_S8_S8_S8_EEEEZNS1_11reduce_implILb1ES3_NS6_12zip_iteratorINS7_INS6_11hip_rocprim26transform_input_iterator_tIbNSD_35transform_pair_of_input_iterators_tIbNS6_6detail15normal_iteratorINS6_10device_ptrIKtEEEESL_NS6_8equal_toItEEEENSG_9not_fun_tINSD_8identityEEEEENSD_19counting_iterator_tIlEES8_S8_S8_S8_S8_S8_S8_S8_EEEEPS9_S9_NSD_9__find_if7functorIS9_EEEE10hipError_tPvRmT1_T2_T3_mT4_P12ihipStream_tbEUlT_E1_NS1_11comp_targetILNS1_3genE0ELNS1_11target_archE4294967295ELNS1_3gpuE0ELNS1_3repE0EEENS1_30default_config_static_selectorELNS0_4arch9wavefront6targetE0EEEvS14_.num_agpr, 0
	.set _ZN7rocprim17ROCPRIM_400000_NS6detail17trampoline_kernelINS0_14default_configENS1_22reduce_config_selectorIN6thrust23THRUST_200600_302600_NS5tupleIblNS6_9null_typeES8_S8_S8_S8_S8_S8_S8_EEEEZNS1_11reduce_implILb1ES3_NS6_12zip_iteratorINS7_INS6_11hip_rocprim26transform_input_iterator_tIbNSD_35transform_pair_of_input_iterators_tIbNS6_6detail15normal_iteratorINS6_10device_ptrIKtEEEESL_NS6_8equal_toItEEEENSG_9not_fun_tINSD_8identityEEEEENSD_19counting_iterator_tIlEES8_S8_S8_S8_S8_S8_S8_S8_EEEEPS9_S9_NSD_9__find_if7functorIS9_EEEE10hipError_tPvRmT1_T2_T3_mT4_P12ihipStream_tbEUlT_E1_NS1_11comp_targetILNS1_3genE0ELNS1_11target_archE4294967295ELNS1_3gpuE0ELNS1_3repE0EEENS1_30default_config_static_selectorELNS0_4arch9wavefront6targetE0EEEvS14_.numbered_sgpr, 28
	.set _ZN7rocprim17ROCPRIM_400000_NS6detail17trampoline_kernelINS0_14default_configENS1_22reduce_config_selectorIN6thrust23THRUST_200600_302600_NS5tupleIblNS6_9null_typeES8_S8_S8_S8_S8_S8_S8_EEEEZNS1_11reduce_implILb1ES3_NS6_12zip_iteratorINS7_INS6_11hip_rocprim26transform_input_iterator_tIbNSD_35transform_pair_of_input_iterators_tIbNS6_6detail15normal_iteratorINS6_10device_ptrIKtEEEESL_NS6_8equal_toItEEEENSG_9not_fun_tINSD_8identityEEEEENSD_19counting_iterator_tIlEES8_S8_S8_S8_S8_S8_S8_S8_EEEEPS9_S9_NSD_9__find_if7functorIS9_EEEE10hipError_tPvRmT1_T2_T3_mT4_P12ihipStream_tbEUlT_E1_NS1_11comp_targetILNS1_3genE0ELNS1_11target_archE4294967295ELNS1_3gpuE0ELNS1_3repE0EEENS1_30default_config_static_selectorELNS0_4arch9wavefront6targetE0EEEvS14_.num_named_barrier, 0
	.set _ZN7rocprim17ROCPRIM_400000_NS6detail17trampoline_kernelINS0_14default_configENS1_22reduce_config_selectorIN6thrust23THRUST_200600_302600_NS5tupleIblNS6_9null_typeES8_S8_S8_S8_S8_S8_S8_EEEEZNS1_11reduce_implILb1ES3_NS6_12zip_iteratorINS7_INS6_11hip_rocprim26transform_input_iterator_tIbNSD_35transform_pair_of_input_iterators_tIbNS6_6detail15normal_iteratorINS6_10device_ptrIKtEEEESL_NS6_8equal_toItEEEENSG_9not_fun_tINSD_8identityEEEEENSD_19counting_iterator_tIlEES8_S8_S8_S8_S8_S8_S8_S8_EEEEPS9_S9_NSD_9__find_if7functorIS9_EEEE10hipError_tPvRmT1_T2_T3_mT4_P12ihipStream_tbEUlT_E1_NS1_11comp_targetILNS1_3genE0ELNS1_11target_archE4294967295ELNS1_3gpuE0ELNS1_3repE0EEENS1_30default_config_static_selectorELNS0_4arch9wavefront6targetE0EEEvS14_.private_seg_size, 0
	.set _ZN7rocprim17ROCPRIM_400000_NS6detail17trampoline_kernelINS0_14default_configENS1_22reduce_config_selectorIN6thrust23THRUST_200600_302600_NS5tupleIblNS6_9null_typeES8_S8_S8_S8_S8_S8_S8_EEEEZNS1_11reduce_implILb1ES3_NS6_12zip_iteratorINS7_INS6_11hip_rocprim26transform_input_iterator_tIbNSD_35transform_pair_of_input_iterators_tIbNS6_6detail15normal_iteratorINS6_10device_ptrIKtEEEESL_NS6_8equal_toItEEEENSG_9not_fun_tINSD_8identityEEEEENSD_19counting_iterator_tIlEES8_S8_S8_S8_S8_S8_S8_S8_EEEEPS9_S9_NSD_9__find_if7functorIS9_EEEE10hipError_tPvRmT1_T2_T3_mT4_P12ihipStream_tbEUlT_E1_NS1_11comp_targetILNS1_3genE0ELNS1_11target_archE4294967295ELNS1_3gpuE0ELNS1_3repE0EEENS1_30default_config_static_selectorELNS0_4arch9wavefront6targetE0EEEvS14_.uses_vcc, 1
	.set _ZN7rocprim17ROCPRIM_400000_NS6detail17trampoline_kernelINS0_14default_configENS1_22reduce_config_selectorIN6thrust23THRUST_200600_302600_NS5tupleIblNS6_9null_typeES8_S8_S8_S8_S8_S8_S8_EEEEZNS1_11reduce_implILb1ES3_NS6_12zip_iteratorINS7_INS6_11hip_rocprim26transform_input_iterator_tIbNSD_35transform_pair_of_input_iterators_tIbNS6_6detail15normal_iteratorINS6_10device_ptrIKtEEEESL_NS6_8equal_toItEEEENSG_9not_fun_tINSD_8identityEEEEENSD_19counting_iterator_tIlEES8_S8_S8_S8_S8_S8_S8_S8_EEEEPS9_S9_NSD_9__find_if7functorIS9_EEEE10hipError_tPvRmT1_T2_T3_mT4_P12ihipStream_tbEUlT_E1_NS1_11comp_targetILNS1_3genE0ELNS1_11target_archE4294967295ELNS1_3gpuE0ELNS1_3repE0EEENS1_30default_config_static_selectorELNS0_4arch9wavefront6targetE0EEEvS14_.uses_flat_scratch, 0
	.set _ZN7rocprim17ROCPRIM_400000_NS6detail17trampoline_kernelINS0_14default_configENS1_22reduce_config_selectorIN6thrust23THRUST_200600_302600_NS5tupleIblNS6_9null_typeES8_S8_S8_S8_S8_S8_S8_EEEEZNS1_11reduce_implILb1ES3_NS6_12zip_iteratorINS7_INS6_11hip_rocprim26transform_input_iterator_tIbNSD_35transform_pair_of_input_iterators_tIbNS6_6detail15normal_iteratorINS6_10device_ptrIKtEEEESL_NS6_8equal_toItEEEENSG_9not_fun_tINSD_8identityEEEEENSD_19counting_iterator_tIlEES8_S8_S8_S8_S8_S8_S8_S8_EEEEPS9_S9_NSD_9__find_if7functorIS9_EEEE10hipError_tPvRmT1_T2_T3_mT4_P12ihipStream_tbEUlT_E1_NS1_11comp_targetILNS1_3genE0ELNS1_11target_archE4294967295ELNS1_3gpuE0ELNS1_3repE0EEENS1_30default_config_static_selectorELNS0_4arch9wavefront6targetE0EEEvS14_.has_dyn_sized_stack, 0
	.set _ZN7rocprim17ROCPRIM_400000_NS6detail17trampoline_kernelINS0_14default_configENS1_22reduce_config_selectorIN6thrust23THRUST_200600_302600_NS5tupleIblNS6_9null_typeES8_S8_S8_S8_S8_S8_S8_EEEEZNS1_11reduce_implILb1ES3_NS6_12zip_iteratorINS7_INS6_11hip_rocprim26transform_input_iterator_tIbNSD_35transform_pair_of_input_iterators_tIbNS6_6detail15normal_iteratorINS6_10device_ptrIKtEEEESL_NS6_8equal_toItEEEENSG_9not_fun_tINSD_8identityEEEEENSD_19counting_iterator_tIlEES8_S8_S8_S8_S8_S8_S8_S8_EEEEPS9_S9_NSD_9__find_if7functorIS9_EEEE10hipError_tPvRmT1_T2_T3_mT4_P12ihipStream_tbEUlT_E1_NS1_11comp_targetILNS1_3genE0ELNS1_11target_archE4294967295ELNS1_3gpuE0ELNS1_3repE0EEENS1_30default_config_static_selectorELNS0_4arch9wavefront6targetE0EEEvS14_.has_recursion, 0
	.set _ZN7rocprim17ROCPRIM_400000_NS6detail17trampoline_kernelINS0_14default_configENS1_22reduce_config_selectorIN6thrust23THRUST_200600_302600_NS5tupleIblNS6_9null_typeES8_S8_S8_S8_S8_S8_S8_EEEEZNS1_11reduce_implILb1ES3_NS6_12zip_iteratorINS7_INS6_11hip_rocprim26transform_input_iterator_tIbNSD_35transform_pair_of_input_iterators_tIbNS6_6detail15normal_iteratorINS6_10device_ptrIKtEEEESL_NS6_8equal_toItEEEENSG_9not_fun_tINSD_8identityEEEEENSD_19counting_iterator_tIlEES8_S8_S8_S8_S8_S8_S8_S8_EEEEPS9_S9_NSD_9__find_if7functorIS9_EEEE10hipError_tPvRmT1_T2_T3_mT4_P12ihipStream_tbEUlT_E1_NS1_11comp_targetILNS1_3genE0ELNS1_11target_archE4294967295ELNS1_3gpuE0ELNS1_3repE0EEENS1_30default_config_static_selectorELNS0_4arch9wavefront6targetE0EEEvS14_.has_indirect_call, 0
	.section	.AMDGPU.csdata,"",@progbits
; Kernel info:
; codeLenInByte = 13312
; TotalNumSgprs: 30
; NumVgprs: 28
; ScratchSize: 0
; MemoryBound: 0
; FloatMode: 240
; IeeeMode: 1
; LDSByteSize: 320 bytes/workgroup (compile time only)
; SGPRBlocks: 0
; VGPRBlocks: 1
; NumSGPRsForWavesPerEU: 30
; NumVGPRsForWavesPerEU: 28
; NamedBarCnt: 0
; Occupancy: 16
; WaveLimiterHint : 0
; COMPUTE_PGM_RSRC2:SCRATCH_EN: 0
; COMPUTE_PGM_RSRC2:USER_SGPR: 2
; COMPUTE_PGM_RSRC2:TRAP_HANDLER: 0
; COMPUTE_PGM_RSRC2:TGID_X_EN: 1
; COMPUTE_PGM_RSRC2:TGID_Y_EN: 0
; COMPUTE_PGM_RSRC2:TGID_Z_EN: 0
; COMPUTE_PGM_RSRC2:TIDIG_COMP_CNT: 0
	.section	.text._ZN7rocprim17ROCPRIM_400000_NS6detail17trampoline_kernelINS0_14default_configENS1_22reduce_config_selectorIN6thrust23THRUST_200600_302600_NS5tupleIblNS6_9null_typeES8_S8_S8_S8_S8_S8_S8_EEEEZNS1_11reduce_implILb1ES3_NS6_12zip_iteratorINS7_INS6_11hip_rocprim26transform_input_iterator_tIbNSD_35transform_pair_of_input_iterators_tIbNS6_6detail15normal_iteratorINS6_10device_ptrIKtEEEESL_NS6_8equal_toItEEEENSG_9not_fun_tINSD_8identityEEEEENSD_19counting_iterator_tIlEES8_S8_S8_S8_S8_S8_S8_S8_EEEEPS9_S9_NSD_9__find_if7functorIS9_EEEE10hipError_tPvRmT1_T2_T3_mT4_P12ihipStream_tbEUlT_E1_NS1_11comp_targetILNS1_3genE5ELNS1_11target_archE942ELNS1_3gpuE9ELNS1_3repE0EEENS1_30default_config_static_selectorELNS0_4arch9wavefront6targetE0EEEvS14_,"axG",@progbits,_ZN7rocprim17ROCPRIM_400000_NS6detail17trampoline_kernelINS0_14default_configENS1_22reduce_config_selectorIN6thrust23THRUST_200600_302600_NS5tupleIblNS6_9null_typeES8_S8_S8_S8_S8_S8_S8_EEEEZNS1_11reduce_implILb1ES3_NS6_12zip_iteratorINS7_INS6_11hip_rocprim26transform_input_iterator_tIbNSD_35transform_pair_of_input_iterators_tIbNS6_6detail15normal_iteratorINS6_10device_ptrIKtEEEESL_NS6_8equal_toItEEEENSG_9not_fun_tINSD_8identityEEEEENSD_19counting_iterator_tIlEES8_S8_S8_S8_S8_S8_S8_S8_EEEEPS9_S9_NSD_9__find_if7functorIS9_EEEE10hipError_tPvRmT1_T2_T3_mT4_P12ihipStream_tbEUlT_E1_NS1_11comp_targetILNS1_3genE5ELNS1_11target_archE942ELNS1_3gpuE9ELNS1_3repE0EEENS1_30default_config_static_selectorELNS0_4arch9wavefront6targetE0EEEvS14_,comdat
	.protected	_ZN7rocprim17ROCPRIM_400000_NS6detail17trampoline_kernelINS0_14default_configENS1_22reduce_config_selectorIN6thrust23THRUST_200600_302600_NS5tupleIblNS6_9null_typeES8_S8_S8_S8_S8_S8_S8_EEEEZNS1_11reduce_implILb1ES3_NS6_12zip_iteratorINS7_INS6_11hip_rocprim26transform_input_iterator_tIbNSD_35transform_pair_of_input_iterators_tIbNS6_6detail15normal_iteratorINS6_10device_ptrIKtEEEESL_NS6_8equal_toItEEEENSG_9not_fun_tINSD_8identityEEEEENSD_19counting_iterator_tIlEES8_S8_S8_S8_S8_S8_S8_S8_EEEEPS9_S9_NSD_9__find_if7functorIS9_EEEE10hipError_tPvRmT1_T2_T3_mT4_P12ihipStream_tbEUlT_E1_NS1_11comp_targetILNS1_3genE5ELNS1_11target_archE942ELNS1_3gpuE9ELNS1_3repE0EEENS1_30default_config_static_selectorELNS0_4arch9wavefront6targetE0EEEvS14_ ; -- Begin function _ZN7rocprim17ROCPRIM_400000_NS6detail17trampoline_kernelINS0_14default_configENS1_22reduce_config_selectorIN6thrust23THRUST_200600_302600_NS5tupleIblNS6_9null_typeES8_S8_S8_S8_S8_S8_S8_EEEEZNS1_11reduce_implILb1ES3_NS6_12zip_iteratorINS7_INS6_11hip_rocprim26transform_input_iterator_tIbNSD_35transform_pair_of_input_iterators_tIbNS6_6detail15normal_iteratorINS6_10device_ptrIKtEEEESL_NS6_8equal_toItEEEENSG_9not_fun_tINSD_8identityEEEEENSD_19counting_iterator_tIlEES8_S8_S8_S8_S8_S8_S8_S8_EEEEPS9_S9_NSD_9__find_if7functorIS9_EEEE10hipError_tPvRmT1_T2_T3_mT4_P12ihipStream_tbEUlT_E1_NS1_11comp_targetILNS1_3genE5ELNS1_11target_archE942ELNS1_3gpuE9ELNS1_3repE0EEENS1_30default_config_static_selectorELNS0_4arch9wavefront6targetE0EEEvS14_
	.globl	_ZN7rocprim17ROCPRIM_400000_NS6detail17trampoline_kernelINS0_14default_configENS1_22reduce_config_selectorIN6thrust23THRUST_200600_302600_NS5tupleIblNS6_9null_typeES8_S8_S8_S8_S8_S8_S8_EEEEZNS1_11reduce_implILb1ES3_NS6_12zip_iteratorINS7_INS6_11hip_rocprim26transform_input_iterator_tIbNSD_35transform_pair_of_input_iterators_tIbNS6_6detail15normal_iteratorINS6_10device_ptrIKtEEEESL_NS6_8equal_toItEEEENSG_9not_fun_tINSD_8identityEEEEENSD_19counting_iterator_tIlEES8_S8_S8_S8_S8_S8_S8_S8_EEEEPS9_S9_NSD_9__find_if7functorIS9_EEEE10hipError_tPvRmT1_T2_T3_mT4_P12ihipStream_tbEUlT_E1_NS1_11comp_targetILNS1_3genE5ELNS1_11target_archE942ELNS1_3gpuE9ELNS1_3repE0EEENS1_30default_config_static_selectorELNS0_4arch9wavefront6targetE0EEEvS14_
	.p2align	8
	.type	_ZN7rocprim17ROCPRIM_400000_NS6detail17trampoline_kernelINS0_14default_configENS1_22reduce_config_selectorIN6thrust23THRUST_200600_302600_NS5tupleIblNS6_9null_typeES8_S8_S8_S8_S8_S8_S8_EEEEZNS1_11reduce_implILb1ES3_NS6_12zip_iteratorINS7_INS6_11hip_rocprim26transform_input_iterator_tIbNSD_35transform_pair_of_input_iterators_tIbNS6_6detail15normal_iteratorINS6_10device_ptrIKtEEEESL_NS6_8equal_toItEEEENSG_9not_fun_tINSD_8identityEEEEENSD_19counting_iterator_tIlEES8_S8_S8_S8_S8_S8_S8_S8_EEEEPS9_S9_NSD_9__find_if7functorIS9_EEEE10hipError_tPvRmT1_T2_T3_mT4_P12ihipStream_tbEUlT_E1_NS1_11comp_targetILNS1_3genE5ELNS1_11target_archE942ELNS1_3gpuE9ELNS1_3repE0EEENS1_30default_config_static_selectorELNS0_4arch9wavefront6targetE0EEEvS14_,@function
_ZN7rocprim17ROCPRIM_400000_NS6detail17trampoline_kernelINS0_14default_configENS1_22reduce_config_selectorIN6thrust23THRUST_200600_302600_NS5tupleIblNS6_9null_typeES8_S8_S8_S8_S8_S8_S8_EEEEZNS1_11reduce_implILb1ES3_NS6_12zip_iteratorINS7_INS6_11hip_rocprim26transform_input_iterator_tIbNSD_35transform_pair_of_input_iterators_tIbNS6_6detail15normal_iteratorINS6_10device_ptrIKtEEEESL_NS6_8equal_toItEEEENSG_9not_fun_tINSD_8identityEEEEENSD_19counting_iterator_tIlEES8_S8_S8_S8_S8_S8_S8_S8_EEEEPS9_S9_NSD_9__find_if7functorIS9_EEEE10hipError_tPvRmT1_T2_T3_mT4_P12ihipStream_tbEUlT_E1_NS1_11comp_targetILNS1_3genE5ELNS1_11target_archE942ELNS1_3gpuE9ELNS1_3repE0EEENS1_30default_config_static_selectorELNS0_4arch9wavefront6targetE0EEEvS14_: ; @_ZN7rocprim17ROCPRIM_400000_NS6detail17trampoline_kernelINS0_14default_configENS1_22reduce_config_selectorIN6thrust23THRUST_200600_302600_NS5tupleIblNS6_9null_typeES8_S8_S8_S8_S8_S8_S8_EEEEZNS1_11reduce_implILb1ES3_NS6_12zip_iteratorINS7_INS6_11hip_rocprim26transform_input_iterator_tIbNSD_35transform_pair_of_input_iterators_tIbNS6_6detail15normal_iteratorINS6_10device_ptrIKtEEEESL_NS6_8equal_toItEEEENSG_9not_fun_tINSD_8identityEEEEENSD_19counting_iterator_tIlEES8_S8_S8_S8_S8_S8_S8_S8_EEEEPS9_S9_NSD_9__find_if7functorIS9_EEEE10hipError_tPvRmT1_T2_T3_mT4_P12ihipStream_tbEUlT_E1_NS1_11comp_targetILNS1_3genE5ELNS1_11target_archE942ELNS1_3gpuE9ELNS1_3repE0EEENS1_30default_config_static_selectorELNS0_4arch9wavefront6targetE0EEEvS14_
; %bb.0:
	.section	.rodata,"a",@progbits
	.p2align	6, 0x0
	.amdhsa_kernel _ZN7rocprim17ROCPRIM_400000_NS6detail17trampoline_kernelINS0_14default_configENS1_22reduce_config_selectorIN6thrust23THRUST_200600_302600_NS5tupleIblNS6_9null_typeES8_S8_S8_S8_S8_S8_S8_EEEEZNS1_11reduce_implILb1ES3_NS6_12zip_iteratorINS7_INS6_11hip_rocprim26transform_input_iterator_tIbNSD_35transform_pair_of_input_iterators_tIbNS6_6detail15normal_iteratorINS6_10device_ptrIKtEEEESL_NS6_8equal_toItEEEENSG_9not_fun_tINSD_8identityEEEEENSD_19counting_iterator_tIlEES8_S8_S8_S8_S8_S8_S8_S8_EEEEPS9_S9_NSD_9__find_if7functorIS9_EEEE10hipError_tPvRmT1_T2_T3_mT4_P12ihipStream_tbEUlT_E1_NS1_11comp_targetILNS1_3genE5ELNS1_11target_archE942ELNS1_3gpuE9ELNS1_3repE0EEENS1_30default_config_static_selectorELNS0_4arch9wavefront6targetE0EEEvS14_
		.amdhsa_group_segment_fixed_size 0
		.amdhsa_private_segment_fixed_size 0
		.amdhsa_kernarg_size 88
		.amdhsa_user_sgpr_count 2
		.amdhsa_user_sgpr_dispatch_ptr 0
		.amdhsa_user_sgpr_queue_ptr 0
		.amdhsa_user_sgpr_kernarg_segment_ptr 1
		.amdhsa_user_sgpr_dispatch_id 0
		.amdhsa_user_sgpr_kernarg_preload_length 0
		.amdhsa_user_sgpr_kernarg_preload_offset 0
		.amdhsa_user_sgpr_private_segment_size 0
		.amdhsa_wavefront_size32 1
		.amdhsa_uses_dynamic_stack 0
		.amdhsa_enable_private_segment 0
		.amdhsa_system_sgpr_workgroup_id_x 1
		.amdhsa_system_sgpr_workgroup_id_y 0
		.amdhsa_system_sgpr_workgroup_id_z 0
		.amdhsa_system_sgpr_workgroup_info 0
		.amdhsa_system_vgpr_workitem_id 0
		.amdhsa_next_free_vgpr 1
		.amdhsa_next_free_sgpr 1
		.amdhsa_named_barrier_count 0
		.amdhsa_reserve_vcc 0
		.amdhsa_float_round_mode_32 0
		.amdhsa_float_round_mode_16_64 0
		.amdhsa_float_denorm_mode_32 3
		.amdhsa_float_denorm_mode_16_64 3
		.amdhsa_fp16_overflow 0
		.amdhsa_memory_ordered 1
		.amdhsa_forward_progress 1
		.amdhsa_inst_pref_size 0
		.amdhsa_round_robin_scheduling 0
		.amdhsa_exception_fp_ieee_invalid_op 0
		.amdhsa_exception_fp_denorm_src 0
		.amdhsa_exception_fp_ieee_div_zero 0
		.amdhsa_exception_fp_ieee_overflow 0
		.amdhsa_exception_fp_ieee_underflow 0
		.amdhsa_exception_fp_ieee_inexact 0
		.amdhsa_exception_int_div_zero 0
	.end_amdhsa_kernel
	.section	.text._ZN7rocprim17ROCPRIM_400000_NS6detail17trampoline_kernelINS0_14default_configENS1_22reduce_config_selectorIN6thrust23THRUST_200600_302600_NS5tupleIblNS6_9null_typeES8_S8_S8_S8_S8_S8_S8_EEEEZNS1_11reduce_implILb1ES3_NS6_12zip_iteratorINS7_INS6_11hip_rocprim26transform_input_iterator_tIbNSD_35transform_pair_of_input_iterators_tIbNS6_6detail15normal_iteratorINS6_10device_ptrIKtEEEESL_NS6_8equal_toItEEEENSG_9not_fun_tINSD_8identityEEEEENSD_19counting_iterator_tIlEES8_S8_S8_S8_S8_S8_S8_S8_EEEEPS9_S9_NSD_9__find_if7functorIS9_EEEE10hipError_tPvRmT1_T2_T3_mT4_P12ihipStream_tbEUlT_E1_NS1_11comp_targetILNS1_3genE5ELNS1_11target_archE942ELNS1_3gpuE9ELNS1_3repE0EEENS1_30default_config_static_selectorELNS0_4arch9wavefront6targetE0EEEvS14_,"axG",@progbits,_ZN7rocprim17ROCPRIM_400000_NS6detail17trampoline_kernelINS0_14default_configENS1_22reduce_config_selectorIN6thrust23THRUST_200600_302600_NS5tupleIblNS6_9null_typeES8_S8_S8_S8_S8_S8_S8_EEEEZNS1_11reduce_implILb1ES3_NS6_12zip_iteratorINS7_INS6_11hip_rocprim26transform_input_iterator_tIbNSD_35transform_pair_of_input_iterators_tIbNS6_6detail15normal_iteratorINS6_10device_ptrIKtEEEESL_NS6_8equal_toItEEEENSG_9not_fun_tINSD_8identityEEEEENSD_19counting_iterator_tIlEES8_S8_S8_S8_S8_S8_S8_S8_EEEEPS9_S9_NSD_9__find_if7functorIS9_EEEE10hipError_tPvRmT1_T2_T3_mT4_P12ihipStream_tbEUlT_E1_NS1_11comp_targetILNS1_3genE5ELNS1_11target_archE942ELNS1_3gpuE9ELNS1_3repE0EEENS1_30default_config_static_selectorELNS0_4arch9wavefront6targetE0EEEvS14_,comdat
.Lfunc_end198:
	.size	_ZN7rocprim17ROCPRIM_400000_NS6detail17trampoline_kernelINS0_14default_configENS1_22reduce_config_selectorIN6thrust23THRUST_200600_302600_NS5tupleIblNS6_9null_typeES8_S8_S8_S8_S8_S8_S8_EEEEZNS1_11reduce_implILb1ES3_NS6_12zip_iteratorINS7_INS6_11hip_rocprim26transform_input_iterator_tIbNSD_35transform_pair_of_input_iterators_tIbNS6_6detail15normal_iteratorINS6_10device_ptrIKtEEEESL_NS6_8equal_toItEEEENSG_9not_fun_tINSD_8identityEEEEENSD_19counting_iterator_tIlEES8_S8_S8_S8_S8_S8_S8_S8_EEEEPS9_S9_NSD_9__find_if7functorIS9_EEEE10hipError_tPvRmT1_T2_T3_mT4_P12ihipStream_tbEUlT_E1_NS1_11comp_targetILNS1_3genE5ELNS1_11target_archE942ELNS1_3gpuE9ELNS1_3repE0EEENS1_30default_config_static_selectorELNS0_4arch9wavefront6targetE0EEEvS14_, .Lfunc_end198-_ZN7rocprim17ROCPRIM_400000_NS6detail17trampoline_kernelINS0_14default_configENS1_22reduce_config_selectorIN6thrust23THRUST_200600_302600_NS5tupleIblNS6_9null_typeES8_S8_S8_S8_S8_S8_S8_EEEEZNS1_11reduce_implILb1ES3_NS6_12zip_iteratorINS7_INS6_11hip_rocprim26transform_input_iterator_tIbNSD_35transform_pair_of_input_iterators_tIbNS6_6detail15normal_iteratorINS6_10device_ptrIKtEEEESL_NS6_8equal_toItEEEENSG_9not_fun_tINSD_8identityEEEEENSD_19counting_iterator_tIlEES8_S8_S8_S8_S8_S8_S8_S8_EEEEPS9_S9_NSD_9__find_if7functorIS9_EEEE10hipError_tPvRmT1_T2_T3_mT4_P12ihipStream_tbEUlT_E1_NS1_11comp_targetILNS1_3genE5ELNS1_11target_archE942ELNS1_3gpuE9ELNS1_3repE0EEENS1_30default_config_static_selectorELNS0_4arch9wavefront6targetE0EEEvS14_
                                        ; -- End function
	.set _ZN7rocprim17ROCPRIM_400000_NS6detail17trampoline_kernelINS0_14default_configENS1_22reduce_config_selectorIN6thrust23THRUST_200600_302600_NS5tupleIblNS6_9null_typeES8_S8_S8_S8_S8_S8_S8_EEEEZNS1_11reduce_implILb1ES3_NS6_12zip_iteratorINS7_INS6_11hip_rocprim26transform_input_iterator_tIbNSD_35transform_pair_of_input_iterators_tIbNS6_6detail15normal_iteratorINS6_10device_ptrIKtEEEESL_NS6_8equal_toItEEEENSG_9not_fun_tINSD_8identityEEEEENSD_19counting_iterator_tIlEES8_S8_S8_S8_S8_S8_S8_S8_EEEEPS9_S9_NSD_9__find_if7functorIS9_EEEE10hipError_tPvRmT1_T2_T3_mT4_P12ihipStream_tbEUlT_E1_NS1_11comp_targetILNS1_3genE5ELNS1_11target_archE942ELNS1_3gpuE9ELNS1_3repE0EEENS1_30default_config_static_selectorELNS0_4arch9wavefront6targetE0EEEvS14_.num_vgpr, 0
	.set _ZN7rocprim17ROCPRIM_400000_NS6detail17trampoline_kernelINS0_14default_configENS1_22reduce_config_selectorIN6thrust23THRUST_200600_302600_NS5tupleIblNS6_9null_typeES8_S8_S8_S8_S8_S8_S8_EEEEZNS1_11reduce_implILb1ES3_NS6_12zip_iteratorINS7_INS6_11hip_rocprim26transform_input_iterator_tIbNSD_35transform_pair_of_input_iterators_tIbNS6_6detail15normal_iteratorINS6_10device_ptrIKtEEEESL_NS6_8equal_toItEEEENSG_9not_fun_tINSD_8identityEEEEENSD_19counting_iterator_tIlEES8_S8_S8_S8_S8_S8_S8_S8_EEEEPS9_S9_NSD_9__find_if7functorIS9_EEEE10hipError_tPvRmT1_T2_T3_mT4_P12ihipStream_tbEUlT_E1_NS1_11comp_targetILNS1_3genE5ELNS1_11target_archE942ELNS1_3gpuE9ELNS1_3repE0EEENS1_30default_config_static_selectorELNS0_4arch9wavefront6targetE0EEEvS14_.num_agpr, 0
	.set _ZN7rocprim17ROCPRIM_400000_NS6detail17trampoline_kernelINS0_14default_configENS1_22reduce_config_selectorIN6thrust23THRUST_200600_302600_NS5tupleIblNS6_9null_typeES8_S8_S8_S8_S8_S8_S8_EEEEZNS1_11reduce_implILb1ES3_NS6_12zip_iteratorINS7_INS6_11hip_rocprim26transform_input_iterator_tIbNSD_35transform_pair_of_input_iterators_tIbNS6_6detail15normal_iteratorINS6_10device_ptrIKtEEEESL_NS6_8equal_toItEEEENSG_9not_fun_tINSD_8identityEEEEENSD_19counting_iterator_tIlEES8_S8_S8_S8_S8_S8_S8_S8_EEEEPS9_S9_NSD_9__find_if7functorIS9_EEEE10hipError_tPvRmT1_T2_T3_mT4_P12ihipStream_tbEUlT_E1_NS1_11comp_targetILNS1_3genE5ELNS1_11target_archE942ELNS1_3gpuE9ELNS1_3repE0EEENS1_30default_config_static_selectorELNS0_4arch9wavefront6targetE0EEEvS14_.numbered_sgpr, 0
	.set _ZN7rocprim17ROCPRIM_400000_NS6detail17trampoline_kernelINS0_14default_configENS1_22reduce_config_selectorIN6thrust23THRUST_200600_302600_NS5tupleIblNS6_9null_typeES8_S8_S8_S8_S8_S8_S8_EEEEZNS1_11reduce_implILb1ES3_NS6_12zip_iteratorINS7_INS6_11hip_rocprim26transform_input_iterator_tIbNSD_35transform_pair_of_input_iterators_tIbNS6_6detail15normal_iteratorINS6_10device_ptrIKtEEEESL_NS6_8equal_toItEEEENSG_9not_fun_tINSD_8identityEEEEENSD_19counting_iterator_tIlEES8_S8_S8_S8_S8_S8_S8_S8_EEEEPS9_S9_NSD_9__find_if7functorIS9_EEEE10hipError_tPvRmT1_T2_T3_mT4_P12ihipStream_tbEUlT_E1_NS1_11comp_targetILNS1_3genE5ELNS1_11target_archE942ELNS1_3gpuE9ELNS1_3repE0EEENS1_30default_config_static_selectorELNS0_4arch9wavefront6targetE0EEEvS14_.num_named_barrier, 0
	.set _ZN7rocprim17ROCPRIM_400000_NS6detail17trampoline_kernelINS0_14default_configENS1_22reduce_config_selectorIN6thrust23THRUST_200600_302600_NS5tupleIblNS6_9null_typeES8_S8_S8_S8_S8_S8_S8_EEEEZNS1_11reduce_implILb1ES3_NS6_12zip_iteratorINS7_INS6_11hip_rocprim26transform_input_iterator_tIbNSD_35transform_pair_of_input_iterators_tIbNS6_6detail15normal_iteratorINS6_10device_ptrIKtEEEESL_NS6_8equal_toItEEEENSG_9not_fun_tINSD_8identityEEEEENSD_19counting_iterator_tIlEES8_S8_S8_S8_S8_S8_S8_S8_EEEEPS9_S9_NSD_9__find_if7functorIS9_EEEE10hipError_tPvRmT1_T2_T3_mT4_P12ihipStream_tbEUlT_E1_NS1_11comp_targetILNS1_3genE5ELNS1_11target_archE942ELNS1_3gpuE9ELNS1_3repE0EEENS1_30default_config_static_selectorELNS0_4arch9wavefront6targetE0EEEvS14_.private_seg_size, 0
	.set _ZN7rocprim17ROCPRIM_400000_NS6detail17trampoline_kernelINS0_14default_configENS1_22reduce_config_selectorIN6thrust23THRUST_200600_302600_NS5tupleIblNS6_9null_typeES8_S8_S8_S8_S8_S8_S8_EEEEZNS1_11reduce_implILb1ES3_NS6_12zip_iteratorINS7_INS6_11hip_rocprim26transform_input_iterator_tIbNSD_35transform_pair_of_input_iterators_tIbNS6_6detail15normal_iteratorINS6_10device_ptrIKtEEEESL_NS6_8equal_toItEEEENSG_9not_fun_tINSD_8identityEEEEENSD_19counting_iterator_tIlEES8_S8_S8_S8_S8_S8_S8_S8_EEEEPS9_S9_NSD_9__find_if7functorIS9_EEEE10hipError_tPvRmT1_T2_T3_mT4_P12ihipStream_tbEUlT_E1_NS1_11comp_targetILNS1_3genE5ELNS1_11target_archE942ELNS1_3gpuE9ELNS1_3repE0EEENS1_30default_config_static_selectorELNS0_4arch9wavefront6targetE0EEEvS14_.uses_vcc, 0
	.set _ZN7rocprim17ROCPRIM_400000_NS6detail17trampoline_kernelINS0_14default_configENS1_22reduce_config_selectorIN6thrust23THRUST_200600_302600_NS5tupleIblNS6_9null_typeES8_S8_S8_S8_S8_S8_S8_EEEEZNS1_11reduce_implILb1ES3_NS6_12zip_iteratorINS7_INS6_11hip_rocprim26transform_input_iterator_tIbNSD_35transform_pair_of_input_iterators_tIbNS6_6detail15normal_iteratorINS6_10device_ptrIKtEEEESL_NS6_8equal_toItEEEENSG_9not_fun_tINSD_8identityEEEEENSD_19counting_iterator_tIlEES8_S8_S8_S8_S8_S8_S8_S8_EEEEPS9_S9_NSD_9__find_if7functorIS9_EEEE10hipError_tPvRmT1_T2_T3_mT4_P12ihipStream_tbEUlT_E1_NS1_11comp_targetILNS1_3genE5ELNS1_11target_archE942ELNS1_3gpuE9ELNS1_3repE0EEENS1_30default_config_static_selectorELNS0_4arch9wavefront6targetE0EEEvS14_.uses_flat_scratch, 0
	.set _ZN7rocprim17ROCPRIM_400000_NS6detail17trampoline_kernelINS0_14default_configENS1_22reduce_config_selectorIN6thrust23THRUST_200600_302600_NS5tupleIblNS6_9null_typeES8_S8_S8_S8_S8_S8_S8_EEEEZNS1_11reduce_implILb1ES3_NS6_12zip_iteratorINS7_INS6_11hip_rocprim26transform_input_iterator_tIbNSD_35transform_pair_of_input_iterators_tIbNS6_6detail15normal_iteratorINS6_10device_ptrIKtEEEESL_NS6_8equal_toItEEEENSG_9not_fun_tINSD_8identityEEEEENSD_19counting_iterator_tIlEES8_S8_S8_S8_S8_S8_S8_S8_EEEEPS9_S9_NSD_9__find_if7functorIS9_EEEE10hipError_tPvRmT1_T2_T3_mT4_P12ihipStream_tbEUlT_E1_NS1_11comp_targetILNS1_3genE5ELNS1_11target_archE942ELNS1_3gpuE9ELNS1_3repE0EEENS1_30default_config_static_selectorELNS0_4arch9wavefront6targetE0EEEvS14_.has_dyn_sized_stack, 0
	.set _ZN7rocprim17ROCPRIM_400000_NS6detail17trampoline_kernelINS0_14default_configENS1_22reduce_config_selectorIN6thrust23THRUST_200600_302600_NS5tupleIblNS6_9null_typeES8_S8_S8_S8_S8_S8_S8_EEEEZNS1_11reduce_implILb1ES3_NS6_12zip_iteratorINS7_INS6_11hip_rocprim26transform_input_iterator_tIbNSD_35transform_pair_of_input_iterators_tIbNS6_6detail15normal_iteratorINS6_10device_ptrIKtEEEESL_NS6_8equal_toItEEEENSG_9not_fun_tINSD_8identityEEEEENSD_19counting_iterator_tIlEES8_S8_S8_S8_S8_S8_S8_S8_EEEEPS9_S9_NSD_9__find_if7functorIS9_EEEE10hipError_tPvRmT1_T2_T3_mT4_P12ihipStream_tbEUlT_E1_NS1_11comp_targetILNS1_3genE5ELNS1_11target_archE942ELNS1_3gpuE9ELNS1_3repE0EEENS1_30default_config_static_selectorELNS0_4arch9wavefront6targetE0EEEvS14_.has_recursion, 0
	.set _ZN7rocprim17ROCPRIM_400000_NS6detail17trampoline_kernelINS0_14default_configENS1_22reduce_config_selectorIN6thrust23THRUST_200600_302600_NS5tupleIblNS6_9null_typeES8_S8_S8_S8_S8_S8_S8_EEEEZNS1_11reduce_implILb1ES3_NS6_12zip_iteratorINS7_INS6_11hip_rocprim26transform_input_iterator_tIbNSD_35transform_pair_of_input_iterators_tIbNS6_6detail15normal_iteratorINS6_10device_ptrIKtEEEESL_NS6_8equal_toItEEEENSG_9not_fun_tINSD_8identityEEEEENSD_19counting_iterator_tIlEES8_S8_S8_S8_S8_S8_S8_S8_EEEEPS9_S9_NSD_9__find_if7functorIS9_EEEE10hipError_tPvRmT1_T2_T3_mT4_P12ihipStream_tbEUlT_E1_NS1_11comp_targetILNS1_3genE5ELNS1_11target_archE942ELNS1_3gpuE9ELNS1_3repE0EEENS1_30default_config_static_selectorELNS0_4arch9wavefront6targetE0EEEvS14_.has_indirect_call, 0
	.section	.AMDGPU.csdata,"",@progbits
; Kernel info:
; codeLenInByte = 0
; TotalNumSgprs: 0
; NumVgprs: 0
; ScratchSize: 0
; MemoryBound: 0
; FloatMode: 240
; IeeeMode: 1
; LDSByteSize: 0 bytes/workgroup (compile time only)
; SGPRBlocks: 0
; VGPRBlocks: 0
; NumSGPRsForWavesPerEU: 1
; NumVGPRsForWavesPerEU: 1
; NamedBarCnt: 0
; Occupancy: 16
; WaveLimiterHint : 0
; COMPUTE_PGM_RSRC2:SCRATCH_EN: 0
; COMPUTE_PGM_RSRC2:USER_SGPR: 2
; COMPUTE_PGM_RSRC2:TRAP_HANDLER: 0
; COMPUTE_PGM_RSRC2:TGID_X_EN: 1
; COMPUTE_PGM_RSRC2:TGID_Y_EN: 0
; COMPUTE_PGM_RSRC2:TGID_Z_EN: 0
; COMPUTE_PGM_RSRC2:TIDIG_COMP_CNT: 0
	.section	.text._ZN7rocprim17ROCPRIM_400000_NS6detail17trampoline_kernelINS0_14default_configENS1_22reduce_config_selectorIN6thrust23THRUST_200600_302600_NS5tupleIblNS6_9null_typeES8_S8_S8_S8_S8_S8_S8_EEEEZNS1_11reduce_implILb1ES3_NS6_12zip_iteratorINS7_INS6_11hip_rocprim26transform_input_iterator_tIbNSD_35transform_pair_of_input_iterators_tIbNS6_6detail15normal_iteratorINS6_10device_ptrIKtEEEESL_NS6_8equal_toItEEEENSG_9not_fun_tINSD_8identityEEEEENSD_19counting_iterator_tIlEES8_S8_S8_S8_S8_S8_S8_S8_EEEEPS9_S9_NSD_9__find_if7functorIS9_EEEE10hipError_tPvRmT1_T2_T3_mT4_P12ihipStream_tbEUlT_E1_NS1_11comp_targetILNS1_3genE4ELNS1_11target_archE910ELNS1_3gpuE8ELNS1_3repE0EEENS1_30default_config_static_selectorELNS0_4arch9wavefront6targetE0EEEvS14_,"axG",@progbits,_ZN7rocprim17ROCPRIM_400000_NS6detail17trampoline_kernelINS0_14default_configENS1_22reduce_config_selectorIN6thrust23THRUST_200600_302600_NS5tupleIblNS6_9null_typeES8_S8_S8_S8_S8_S8_S8_EEEEZNS1_11reduce_implILb1ES3_NS6_12zip_iteratorINS7_INS6_11hip_rocprim26transform_input_iterator_tIbNSD_35transform_pair_of_input_iterators_tIbNS6_6detail15normal_iteratorINS6_10device_ptrIKtEEEESL_NS6_8equal_toItEEEENSG_9not_fun_tINSD_8identityEEEEENSD_19counting_iterator_tIlEES8_S8_S8_S8_S8_S8_S8_S8_EEEEPS9_S9_NSD_9__find_if7functorIS9_EEEE10hipError_tPvRmT1_T2_T3_mT4_P12ihipStream_tbEUlT_E1_NS1_11comp_targetILNS1_3genE4ELNS1_11target_archE910ELNS1_3gpuE8ELNS1_3repE0EEENS1_30default_config_static_selectorELNS0_4arch9wavefront6targetE0EEEvS14_,comdat
	.protected	_ZN7rocprim17ROCPRIM_400000_NS6detail17trampoline_kernelINS0_14default_configENS1_22reduce_config_selectorIN6thrust23THRUST_200600_302600_NS5tupleIblNS6_9null_typeES8_S8_S8_S8_S8_S8_S8_EEEEZNS1_11reduce_implILb1ES3_NS6_12zip_iteratorINS7_INS6_11hip_rocprim26transform_input_iterator_tIbNSD_35transform_pair_of_input_iterators_tIbNS6_6detail15normal_iteratorINS6_10device_ptrIKtEEEESL_NS6_8equal_toItEEEENSG_9not_fun_tINSD_8identityEEEEENSD_19counting_iterator_tIlEES8_S8_S8_S8_S8_S8_S8_S8_EEEEPS9_S9_NSD_9__find_if7functorIS9_EEEE10hipError_tPvRmT1_T2_T3_mT4_P12ihipStream_tbEUlT_E1_NS1_11comp_targetILNS1_3genE4ELNS1_11target_archE910ELNS1_3gpuE8ELNS1_3repE0EEENS1_30default_config_static_selectorELNS0_4arch9wavefront6targetE0EEEvS14_ ; -- Begin function _ZN7rocprim17ROCPRIM_400000_NS6detail17trampoline_kernelINS0_14default_configENS1_22reduce_config_selectorIN6thrust23THRUST_200600_302600_NS5tupleIblNS6_9null_typeES8_S8_S8_S8_S8_S8_S8_EEEEZNS1_11reduce_implILb1ES3_NS6_12zip_iteratorINS7_INS6_11hip_rocprim26transform_input_iterator_tIbNSD_35transform_pair_of_input_iterators_tIbNS6_6detail15normal_iteratorINS6_10device_ptrIKtEEEESL_NS6_8equal_toItEEEENSG_9not_fun_tINSD_8identityEEEEENSD_19counting_iterator_tIlEES8_S8_S8_S8_S8_S8_S8_S8_EEEEPS9_S9_NSD_9__find_if7functorIS9_EEEE10hipError_tPvRmT1_T2_T3_mT4_P12ihipStream_tbEUlT_E1_NS1_11comp_targetILNS1_3genE4ELNS1_11target_archE910ELNS1_3gpuE8ELNS1_3repE0EEENS1_30default_config_static_selectorELNS0_4arch9wavefront6targetE0EEEvS14_
	.globl	_ZN7rocprim17ROCPRIM_400000_NS6detail17trampoline_kernelINS0_14default_configENS1_22reduce_config_selectorIN6thrust23THRUST_200600_302600_NS5tupleIblNS6_9null_typeES8_S8_S8_S8_S8_S8_S8_EEEEZNS1_11reduce_implILb1ES3_NS6_12zip_iteratorINS7_INS6_11hip_rocprim26transform_input_iterator_tIbNSD_35transform_pair_of_input_iterators_tIbNS6_6detail15normal_iteratorINS6_10device_ptrIKtEEEESL_NS6_8equal_toItEEEENSG_9not_fun_tINSD_8identityEEEEENSD_19counting_iterator_tIlEES8_S8_S8_S8_S8_S8_S8_S8_EEEEPS9_S9_NSD_9__find_if7functorIS9_EEEE10hipError_tPvRmT1_T2_T3_mT4_P12ihipStream_tbEUlT_E1_NS1_11comp_targetILNS1_3genE4ELNS1_11target_archE910ELNS1_3gpuE8ELNS1_3repE0EEENS1_30default_config_static_selectorELNS0_4arch9wavefront6targetE0EEEvS14_
	.p2align	8
	.type	_ZN7rocprim17ROCPRIM_400000_NS6detail17trampoline_kernelINS0_14default_configENS1_22reduce_config_selectorIN6thrust23THRUST_200600_302600_NS5tupleIblNS6_9null_typeES8_S8_S8_S8_S8_S8_S8_EEEEZNS1_11reduce_implILb1ES3_NS6_12zip_iteratorINS7_INS6_11hip_rocprim26transform_input_iterator_tIbNSD_35transform_pair_of_input_iterators_tIbNS6_6detail15normal_iteratorINS6_10device_ptrIKtEEEESL_NS6_8equal_toItEEEENSG_9not_fun_tINSD_8identityEEEEENSD_19counting_iterator_tIlEES8_S8_S8_S8_S8_S8_S8_S8_EEEEPS9_S9_NSD_9__find_if7functorIS9_EEEE10hipError_tPvRmT1_T2_T3_mT4_P12ihipStream_tbEUlT_E1_NS1_11comp_targetILNS1_3genE4ELNS1_11target_archE910ELNS1_3gpuE8ELNS1_3repE0EEENS1_30default_config_static_selectorELNS0_4arch9wavefront6targetE0EEEvS14_,@function
_ZN7rocprim17ROCPRIM_400000_NS6detail17trampoline_kernelINS0_14default_configENS1_22reduce_config_selectorIN6thrust23THRUST_200600_302600_NS5tupleIblNS6_9null_typeES8_S8_S8_S8_S8_S8_S8_EEEEZNS1_11reduce_implILb1ES3_NS6_12zip_iteratorINS7_INS6_11hip_rocprim26transform_input_iterator_tIbNSD_35transform_pair_of_input_iterators_tIbNS6_6detail15normal_iteratorINS6_10device_ptrIKtEEEESL_NS6_8equal_toItEEEENSG_9not_fun_tINSD_8identityEEEEENSD_19counting_iterator_tIlEES8_S8_S8_S8_S8_S8_S8_S8_EEEEPS9_S9_NSD_9__find_if7functorIS9_EEEE10hipError_tPvRmT1_T2_T3_mT4_P12ihipStream_tbEUlT_E1_NS1_11comp_targetILNS1_3genE4ELNS1_11target_archE910ELNS1_3gpuE8ELNS1_3repE0EEENS1_30default_config_static_selectorELNS0_4arch9wavefront6targetE0EEEvS14_: ; @_ZN7rocprim17ROCPRIM_400000_NS6detail17trampoline_kernelINS0_14default_configENS1_22reduce_config_selectorIN6thrust23THRUST_200600_302600_NS5tupleIblNS6_9null_typeES8_S8_S8_S8_S8_S8_S8_EEEEZNS1_11reduce_implILb1ES3_NS6_12zip_iteratorINS7_INS6_11hip_rocprim26transform_input_iterator_tIbNSD_35transform_pair_of_input_iterators_tIbNS6_6detail15normal_iteratorINS6_10device_ptrIKtEEEESL_NS6_8equal_toItEEEENSG_9not_fun_tINSD_8identityEEEEENSD_19counting_iterator_tIlEES8_S8_S8_S8_S8_S8_S8_S8_EEEEPS9_S9_NSD_9__find_if7functorIS9_EEEE10hipError_tPvRmT1_T2_T3_mT4_P12ihipStream_tbEUlT_E1_NS1_11comp_targetILNS1_3genE4ELNS1_11target_archE910ELNS1_3gpuE8ELNS1_3repE0EEENS1_30default_config_static_selectorELNS0_4arch9wavefront6targetE0EEEvS14_
; %bb.0:
	.section	.rodata,"a",@progbits
	.p2align	6, 0x0
	.amdhsa_kernel _ZN7rocprim17ROCPRIM_400000_NS6detail17trampoline_kernelINS0_14default_configENS1_22reduce_config_selectorIN6thrust23THRUST_200600_302600_NS5tupleIblNS6_9null_typeES8_S8_S8_S8_S8_S8_S8_EEEEZNS1_11reduce_implILb1ES3_NS6_12zip_iteratorINS7_INS6_11hip_rocprim26transform_input_iterator_tIbNSD_35transform_pair_of_input_iterators_tIbNS6_6detail15normal_iteratorINS6_10device_ptrIKtEEEESL_NS6_8equal_toItEEEENSG_9not_fun_tINSD_8identityEEEEENSD_19counting_iterator_tIlEES8_S8_S8_S8_S8_S8_S8_S8_EEEEPS9_S9_NSD_9__find_if7functorIS9_EEEE10hipError_tPvRmT1_T2_T3_mT4_P12ihipStream_tbEUlT_E1_NS1_11comp_targetILNS1_3genE4ELNS1_11target_archE910ELNS1_3gpuE8ELNS1_3repE0EEENS1_30default_config_static_selectorELNS0_4arch9wavefront6targetE0EEEvS14_
		.amdhsa_group_segment_fixed_size 0
		.amdhsa_private_segment_fixed_size 0
		.amdhsa_kernarg_size 88
		.amdhsa_user_sgpr_count 2
		.amdhsa_user_sgpr_dispatch_ptr 0
		.amdhsa_user_sgpr_queue_ptr 0
		.amdhsa_user_sgpr_kernarg_segment_ptr 1
		.amdhsa_user_sgpr_dispatch_id 0
		.amdhsa_user_sgpr_kernarg_preload_length 0
		.amdhsa_user_sgpr_kernarg_preload_offset 0
		.amdhsa_user_sgpr_private_segment_size 0
		.amdhsa_wavefront_size32 1
		.amdhsa_uses_dynamic_stack 0
		.amdhsa_enable_private_segment 0
		.amdhsa_system_sgpr_workgroup_id_x 1
		.amdhsa_system_sgpr_workgroup_id_y 0
		.amdhsa_system_sgpr_workgroup_id_z 0
		.amdhsa_system_sgpr_workgroup_info 0
		.amdhsa_system_vgpr_workitem_id 0
		.amdhsa_next_free_vgpr 1
		.amdhsa_next_free_sgpr 1
		.amdhsa_named_barrier_count 0
		.amdhsa_reserve_vcc 0
		.amdhsa_float_round_mode_32 0
		.amdhsa_float_round_mode_16_64 0
		.amdhsa_float_denorm_mode_32 3
		.amdhsa_float_denorm_mode_16_64 3
		.amdhsa_fp16_overflow 0
		.amdhsa_memory_ordered 1
		.amdhsa_forward_progress 1
		.amdhsa_inst_pref_size 0
		.amdhsa_round_robin_scheduling 0
		.amdhsa_exception_fp_ieee_invalid_op 0
		.amdhsa_exception_fp_denorm_src 0
		.amdhsa_exception_fp_ieee_div_zero 0
		.amdhsa_exception_fp_ieee_overflow 0
		.amdhsa_exception_fp_ieee_underflow 0
		.amdhsa_exception_fp_ieee_inexact 0
		.amdhsa_exception_int_div_zero 0
	.end_amdhsa_kernel
	.section	.text._ZN7rocprim17ROCPRIM_400000_NS6detail17trampoline_kernelINS0_14default_configENS1_22reduce_config_selectorIN6thrust23THRUST_200600_302600_NS5tupleIblNS6_9null_typeES8_S8_S8_S8_S8_S8_S8_EEEEZNS1_11reduce_implILb1ES3_NS6_12zip_iteratorINS7_INS6_11hip_rocprim26transform_input_iterator_tIbNSD_35transform_pair_of_input_iterators_tIbNS6_6detail15normal_iteratorINS6_10device_ptrIKtEEEESL_NS6_8equal_toItEEEENSG_9not_fun_tINSD_8identityEEEEENSD_19counting_iterator_tIlEES8_S8_S8_S8_S8_S8_S8_S8_EEEEPS9_S9_NSD_9__find_if7functorIS9_EEEE10hipError_tPvRmT1_T2_T3_mT4_P12ihipStream_tbEUlT_E1_NS1_11comp_targetILNS1_3genE4ELNS1_11target_archE910ELNS1_3gpuE8ELNS1_3repE0EEENS1_30default_config_static_selectorELNS0_4arch9wavefront6targetE0EEEvS14_,"axG",@progbits,_ZN7rocprim17ROCPRIM_400000_NS6detail17trampoline_kernelINS0_14default_configENS1_22reduce_config_selectorIN6thrust23THRUST_200600_302600_NS5tupleIblNS6_9null_typeES8_S8_S8_S8_S8_S8_S8_EEEEZNS1_11reduce_implILb1ES3_NS6_12zip_iteratorINS7_INS6_11hip_rocprim26transform_input_iterator_tIbNSD_35transform_pair_of_input_iterators_tIbNS6_6detail15normal_iteratorINS6_10device_ptrIKtEEEESL_NS6_8equal_toItEEEENSG_9not_fun_tINSD_8identityEEEEENSD_19counting_iterator_tIlEES8_S8_S8_S8_S8_S8_S8_S8_EEEEPS9_S9_NSD_9__find_if7functorIS9_EEEE10hipError_tPvRmT1_T2_T3_mT4_P12ihipStream_tbEUlT_E1_NS1_11comp_targetILNS1_3genE4ELNS1_11target_archE910ELNS1_3gpuE8ELNS1_3repE0EEENS1_30default_config_static_selectorELNS0_4arch9wavefront6targetE0EEEvS14_,comdat
.Lfunc_end199:
	.size	_ZN7rocprim17ROCPRIM_400000_NS6detail17trampoline_kernelINS0_14default_configENS1_22reduce_config_selectorIN6thrust23THRUST_200600_302600_NS5tupleIblNS6_9null_typeES8_S8_S8_S8_S8_S8_S8_EEEEZNS1_11reduce_implILb1ES3_NS6_12zip_iteratorINS7_INS6_11hip_rocprim26transform_input_iterator_tIbNSD_35transform_pair_of_input_iterators_tIbNS6_6detail15normal_iteratorINS6_10device_ptrIKtEEEESL_NS6_8equal_toItEEEENSG_9not_fun_tINSD_8identityEEEEENSD_19counting_iterator_tIlEES8_S8_S8_S8_S8_S8_S8_S8_EEEEPS9_S9_NSD_9__find_if7functorIS9_EEEE10hipError_tPvRmT1_T2_T3_mT4_P12ihipStream_tbEUlT_E1_NS1_11comp_targetILNS1_3genE4ELNS1_11target_archE910ELNS1_3gpuE8ELNS1_3repE0EEENS1_30default_config_static_selectorELNS0_4arch9wavefront6targetE0EEEvS14_, .Lfunc_end199-_ZN7rocprim17ROCPRIM_400000_NS6detail17trampoline_kernelINS0_14default_configENS1_22reduce_config_selectorIN6thrust23THRUST_200600_302600_NS5tupleIblNS6_9null_typeES8_S8_S8_S8_S8_S8_S8_EEEEZNS1_11reduce_implILb1ES3_NS6_12zip_iteratorINS7_INS6_11hip_rocprim26transform_input_iterator_tIbNSD_35transform_pair_of_input_iterators_tIbNS6_6detail15normal_iteratorINS6_10device_ptrIKtEEEESL_NS6_8equal_toItEEEENSG_9not_fun_tINSD_8identityEEEEENSD_19counting_iterator_tIlEES8_S8_S8_S8_S8_S8_S8_S8_EEEEPS9_S9_NSD_9__find_if7functorIS9_EEEE10hipError_tPvRmT1_T2_T3_mT4_P12ihipStream_tbEUlT_E1_NS1_11comp_targetILNS1_3genE4ELNS1_11target_archE910ELNS1_3gpuE8ELNS1_3repE0EEENS1_30default_config_static_selectorELNS0_4arch9wavefront6targetE0EEEvS14_
                                        ; -- End function
	.set _ZN7rocprim17ROCPRIM_400000_NS6detail17trampoline_kernelINS0_14default_configENS1_22reduce_config_selectorIN6thrust23THRUST_200600_302600_NS5tupleIblNS6_9null_typeES8_S8_S8_S8_S8_S8_S8_EEEEZNS1_11reduce_implILb1ES3_NS6_12zip_iteratorINS7_INS6_11hip_rocprim26transform_input_iterator_tIbNSD_35transform_pair_of_input_iterators_tIbNS6_6detail15normal_iteratorINS6_10device_ptrIKtEEEESL_NS6_8equal_toItEEEENSG_9not_fun_tINSD_8identityEEEEENSD_19counting_iterator_tIlEES8_S8_S8_S8_S8_S8_S8_S8_EEEEPS9_S9_NSD_9__find_if7functorIS9_EEEE10hipError_tPvRmT1_T2_T3_mT4_P12ihipStream_tbEUlT_E1_NS1_11comp_targetILNS1_3genE4ELNS1_11target_archE910ELNS1_3gpuE8ELNS1_3repE0EEENS1_30default_config_static_selectorELNS0_4arch9wavefront6targetE0EEEvS14_.num_vgpr, 0
	.set _ZN7rocprim17ROCPRIM_400000_NS6detail17trampoline_kernelINS0_14default_configENS1_22reduce_config_selectorIN6thrust23THRUST_200600_302600_NS5tupleIblNS6_9null_typeES8_S8_S8_S8_S8_S8_S8_EEEEZNS1_11reduce_implILb1ES3_NS6_12zip_iteratorINS7_INS6_11hip_rocprim26transform_input_iterator_tIbNSD_35transform_pair_of_input_iterators_tIbNS6_6detail15normal_iteratorINS6_10device_ptrIKtEEEESL_NS6_8equal_toItEEEENSG_9not_fun_tINSD_8identityEEEEENSD_19counting_iterator_tIlEES8_S8_S8_S8_S8_S8_S8_S8_EEEEPS9_S9_NSD_9__find_if7functorIS9_EEEE10hipError_tPvRmT1_T2_T3_mT4_P12ihipStream_tbEUlT_E1_NS1_11comp_targetILNS1_3genE4ELNS1_11target_archE910ELNS1_3gpuE8ELNS1_3repE0EEENS1_30default_config_static_selectorELNS0_4arch9wavefront6targetE0EEEvS14_.num_agpr, 0
	.set _ZN7rocprim17ROCPRIM_400000_NS6detail17trampoline_kernelINS0_14default_configENS1_22reduce_config_selectorIN6thrust23THRUST_200600_302600_NS5tupleIblNS6_9null_typeES8_S8_S8_S8_S8_S8_S8_EEEEZNS1_11reduce_implILb1ES3_NS6_12zip_iteratorINS7_INS6_11hip_rocprim26transform_input_iterator_tIbNSD_35transform_pair_of_input_iterators_tIbNS6_6detail15normal_iteratorINS6_10device_ptrIKtEEEESL_NS6_8equal_toItEEEENSG_9not_fun_tINSD_8identityEEEEENSD_19counting_iterator_tIlEES8_S8_S8_S8_S8_S8_S8_S8_EEEEPS9_S9_NSD_9__find_if7functorIS9_EEEE10hipError_tPvRmT1_T2_T3_mT4_P12ihipStream_tbEUlT_E1_NS1_11comp_targetILNS1_3genE4ELNS1_11target_archE910ELNS1_3gpuE8ELNS1_3repE0EEENS1_30default_config_static_selectorELNS0_4arch9wavefront6targetE0EEEvS14_.numbered_sgpr, 0
	.set _ZN7rocprim17ROCPRIM_400000_NS6detail17trampoline_kernelINS0_14default_configENS1_22reduce_config_selectorIN6thrust23THRUST_200600_302600_NS5tupleIblNS6_9null_typeES8_S8_S8_S8_S8_S8_S8_EEEEZNS1_11reduce_implILb1ES3_NS6_12zip_iteratorINS7_INS6_11hip_rocprim26transform_input_iterator_tIbNSD_35transform_pair_of_input_iterators_tIbNS6_6detail15normal_iteratorINS6_10device_ptrIKtEEEESL_NS6_8equal_toItEEEENSG_9not_fun_tINSD_8identityEEEEENSD_19counting_iterator_tIlEES8_S8_S8_S8_S8_S8_S8_S8_EEEEPS9_S9_NSD_9__find_if7functorIS9_EEEE10hipError_tPvRmT1_T2_T3_mT4_P12ihipStream_tbEUlT_E1_NS1_11comp_targetILNS1_3genE4ELNS1_11target_archE910ELNS1_3gpuE8ELNS1_3repE0EEENS1_30default_config_static_selectorELNS0_4arch9wavefront6targetE0EEEvS14_.num_named_barrier, 0
	.set _ZN7rocprim17ROCPRIM_400000_NS6detail17trampoline_kernelINS0_14default_configENS1_22reduce_config_selectorIN6thrust23THRUST_200600_302600_NS5tupleIblNS6_9null_typeES8_S8_S8_S8_S8_S8_S8_EEEEZNS1_11reduce_implILb1ES3_NS6_12zip_iteratorINS7_INS6_11hip_rocprim26transform_input_iterator_tIbNSD_35transform_pair_of_input_iterators_tIbNS6_6detail15normal_iteratorINS6_10device_ptrIKtEEEESL_NS6_8equal_toItEEEENSG_9not_fun_tINSD_8identityEEEEENSD_19counting_iterator_tIlEES8_S8_S8_S8_S8_S8_S8_S8_EEEEPS9_S9_NSD_9__find_if7functorIS9_EEEE10hipError_tPvRmT1_T2_T3_mT4_P12ihipStream_tbEUlT_E1_NS1_11comp_targetILNS1_3genE4ELNS1_11target_archE910ELNS1_3gpuE8ELNS1_3repE0EEENS1_30default_config_static_selectorELNS0_4arch9wavefront6targetE0EEEvS14_.private_seg_size, 0
	.set _ZN7rocprim17ROCPRIM_400000_NS6detail17trampoline_kernelINS0_14default_configENS1_22reduce_config_selectorIN6thrust23THRUST_200600_302600_NS5tupleIblNS6_9null_typeES8_S8_S8_S8_S8_S8_S8_EEEEZNS1_11reduce_implILb1ES3_NS6_12zip_iteratorINS7_INS6_11hip_rocprim26transform_input_iterator_tIbNSD_35transform_pair_of_input_iterators_tIbNS6_6detail15normal_iteratorINS6_10device_ptrIKtEEEESL_NS6_8equal_toItEEEENSG_9not_fun_tINSD_8identityEEEEENSD_19counting_iterator_tIlEES8_S8_S8_S8_S8_S8_S8_S8_EEEEPS9_S9_NSD_9__find_if7functorIS9_EEEE10hipError_tPvRmT1_T2_T3_mT4_P12ihipStream_tbEUlT_E1_NS1_11comp_targetILNS1_3genE4ELNS1_11target_archE910ELNS1_3gpuE8ELNS1_3repE0EEENS1_30default_config_static_selectorELNS0_4arch9wavefront6targetE0EEEvS14_.uses_vcc, 0
	.set _ZN7rocprim17ROCPRIM_400000_NS6detail17trampoline_kernelINS0_14default_configENS1_22reduce_config_selectorIN6thrust23THRUST_200600_302600_NS5tupleIblNS6_9null_typeES8_S8_S8_S8_S8_S8_S8_EEEEZNS1_11reduce_implILb1ES3_NS6_12zip_iteratorINS7_INS6_11hip_rocprim26transform_input_iterator_tIbNSD_35transform_pair_of_input_iterators_tIbNS6_6detail15normal_iteratorINS6_10device_ptrIKtEEEESL_NS6_8equal_toItEEEENSG_9not_fun_tINSD_8identityEEEEENSD_19counting_iterator_tIlEES8_S8_S8_S8_S8_S8_S8_S8_EEEEPS9_S9_NSD_9__find_if7functorIS9_EEEE10hipError_tPvRmT1_T2_T3_mT4_P12ihipStream_tbEUlT_E1_NS1_11comp_targetILNS1_3genE4ELNS1_11target_archE910ELNS1_3gpuE8ELNS1_3repE0EEENS1_30default_config_static_selectorELNS0_4arch9wavefront6targetE0EEEvS14_.uses_flat_scratch, 0
	.set _ZN7rocprim17ROCPRIM_400000_NS6detail17trampoline_kernelINS0_14default_configENS1_22reduce_config_selectorIN6thrust23THRUST_200600_302600_NS5tupleIblNS6_9null_typeES8_S8_S8_S8_S8_S8_S8_EEEEZNS1_11reduce_implILb1ES3_NS6_12zip_iteratorINS7_INS6_11hip_rocprim26transform_input_iterator_tIbNSD_35transform_pair_of_input_iterators_tIbNS6_6detail15normal_iteratorINS6_10device_ptrIKtEEEESL_NS6_8equal_toItEEEENSG_9not_fun_tINSD_8identityEEEEENSD_19counting_iterator_tIlEES8_S8_S8_S8_S8_S8_S8_S8_EEEEPS9_S9_NSD_9__find_if7functorIS9_EEEE10hipError_tPvRmT1_T2_T3_mT4_P12ihipStream_tbEUlT_E1_NS1_11comp_targetILNS1_3genE4ELNS1_11target_archE910ELNS1_3gpuE8ELNS1_3repE0EEENS1_30default_config_static_selectorELNS0_4arch9wavefront6targetE0EEEvS14_.has_dyn_sized_stack, 0
	.set _ZN7rocprim17ROCPRIM_400000_NS6detail17trampoline_kernelINS0_14default_configENS1_22reduce_config_selectorIN6thrust23THRUST_200600_302600_NS5tupleIblNS6_9null_typeES8_S8_S8_S8_S8_S8_S8_EEEEZNS1_11reduce_implILb1ES3_NS6_12zip_iteratorINS7_INS6_11hip_rocprim26transform_input_iterator_tIbNSD_35transform_pair_of_input_iterators_tIbNS6_6detail15normal_iteratorINS6_10device_ptrIKtEEEESL_NS6_8equal_toItEEEENSG_9not_fun_tINSD_8identityEEEEENSD_19counting_iterator_tIlEES8_S8_S8_S8_S8_S8_S8_S8_EEEEPS9_S9_NSD_9__find_if7functorIS9_EEEE10hipError_tPvRmT1_T2_T3_mT4_P12ihipStream_tbEUlT_E1_NS1_11comp_targetILNS1_3genE4ELNS1_11target_archE910ELNS1_3gpuE8ELNS1_3repE0EEENS1_30default_config_static_selectorELNS0_4arch9wavefront6targetE0EEEvS14_.has_recursion, 0
	.set _ZN7rocprim17ROCPRIM_400000_NS6detail17trampoline_kernelINS0_14default_configENS1_22reduce_config_selectorIN6thrust23THRUST_200600_302600_NS5tupleIblNS6_9null_typeES8_S8_S8_S8_S8_S8_S8_EEEEZNS1_11reduce_implILb1ES3_NS6_12zip_iteratorINS7_INS6_11hip_rocprim26transform_input_iterator_tIbNSD_35transform_pair_of_input_iterators_tIbNS6_6detail15normal_iteratorINS6_10device_ptrIKtEEEESL_NS6_8equal_toItEEEENSG_9not_fun_tINSD_8identityEEEEENSD_19counting_iterator_tIlEES8_S8_S8_S8_S8_S8_S8_S8_EEEEPS9_S9_NSD_9__find_if7functorIS9_EEEE10hipError_tPvRmT1_T2_T3_mT4_P12ihipStream_tbEUlT_E1_NS1_11comp_targetILNS1_3genE4ELNS1_11target_archE910ELNS1_3gpuE8ELNS1_3repE0EEENS1_30default_config_static_selectorELNS0_4arch9wavefront6targetE0EEEvS14_.has_indirect_call, 0
	.section	.AMDGPU.csdata,"",@progbits
; Kernel info:
; codeLenInByte = 0
; TotalNumSgprs: 0
; NumVgprs: 0
; ScratchSize: 0
; MemoryBound: 0
; FloatMode: 240
; IeeeMode: 1
; LDSByteSize: 0 bytes/workgroup (compile time only)
; SGPRBlocks: 0
; VGPRBlocks: 0
; NumSGPRsForWavesPerEU: 1
; NumVGPRsForWavesPerEU: 1
; NamedBarCnt: 0
; Occupancy: 16
; WaveLimiterHint : 0
; COMPUTE_PGM_RSRC2:SCRATCH_EN: 0
; COMPUTE_PGM_RSRC2:USER_SGPR: 2
; COMPUTE_PGM_RSRC2:TRAP_HANDLER: 0
; COMPUTE_PGM_RSRC2:TGID_X_EN: 1
; COMPUTE_PGM_RSRC2:TGID_Y_EN: 0
; COMPUTE_PGM_RSRC2:TGID_Z_EN: 0
; COMPUTE_PGM_RSRC2:TIDIG_COMP_CNT: 0
	.section	.text._ZN7rocprim17ROCPRIM_400000_NS6detail17trampoline_kernelINS0_14default_configENS1_22reduce_config_selectorIN6thrust23THRUST_200600_302600_NS5tupleIblNS6_9null_typeES8_S8_S8_S8_S8_S8_S8_EEEEZNS1_11reduce_implILb1ES3_NS6_12zip_iteratorINS7_INS6_11hip_rocprim26transform_input_iterator_tIbNSD_35transform_pair_of_input_iterators_tIbNS6_6detail15normal_iteratorINS6_10device_ptrIKtEEEESL_NS6_8equal_toItEEEENSG_9not_fun_tINSD_8identityEEEEENSD_19counting_iterator_tIlEES8_S8_S8_S8_S8_S8_S8_S8_EEEEPS9_S9_NSD_9__find_if7functorIS9_EEEE10hipError_tPvRmT1_T2_T3_mT4_P12ihipStream_tbEUlT_E1_NS1_11comp_targetILNS1_3genE3ELNS1_11target_archE908ELNS1_3gpuE7ELNS1_3repE0EEENS1_30default_config_static_selectorELNS0_4arch9wavefront6targetE0EEEvS14_,"axG",@progbits,_ZN7rocprim17ROCPRIM_400000_NS6detail17trampoline_kernelINS0_14default_configENS1_22reduce_config_selectorIN6thrust23THRUST_200600_302600_NS5tupleIblNS6_9null_typeES8_S8_S8_S8_S8_S8_S8_EEEEZNS1_11reduce_implILb1ES3_NS6_12zip_iteratorINS7_INS6_11hip_rocprim26transform_input_iterator_tIbNSD_35transform_pair_of_input_iterators_tIbNS6_6detail15normal_iteratorINS6_10device_ptrIKtEEEESL_NS6_8equal_toItEEEENSG_9not_fun_tINSD_8identityEEEEENSD_19counting_iterator_tIlEES8_S8_S8_S8_S8_S8_S8_S8_EEEEPS9_S9_NSD_9__find_if7functorIS9_EEEE10hipError_tPvRmT1_T2_T3_mT4_P12ihipStream_tbEUlT_E1_NS1_11comp_targetILNS1_3genE3ELNS1_11target_archE908ELNS1_3gpuE7ELNS1_3repE0EEENS1_30default_config_static_selectorELNS0_4arch9wavefront6targetE0EEEvS14_,comdat
	.protected	_ZN7rocprim17ROCPRIM_400000_NS6detail17trampoline_kernelINS0_14default_configENS1_22reduce_config_selectorIN6thrust23THRUST_200600_302600_NS5tupleIblNS6_9null_typeES8_S8_S8_S8_S8_S8_S8_EEEEZNS1_11reduce_implILb1ES3_NS6_12zip_iteratorINS7_INS6_11hip_rocprim26transform_input_iterator_tIbNSD_35transform_pair_of_input_iterators_tIbNS6_6detail15normal_iteratorINS6_10device_ptrIKtEEEESL_NS6_8equal_toItEEEENSG_9not_fun_tINSD_8identityEEEEENSD_19counting_iterator_tIlEES8_S8_S8_S8_S8_S8_S8_S8_EEEEPS9_S9_NSD_9__find_if7functorIS9_EEEE10hipError_tPvRmT1_T2_T3_mT4_P12ihipStream_tbEUlT_E1_NS1_11comp_targetILNS1_3genE3ELNS1_11target_archE908ELNS1_3gpuE7ELNS1_3repE0EEENS1_30default_config_static_selectorELNS0_4arch9wavefront6targetE0EEEvS14_ ; -- Begin function _ZN7rocprim17ROCPRIM_400000_NS6detail17trampoline_kernelINS0_14default_configENS1_22reduce_config_selectorIN6thrust23THRUST_200600_302600_NS5tupleIblNS6_9null_typeES8_S8_S8_S8_S8_S8_S8_EEEEZNS1_11reduce_implILb1ES3_NS6_12zip_iteratorINS7_INS6_11hip_rocprim26transform_input_iterator_tIbNSD_35transform_pair_of_input_iterators_tIbNS6_6detail15normal_iteratorINS6_10device_ptrIKtEEEESL_NS6_8equal_toItEEEENSG_9not_fun_tINSD_8identityEEEEENSD_19counting_iterator_tIlEES8_S8_S8_S8_S8_S8_S8_S8_EEEEPS9_S9_NSD_9__find_if7functorIS9_EEEE10hipError_tPvRmT1_T2_T3_mT4_P12ihipStream_tbEUlT_E1_NS1_11comp_targetILNS1_3genE3ELNS1_11target_archE908ELNS1_3gpuE7ELNS1_3repE0EEENS1_30default_config_static_selectorELNS0_4arch9wavefront6targetE0EEEvS14_
	.globl	_ZN7rocprim17ROCPRIM_400000_NS6detail17trampoline_kernelINS0_14default_configENS1_22reduce_config_selectorIN6thrust23THRUST_200600_302600_NS5tupleIblNS6_9null_typeES8_S8_S8_S8_S8_S8_S8_EEEEZNS1_11reduce_implILb1ES3_NS6_12zip_iteratorINS7_INS6_11hip_rocprim26transform_input_iterator_tIbNSD_35transform_pair_of_input_iterators_tIbNS6_6detail15normal_iteratorINS6_10device_ptrIKtEEEESL_NS6_8equal_toItEEEENSG_9not_fun_tINSD_8identityEEEEENSD_19counting_iterator_tIlEES8_S8_S8_S8_S8_S8_S8_S8_EEEEPS9_S9_NSD_9__find_if7functorIS9_EEEE10hipError_tPvRmT1_T2_T3_mT4_P12ihipStream_tbEUlT_E1_NS1_11comp_targetILNS1_3genE3ELNS1_11target_archE908ELNS1_3gpuE7ELNS1_3repE0EEENS1_30default_config_static_selectorELNS0_4arch9wavefront6targetE0EEEvS14_
	.p2align	8
	.type	_ZN7rocprim17ROCPRIM_400000_NS6detail17trampoline_kernelINS0_14default_configENS1_22reduce_config_selectorIN6thrust23THRUST_200600_302600_NS5tupleIblNS6_9null_typeES8_S8_S8_S8_S8_S8_S8_EEEEZNS1_11reduce_implILb1ES3_NS6_12zip_iteratorINS7_INS6_11hip_rocprim26transform_input_iterator_tIbNSD_35transform_pair_of_input_iterators_tIbNS6_6detail15normal_iteratorINS6_10device_ptrIKtEEEESL_NS6_8equal_toItEEEENSG_9not_fun_tINSD_8identityEEEEENSD_19counting_iterator_tIlEES8_S8_S8_S8_S8_S8_S8_S8_EEEEPS9_S9_NSD_9__find_if7functorIS9_EEEE10hipError_tPvRmT1_T2_T3_mT4_P12ihipStream_tbEUlT_E1_NS1_11comp_targetILNS1_3genE3ELNS1_11target_archE908ELNS1_3gpuE7ELNS1_3repE0EEENS1_30default_config_static_selectorELNS0_4arch9wavefront6targetE0EEEvS14_,@function
_ZN7rocprim17ROCPRIM_400000_NS6detail17trampoline_kernelINS0_14default_configENS1_22reduce_config_selectorIN6thrust23THRUST_200600_302600_NS5tupleIblNS6_9null_typeES8_S8_S8_S8_S8_S8_S8_EEEEZNS1_11reduce_implILb1ES3_NS6_12zip_iteratorINS7_INS6_11hip_rocprim26transform_input_iterator_tIbNSD_35transform_pair_of_input_iterators_tIbNS6_6detail15normal_iteratorINS6_10device_ptrIKtEEEESL_NS6_8equal_toItEEEENSG_9not_fun_tINSD_8identityEEEEENSD_19counting_iterator_tIlEES8_S8_S8_S8_S8_S8_S8_S8_EEEEPS9_S9_NSD_9__find_if7functorIS9_EEEE10hipError_tPvRmT1_T2_T3_mT4_P12ihipStream_tbEUlT_E1_NS1_11comp_targetILNS1_3genE3ELNS1_11target_archE908ELNS1_3gpuE7ELNS1_3repE0EEENS1_30default_config_static_selectorELNS0_4arch9wavefront6targetE0EEEvS14_: ; @_ZN7rocprim17ROCPRIM_400000_NS6detail17trampoline_kernelINS0_14default_configENS1_22reduce_config_selectorIN6thrust23THRUST_200600_302600_NS5tupleIblNS6_9null_typeES8_S8_S8_S8_S8_S8_S8_EEEEZNS1_11reduce_implILb1ES3_NS6_12zip_iteratorINS7_INS6_11hip_rocprim26transform_input_iterator_tIbNSD_35transform_pair_of_input_iterators_tIbNS6_6detail15normal_iteratorINS6_10device_ptrIKtEEEESL_NS6_8equal_toItEEEENSG_9not_fun_tINSD_8identityEEEEENSD_19counting_iterator_tIlEES8_S8_S8_S8_S8_S8_S8_S8_EEEEPS9_S9_NSD_9__find_if7functorIS9_EEEE10hipError_tPvRmT1_T2_T3_mT4_P12ihipStream_tbEUlT_E1_NS1_11comp_targetILNS1_3genE3ELNS1_11target_archE908ELNS1_3gpuE7ELNS1_3repE0EEENS1_30default_config_static_selectorELNS0_4arch9wavefront6targetE0EEEvS14_
; %bb.0:
	.section	.rodata,"a",@progbits
	.p2align	6, 0x0
	.amdhsa_kernel _ZN7rocprim17ROCPRIM_400000_NS6detail17trampoline_kernelINS0_14default_configENS1_22reduce_config_selectorIN6thrust23THRUST_200600_302600_NS5tupleIblNS6_9null_typeES8_S8_S8_S8_S8_S8_S8_EEEEZNS1_11reduce_implILb1ES3_NS6_12zip_iteratorINS7_INS6_11hip_rocprim26transform_input_iterator_tIbNSD_35transform_pair_of_input_iterators_tIbNS6_6detail15normal_iteratorINS6_10device_ptrIKtEEEESL_NS6_8equal_toItEEEENSG_9not_fun_tINSD_8identityEEEEENSD_19counting_iterator_tIlEES8_S8_S8_S8_S8_S8_S8_S8_EEEEPS9_S9_NSD_9__find_if7functorIS9_EEEE10hipError_tPvRmT1_T2_T3_mT4_P12ihipStream_tbEUlT_E1_NS1_11comp_targetILNS1_3genE3ELNS1_11target_archE908ELNS1_3gpuE7ELNS1_3repE0EEENS1_30default_config_static_selectorELNS0_4arch9wavefront6targetE0EEEvS14_
		.amdhsa_group_segment_fixed_size 0
		.amdhsa_private_segment_fixed_size 0
		.amdhsa_kernarg_size 88
		.amdhsa_user_sgpr_count 2
		.amdhsa_user_sgpr_dispatch_ptr 0
		.amdhsa_user_sgpr_queue_ptr 0
		.amdhsa_user_sgpr_kernarg_segment_ptr 1
		.amdhsa_user_sgpr_dispatch_id 0
		.amdhsa_user_sgpr_kernarg_preload_length 0
		.amdhsa_user_sgpr_kernarg_preload_offset 0
		.amdhsa_user_sgpr_private_segment_size 0
		.amdhsa_wavefront_size32 1
		.amdhsa_uses_dynamic_stack 0
		.amdhsa_enable_private_segment 0
		.amdhsa_system_sgpr_workgroup_id_x 1
		.amdhsa_system_sgpr_workgroup_id_y 0
		.amdhsa_system_sgpr_workgroup_id_z 0
		.amdhsa_system_sgpr_workgroup_info 0
		.amdhsa_system_vgpr_workitem_id 0
		.amdhsa_next_free_vgpr 1
		.amdhsa_next_free_sgpr 1
		.amdhsa_named_barrier_count 0
		.amdhsa_reserve_vcc 0
		.amdhsa_float_round_mode_32 0
		.amdhsa_float_round_mode_16_64 0
		.amdhsa_float_denorm_mode_32 3
		.amdhsa_float_denorm_mode_16_64 3
		.amdhsa_fp16_overflow 0
		.amdhsa_memory_ordered 1
		.amdhsa_forward_progress 1
		.amdhsa_inst_pref_size 0
		.amdhsa_round_robin_scheduling 0
		.amdhsa_exception_fp_ieee_invalid_op 0
		.amdhsa_exception_fp_denorm_src 0
		.amdhsa_exception_fp_ieee_div_zero 0
		.amdhsa_exception_fp_ieee_overflow 0
		.amdhsa_exception_fp_ieee_underflow 0
		.amdhsa_exception_fp_ieee_inexact 0
		.amdhsa_exception_int_div_zero 0
	.end_amdhsa_kernel
	.section	.text._ZN7rocprim17ROCPRIM_400000_NS6detail17trampoline_kernelINS0_14default_configENS1_22reduce_config_selectorIN6thrust23THRUST_200600_302600_NS5tupleIblNS6_9null_typeES8_S8_S8_S8_S8_S8_S8_EEEEZNS1_11reduce_implILb1ES3_NS6_12zip_iteratorINS7_INS6_11hip_rocprim26transform_input_iterator_tIbNSD_35transform_pair_of_input_iterators_tIbNS6_6detail15normal_iteratorINS6_10device_ptrIKtEEEESL_NS6_8equal_toItEEEENSG_9not_fun_tINSD_8identityEEEEENSD_19counting_iterator_tIlEES8_S8_S8_S8_S8_S8_S8_S8_EEEEPS9_S9_NSD_9__find_if7functorIS9_EEEE10hipError_tPvRmT1_T2_T3_mT4_P12ihipStream_tbEUlT_E1_NS1_11comp_targetILNS1_3genE3ELNS1_11target_archE908ELNS1_3gpuE7ELNS1_3repE0EEENS1_30default_config_static_selectorELNS0_4arch9wavefront6targetE0EEEvS14_,"axG",@progbits,_ZN7rocprim17ROCPRIM_400000_NS6detail17trampoline_kernelINS0_14default_configENS1_22reduce_config_selectorIN6thrust23THRUST_200600_302600_NS5tupleIblNS6_9null_typeES8_S8_S8_S8_S8_S8_S8_EEEEZNS1_11reduce_implILb1ES3_NS6_12zip_iteratorINS7_INS6_11hip_rocprim26transform_input_iterator_tIbNSD_35transform_pair_of_input_iterators_tIbNS6_6detail15normal_iteratorINS6_10device_ptrIKtEEEESL_NS6_8equal_toItEEEENSG_9not_fun_tINSD_8identityEEEEENSD_19counting_iterator_tIlEES8_S8_S8_S8_S8_S8_S8_S8_EEEEPS9_S9_NSD_9__find_if7functorIS9_EEEE10hipError_tPvRmT1_T2_T3_mT4_P12ihipStream_tbEUlT_E1_NS1_11comp_targetILNS1_3genE3ELNS1_11target_archE908ELNS1_3gpuE7ELNS1_3repE0EEENS1_30default_config_static_selectorELNS0_4arch9wavefront6targetE0EEEvS14_,comdat
.Lfunc_end200:
	.size	_ZN7rocprim17ROCPRIM_400000_NS6detail17trampoline_kernelINS0_14default_configENS1_22reduce_config_selectorIN6thrust23THRUST_200600_302600_NS5tupleIblNS6_9null_typeES8_S8_S8_S8_S8_S8_S8_EEEEZNS1_11reduce_implILb1ES3_NS6_12zip_iteratorINS7_INS6_11hip_rocprim26transform_input_iterator_tIbNSD_35transform_pair_of_input_iterators_tIbNS6_6detail15normal_iteratorINS6_10device_ptrIKtEEEESL_NS6_8equal_toItEEEENSG_9not_fun_tINSD_8identityEEEEENSD_19counting_iterator_tIlEES8_S8_S8_S8_S8_S8_S8_S8_EEEEPS9_S9_NSD_9__find_if7functorIS9_EEEE10hipError_tPvRmT1_T2_T3_mT4_P12ihipStream_tbEUlT_E1_NS1_11comp_targetILNS1_3genE3ELNS1_11target_archE908ELNS1_3gpuE7ELNS1_3repE0EEENS1_30default_config_static_selectorELNS0_4arch9wavefront6targetE0EEEvS14_, .Lfunc_end200-_ZN7rocprim17ROCPRIM_400000_NS6detail17trampoline_kernelINS0_14default_configENS1_22reduce_config_selectorIN6thrust23THRUST_200600_302600_NS5tupleIblNS6_9null_typeES8_S8_S8_S8_S8_S8_S8_EEEEZNS1_11reduce_implILb1ES3_NS6_12zip_iteratorINS7_INS6_11hip_rocprim26transform_input_iterator_tIbNSD_35transform_pair_of_input_iterators_tIbNS6_6detail15normal_iteratorINS6_10device_ptrIKtEEEESL_NS6_8equal_toItEEEENSG_9not_fun_tINSD_8identityEEEEENSD_19counting_iterator_tIlEES8_S8_S8_S8_S8_S8_S8_S8_EEEEPS9_S9_NSD_9__find_if7functorIS9_EEEE10hipError_tPvRmT1_T2_T3_mT4_P12ihipStream_tbEUlT_E1_NS1_11comp_targetILNS1_3genE3ELNS1_11target_archE908ELNS1_3gpuE7ELNS1_3repE0EEENS1_30default_config_static_selectorELNS0_4arch9wavefront6targetE0EEEvS14_
                                        ; -- End function
	.set _ZN7rocprim17ROCPRIM_400000_NS6detail17trampoline_kernelINS0_14default_configENS1_22reduce_config_selectorIN6thrust23THRUST_200600_302600_NS5tupleIblNS6_9null_typeES8_S8_S8_S8_S8_S8_S8_EEEEZNS1_11reduce_implILb1ES3_NS6_12zip_iteratorINS7_INS6_11hip_rocprim26transform_input_iterator_tIbNSD_35transform_pair_of_input_iterators_tIbNS6_6detail15normal_iteratorINS6_10device_ptrIKtEEEESL_NS6_8equal_toItEEEENSG_9not_fun_tINSD_8identityEEEEENSD_19counting_iterator_tIlEES8_S8_S8_S8_S8_S8_S8_S8_EEEEPS9_S9_NSD_9__find_if7functorIS9_EEEE10hipError_tPvRmT1_T2_T3_mT4_P12ihipStream_tbEUlT_E1_NS1_11comp_targetILNS1_3genE3ELNS1_11target_archE908ELNS1_3gpuE7ELNS1_3repE0EEENS1_30default_config_static_selectorELNS0_4arch9wavefront6targetE0EEEvS14_.num_vgpr, 0
	.set _ZN7rocprim17ROCPRIM_400000_NS6detail17trampoline_kernelINS0_14default_configENS1_22reduce_config_selectorIN6thrust23THRUST_200600_302600_NS5tupleIblNS6_9null_typeES8_S8_S8_S8_S8_S8_S8_EEEEZNS1_11reduce_implILb1ES3_NS6_12zip_iteratorINS7_INS6_11hip_rocprim26transform_input_iterator_tIbNSD_35transform_pair_of_input_iterators_tIbNS6_6detail15normal_iteratorINS6_10device_ptrIKtEEEESL_NS6_8equal_toItEEEENSG_9not_fun_tINSD_8identityEEEEENSD_19counting_iterator_tIlEES8_S8_S8_S8_S8_S8_S8_S8_EEEEPS9_S9_NSD_9__find_if7functorIS9_EEEE10hipError_tPvRmT1_T2_T3_mT4_P12ihipStream_tbEUlT_E1_NS1_11comp_targetILNS1_3genE3ELNS1_11target_archE908ELNS1_3gpuE7ELNS1_3repE0EEENS1_30default_config_static_selectorELNS0_4arch9wavefront6targetE0EEEvS14_.num_agpr, 0
	.set _ZN7rocprim17ROCPRIM_400000_NS6detail17trampoline_kernelINS0_14default_configENS1_22reduce_config_selectorIN6thrust23THRUST_200600_302600_NS5tupleIblNS6_9null_typeES8_S8_S8_S8_S8_S8_S8_EEEEZNS1_11reduce_implILb1ES3_NS6_12zip_iteratorINS7_INS6_11hip_rocprim26transform_input_iterator_tIbNSD_35transform_pair_of_input_iterators_tIbNS6_6detail15normal_iteratorINS6_10device_ptrIKtEEEESL_NS6_8equal_toItEEEENSG_9not_fun_tINSD_8identityEEEEENSD_19counting_iterator_tIlEES8_S8_S8_S8_S8_S8_S8_S8_EEEEPS9_S9_NSD_9__find_if7functorIS9_EEEE10hipError_tPvRmT1_T2_T3_mT4_P12ihipStream_tbEUlT_E1_NS1_11comp_targetILNS1_3genE3ELNS1_11target_archE908ELNS1_3gpuE7ELNS1_3repE0EEENS1_30default_config_static_selectorELNS0_4arch9wavefront6targetE0EEEvS14_.numbered_sgpr, 0
	.set _ZN7rocprim17ROCPRIM_400000_NS6detail17trampoline_kernelINS0_14default_configENS1_22reduce_config_selectorIN6thrust23THRUST_200600_302600_NS5tupleIblNS6_9null_typeES8_S8_S8_S8_S8_S8_S8_EEEEZNS1_11reduce_implILb1ES3_NS6_12zip_iteratorINS7_INS6_11hip_rocprim26transform_input_iterator_tIbNSD_35transform_pair_of_input_iterators_tIbNS6_6detail15normal_iteratorINS6_10device_ptrIKtEEEESL_NS6_8equal_toItEEEENSG_9not_fun_tINSD_8identityEEEEENSD_19counting_iterator_tIlEES8_S8_S8_S8_S8_S8_S8_S8_EEEEPS9_S9_NSD_9__find_if7functorIS9_EEEE10hipError_tPvRmT1_T2_T3_mT4_P12ihipStream_tbEUlT_E1_NS1_11comp_targetILNS1_3genE3ELNS1_11target_archE908ELNS1_3gpuE7ELNS1_3repE0EEENS1_30default_config_static_selectorELNS0_4arch9wavefront6targetE0EEEvS14_.num_named_barrier, 0
	.set _ZN7rocprim17ROCPRIM_400000_NS6detail17trampoline_kernelINS0_14default_configENS1_22reduce_config_selectorIN6thrust23THRUST_200600_302600_NS5tupleIblNS6_9null_typeES8_S8_S8_S8_S8_S8_S8_EEEEZNS1_11reduce_implILb1ES3_NS6_12zip_iteratorINS7_INS6_11hip_rocprim26transform_input_iterator_tIbNSD_35transform_pair_of_input_iterators_tIbNS6_6detail15normal_iteratorINS6_10device_ptrIKtEEEESL_NS6_8equal_toItEEEENSG_9not_fun_tINSD_8identityEEEEENSD_19counting_iterator_tIlEES8_S8_S8_S8_S8_S8_S8_S8_EEEEPS9_S9_NSD_9__find_if7functorIS9_EEEE10hipError_tPvRmT1_T2_T3_mT4_P12ihipStream_tbEUlT_E1_NS1_11comp_targetILNS1_3genE3ELNS1_11target_archE908ELNS1_3gpuE7ELNS1_3repE0EEENS1_30default_config_static_selectorELNS0_4arch9wavefront6targetE0EEEvS14_.private_seg_size, 0
	.set _ZN7rocprim17ROCPRIM_400000_NS6detail17trampoline_kernelINS0_14default_configENS1_22reduce_config_selectorIN6thrust23THRUST_200600_302600_NS5tupleIblNS6_9null_typeES8_S8_S8_S8_S8_S8_S8_EEEEZNS1_11reduce_implILb1ES3_NS6_12zip_iteratorINS7_INS6_11hip_rocprim26transform_input_iterator_tIbNSD_35transform_pair_of_input_iterators_tIbNS6_6detail15normal_iteratorINS6_10device_ptrIKtEEEESL_NS6_8equal_toItEEEENSG_9not_fun_tINSD_8identityEEEEENSD_19counting_iterator_tIlEES8_S8_S8_S8_S8_S8_S8_S8_EEEEPS9_S9_NSD_9__find_if7functorIS9_EEEE10hipError_tPvRmT1_T2_T3_mT4_P12ihipStream_tbEUlT_E1_NS1_11comp_targetILNS1_3genE3ELNS1_11target_archE908ELNS1_3gpuE7ELNS1_3repE0EEENS1_30default_config_static_selectorELNS0_4arch9wavefront6targetE0EEEvS14_.uses_vcc, 0
	.set _ZN7rocprim17ROCPRIM_400000_NS6detail17trampoline_kernelINS0_14default_configENS1_22reduce_config_selectorIN6thrust23THRUST_200600_302600_NS5tupleIblNS6_9null_typeES8_S8_S8_S8_S8_S8_S8_EEEEZNS1_11reduce_implILb1ES3_NS6_12zip_iteratorINS7_INS6_11hip_rocprim26transform_input_iterator_tIbNSD_35transform_pair_of_input_iterators_tIbNS6_6detail15normal_iteratorINS6_10device_ptrIKtEEEESL_NS6_8equal_toItEEEENSG_9not_fun_tINSD_8identityEEEEENSD_19counting_iterator_tIlEES8_S8_S8_S8_S8_S8_S8_S8_EEEEPS9_S9_NSD_9__find_if7functorIS9_EEEE10hipError_tPvRmT1_T2_T3_mT4_P12ihipStream_tbEUlT_E1_NS1_11comp_targetILNS1_3genE3ELNS1_11target_archE908ELNS1_3gpuE7ELNS1_3repE0EEENS1_30default_config_static_selectorELNS0_4arch9wavefront6targetE0EEEvS14_.uses_flat_scratch, 0
	.set _ZN7rocprim17ROCPRIM_400000_NS6detail17trampoline_kernelINS0_14default_configENS1_22reduce_config_selectorIN6thrust23THRUST_200600_302600_NS5tupleIblNS6_9null_typeES8_S8_S8_S8_S8_S8_S8_EEEEZNS1_11reduce_implILb1ES3_NS6_12zip_iteratorINS7_INS6_11hip_rocprim26transform_input_iterator_tIbNSD_35transform_pair_of_input_iterators_tIbNS6_6detail15normal_iteratorINS6_10device_ptrIKtEEEESL_NS6_8equal_toItEEEENSG_9not_fun_tINSD_8identityEEEEENSD_19counting_iterator_tIlEES8_S8_S8_S8_S8_S8_S8_S8_EEEEPS9_S9_NSD_9__find_if7functorIS9_EEEE10hipError_tPvRmT1_T2_T3_mT4_P12ihipStream_tbEUlT_E1_NS1_11comp_targetILNS1_3genE3ELNS1_11target_archE908ELNS1_3gpuE7ELNS1_3repE0EEENS1_30default_config_static_selectorELNS0_4arch9wavefront6targetE0EEEvS14_.has_dyn_sized_stack, 0
	.set _ZN7rocprim17ROCPRIM_400000_NS6detail17trampoline_kernelINS0_14default_configENS1_22reduce_config_selectorIN6thrust23THRUST_200600_302600_NS5tupleIblNS6_9null_typeES8_S8_S8_S8_S8_S8_S8_EEEEZNS1_11reduce_implILb1ES3_NS6_12zip_iteratorINS7_INS6_11hip_rocprim26transform_input_iterator_tIbNSD_35transform_pair_of_input_iterators_tIbNS6_6detail15normal_iteratorINS6_10device_ptrIKtEEEESL_NS6_8equal_toItEEEENSG_9not_fun_tINSD_8identityEEEEENSD_19counting_iterator_tIlEES8_S8_S8_S8_S8_S8_S8_S8_EEEEPS9_S9_NSD_9__find_if7functorIS9_EEEE10hipError_tPvRmT1_T2_T3_mT4_P12ihipStream_tbEUlT_E1_NS1_11comp_targetILNS1_3genE3ELNS1_11target_archE908ELNS1_3gpuE7ELNS1_3repE0EEENS1_30default_config_static_selectorELNS0_4arch9wavefront6targetE0EEEvS14_.has_recursion, 0
	.set _ZN7rocprim17ROCPRIM_400000_NS6detail17trampoline_kernelINS0_14default_configENS1_22reduce_config_selectorIN6thrust23THRUST_200600_302600_NS5tupleIblNS6_9null_typeES8_S8_S8_S8_S8_S8_S8_EEEEZNS1_11reduce_implILb1ES3_NS6_12zip_iteratorINS7_INS6_11hip_rocprim26transform_input_iterator_tIbNSD_35transform_pair_of_input_iterators_tIbNS6_6detail15normal_iteratorINS6_10device_ptrIKtEEEESL_NS6_8equal_toItEEEENSG_9not_fun_tINSD_8identityEEEEENSD_19counting_iterator_tIlEES8_S8_S8_S8_S8_S8_S8_S8_EEEEPS9_S9_NSD_9__find_if7functorIS9_EEEE10hipError_tPvRmT1_T2_T3_mT4_P12ihipStream_tbEUlT_E1_NS1_11comp_targetILNS1_3genE3ELNS1_11target_archE908ELNS1_3gpuE7ELNS1_3repE0EEENS1_30default_config_static_selectorELNS0_4arch9wavefront6targetE0EEEvS14_.has_indirect_call, 0
	.section	.AMDGPU.csdata,"",@progbits
; Kernel info:
; codeLenInByte = 0
; TotalNumSgprs: 0
; NumVgprs: 0
; ScratchSize: 0
; MemoryBound: 0
; FloatMode: 240
; IeeeMode: 1
; LDSByteSize: 0 bytes/workgroup (compile time only)
; SGPRBlocks: 0
; VGPRBlocks: 0
; NumSGPRsForWavesPerEU: 1
; NumVGPRsForWavesPerEU: 1
; NamedBarCnt: 0
; Occupancy: 16
; WaveLimiterHint : 0
; COMPUTE_PGM_RSRC2:SCRATCH_EN: 0
; COMPUTE_PGM_RSRC2:USER_SGPR: 2
; COMPUTE_PGM_RSRC2:TRAP_HANDLER: 0
; COMPUTE_PGM_RSRC2:TGID_X_EN: 1
; COMPUTE_PGM_RSRC2:TGID_Y_EN: 0
; COMPUTE_PGM_RSRC2:TGID_Z_EN: 0
; COMPUTE_PGM_RSRC2:TIDIG_COMP_CNT: 0
	.section	.text._ZN7rocprim17ROCPRIM_400000_NS6detail17trampoline_kernelINS0_14default_configENS1_22reduce_config_selectorIN6thrust23THRUST_200600_302600_NS5tupleIblNS6_9null_typeES8_S8_S8_S8_S8_S8_S8_EEEEZNS1_11reduce_implILb1ES3_NS6_12zip_iteratorINS7_INS6_11hip_rocprim26transform_input_iterator_tIbNSD_35transform_pair_of_input_iterators_tIbNS6_6detail15normal_iteratorINS6_10device_ptrIKtEEEESL_NS6_8equal_toItEEEENSG_9not_fun_tINSD_8identityEEEEENSD_19counting_iterator_tIlEES8_S8_S8_S8_S8_S8_S8_S8_EEEEPS9_S9_NSD_9__find_if7functorIS9_EEEE10hipError_tPvRmT1_T2_T3_mT4_P12ihipStream_tbEUlT_E1_NS1_11comp_targetILNS1_3genE2ELNS1_11target_archE906ELNS1_3gpuE6ELNS1_3repE0EEENS1_30default_config_static_selectorELNS0_4arch9wavefront6targetE0EEEvS14_,"axG",@progbits,_ZN7rocprim17ROCPRIM_400000_NS6detail17trampoline_kernelINS0_14default_configENS1_22reduce_config_selectorIN6thrust23THRUST_200600_302600_NS5tupleIblNS6_9null_typeES8_S8_S8_S8_S8_S8_S8_EEEEZNS1_11reduce_implILb1ES3_NS6_12zip_iteratorINS7_INS6_11hip_rocprim26transform_input_iterator_tIbNSD_35transform_pair_of_input_iterators_tIbNS6_6detail15normal_iteratorINS6_10device_ptrIKtEEEESL_NS6_8equal_toItEEEENSG_9not_fun_tINSD_8identityEEEEENSD_19counting_iterator_tIlEES8_S8_S8_S8_S8_S8_S8_S8_EEEEPS9_S9_NSD_9__find_if7functorIS9_EEEE10hipError_tPvRmT1_T2_T3_mT4_P12ihipStream_tbEUlT_E1_NS1_11comp_targetILNS1_3genE2ELNS1_11target_archE906ELNS1_3gpuE6ELNS1_3repE0EEENS1_30default_config_static_selectorELNS0_4arch9wavefront6targetE0EEEvS14_,comdat
	.protected	_ZN7rocprim17ROCPRIM_400000_NS6detail17trampoline_kernelINS0_14default_configENS1_22reduce_config_selectorIN6thrust23THRUST_200600_302600_NS5tupleIblNS6_9null_typeES8_S8_S8_S8_S8_S8_S8_EEEEZNS1_11reduce_implILb1ES3_NS6_12zip_iteratorINS7_INS6_11hip_rocprim26transform_input_iterator_tIbNSD_35transform_pair_of_input_iterators_tIbNS6_6detail15normal_iteratorINS6_10device_ptrIKtEEEESL_NS6_8equal_toItEEEENSG_9not_fun_tINSD_8identityEEEEENSD_19counting_iterator_tIlEES8_S8_S8_S8_S8_S8_S8_S8_EEEEPS9_S9_NSD_9__find_if7functorIS9_EEEE10hipError_tPvRmT1_T2_T3_mT4_P12ihipStream_tbEUlT_E1_NS1_11comp_targetILNS1_3genE2ELNS1_11target_archE906ELNS1_3gpuE6ELNS1_3repE0EEENS1_30default_config_static_selectorELNS0_4arch9wavefront6targetE0EEEvS14_ ; -- Begin function _ZN7rocprim17ROCPRIM_400000_NS6detail17trampoline_kernelINS0_14default_configENS1_22reduce_config_selectorIN6thrust23THRUST_200600_302600_NS5tupleIblNS6_9null_typeES8_S8_S8_S8_S8_S8_S8_EEEEZNS1_11reduce_implILb1ES3_NS6_12zip_iteratorINS7_INS6_11hip_rocprim26transform_input_iterator_tIbNSD_35transform_pair_of_input_iterators_tIbNS6_6detail15normal_iteratorINS6_10device_ptrIKtEEEESL_NS6_8equal_toItEEEENSG_9not_fun_tINSD_8identityEEEEENSD_19counting_iterator_tIlEES8_S8_S8_S8_S8_S8_S8_S8_EEEEPS9_S9_NSD_9__find_if7functorIS9_EEEE10hipError_tPvRmT1_T2_T3_mT4_P12ihipStream_tbEUlT_E1_NS1_11comp_targetILNS1_3genE2ELNS1_11target_archE906ELNS1_3gpuE6ELNS1_3repE0EEENS1_30default_config_static_selectorELNS0_4arch9wavefront6targetE0EEEvS14_
	.globl	_ZN7rocprim17ROCPRIM_400000_NS6detail17trampoline_kernelINS0_14default_configENS1_22reduce_config_selectorIN6thrust23THRUST_200600_302600_NS5tupleIblNS6_9null_typeES8_S8_S8_S8_S8_S8_S8_EEEEZNS1_11reduce_implILb1ES3_NS6_12zip_iteratorINS7_INS6_11hip_rocprim26transform_input_iterator_tIbNSD_35transform_pair_of_input_iterators_tIbNS6_6detail15normal_iteratorINS6_10device_ptrIKtEEEESL_NS6_8equal_toItEEEENSG_9not_fun_tINSD_8identityEEEEENSD_19counting_iterator_tIlEES8_S8_S8_S8_S8_S8_S8_S8_EEEEPS9_S9_NSD_9__find_if7functorIS9_EEEE10hipError_tPvRmT1_T2_T3_mT4_P12ihipStream_tbEUlT_E1_NS1_11comp_targetILNS1_3genE2ELNS1_11target_archE906ELNS1_3gpuE6ELNS1_3repE0EEENS1_30default_config_static_selectorELNS0_4arch9wavefront6targetE0EEEvS14_
	.p2align	8
	.type	_ZN7rocprim17ROCPRIM_400000_NS6detail17trampoline_kernelINS0_14default_configENS1_22reduce_config_selectorIN6thrust23THRUST_200600_302600_NS5tupleIblNS6_9null_typeES8_S8_S8_S8_S8_S8_S8_EEEEZNS1_11reduce_implILb1ES3_NS6_12zip_iteratorINS7_INS6_11hip_rocprim26transform_input_iterator_tIbNSD_35transform_pair_of_input_iterators_tIbNS6_6detail15normal_iteratorINS6_10device_ptrIKtEEEESL_NS6_8equal_toItEEEENSG_9not_fun_tINSD_8identityEEEEENSD_19counting_iterator_tIlEES8_S8_S8_S8_S8_S8_S8_S8_EEEEPS9_S9_NSD_9__find_if7functorIS9_EEEE10hipError_tPvRmT1_T2_T3_mT4_P12ihipStream_tbEUlT_E1_NS1_11comp_targetILNS1_3genE2ELNS1_11target_archE906ELNS1_3gpuE6ELNS1_3repE0EEENS1_30default_config_static_selectorELNS0_4arch9wavefront6targetE0EEEvS14_,@function
_ZN7rocprim17ROCPRIM_400000_NS6detail17trampoline_kernelINS0_14default_configENS1_22reduce_config_selectorIN6thrust23THRUST_200600_302600_NS5tupleIblNS6_9null_typeES8_S8_S8_S8_S8_S8_S8_EEEEZNS1_11reduce_implILb1ES3_NS6_12zip_iteratorINS7_INS6_11hip_rocprim26transform_input_iterator_tIbNSD_35transform_pair_of_input_iterators_tIbNS6_6detail15normal_iteratorINS6_10device_ptrIKtEEEESL_NS6_8equal_toItEEEENSG_9not_fun_tINSD_8identityEEEEENSD_19counting_iterator_tIlEES8_S8_S8_S8_S8_S8_S8_S8_EEEEPS9_S9_NSD_9__find_if7functorIS9_EEEE10hipError_tPvRmT1_T2_T3_mT4_P12ihipStream_tbEUlT_E1_NS1_11comp_targetILNS1_3genE2ELNS1_11target_archE906ELNS1_3gpuE6ELNS1_3repE0EEENS1_30default_config_static_selectorELNS0_4arch9wavefront6targetE0EEEvS14_: ; @_ZN7rocprim17ROCPRIM_400000_NS6detail17trampoline_kernelINS0_14default_configENS1_22reduce_config_selectorIN6thrust23THRUST_200600_302600_NS5tupleIblNS6_9null_typeES8_S8_S8_S8_S8_S8_S8_EEEEZNS1_11reduce_implILb1ES3_NS6_12zip_iteratorINS7_INS6_11hip_rocprim26transform_input_iterator_tIbNSD_35transform_pair_of_input_iterators_tIbNS6_6detail15normal_iteratorINS6_10device_ptrIKtEEEESL_NS6_8equal_toItEEEENSG_9not_fun_tINSD_8identityEEEEENSD_19counting_iterator_tIlEES8_S8_S8_S8_S8_S8_S8_S8_EEEEPS9_S9_NSD_9__find_if7functorIS9_EEEE10hipError_tPvRmT1_T2_T3_mT4_P12ihipStream_tbEUlT_E1_NS1_11comp_targetILNS1_3genE2ELNS1_11target_archE906ELNS1_3gpuE6ELNS1_3repE0EEENS1_30default_config_static_selectorELNS0_4arch9wavefront6targetE0EEEvS14_
; %bb.0:
	.section	.rodata,"a",@progbits
	.p2align	6, 0x0
	.amdhsa_kernel _ZN7rocprim17ROCPRIM_400000_NS6detail17trampoline_kernelINS0_14default_configENS1_22reduce_config_selectorIN6thrust23THRUST_200600_302600_NS5tupleIblNS6_9null_typeES8_S8_S8_S8_S8_S8_S8_EEEEZNS1_11reduce_implILb1ES3_NS6_12zip_iteratorINS7_INS6_11hip_rocprim26transform_input_iterator_tIbNSD_35transform_pair_of_input_iterators_tIbNS6_6detail15normal_iteratorINS6_10device_ptrIKtEEEESL_NS6_8equal_toItEEEENSG_9not_fun_tINSD_8identityEEEEENSD_19counting_iterator_tIlEES8_S8_S8_S8_S8_S8_S8_S8_EEEEPS9_S9_NSD_9__find_if7functorIS9_EEEE10hipError_tPvRmT1_T2_T3_mT4_P12ihipStream_tbEUlT_E1_NS1_11comp_targetILNS1_3genE2ELNS1_11target_archE906ELNS1_3gpuE6ELNS1_3repE0EEENS1_30default_config_static_selectorELNS0_4arch9wavefront6targetE0EEEvS14_
		.amdhsa_group_segment_fixed_size 0
		.amdhsa_private_segment_fixed_size 0
		.amdhsa_kernarg_size 88
		.amdhsa_user_sgpr_count 2
		.amdhsa_user_sgpr_dispatch_ptr 0
		.amdhsa_user_sgpr_queue_ptr 0
		.amdhsa_user_sgpr_kernarg_segment_ptr 1
		.amdhsa_user_sgpr_dispatch_id 0
		.amdhsa_user_sgpr_kernarg_preload_length 0
		.amdhsa_user_sgpr_kernarg_preload_offset 0
		.amdhsa_user_sgpr_private_segment_size 0
		.amdhsa_wavefront_size32 1
		.amdhsa_uses_dynamic_stack 0
		.amdhsa_enable_private_segment 0
		.amdhsa_system_sgpr_workgroup_id_x 1
		.amdhsa_system_sgpr_workgroup_id_y 0
		.amdhsa_system_sgpr_workgroup_id_z 0
		.amdhsa_system_sgpr_workgroup_info 0
		.amdhsa_system_vgpr_workitem_id 0
		.amdhsa_next_free_vgpr 1
		.amdhsa_next_free_sgpr 1
		.amdhsa_named_barrier_count 0
		.amdhsa_reserve_vcc 0
		.amdhsa_float_round_mode_32 0
		.amdhsa_float_round_mode_16_64 0
		.amdhsa_float_denorm_mode_32 3
		.amdhsa_float_denorm_mode_16_64 3
		.amdhsa_fp16_overflow 0
		.amdhsa_memory_ordered 1
		.amdhsa_forward_progress 1
		.amdhsa_inst_pref_size 0
		.amdhsa_round_robin_scheduling 0
		.amdhsa_exception_fp_ieee_invalid_op 0
		.amdhsa_exception_fp_denorm_src 0
		.amdhsa_exception_fp_ieee_div_zero 0
		.amdhsa_exception_fp_ieee_overflow 0
		.amdhsa_exception_fp_ieee_underflow 0
		.amdhsa_exception_fp_ieee_inexact 0
		.amdhsa_exception_int_div_zero 0
	.end_amdhsa_kernel
	.section	.text._ZN7rocprim17ROCPRIM_400000_NS6detail17trampoline_kernelINS0_14default_configENS1_22reduce_config_selectorIN6thrust23THRUST_200600_302600_NS5tupleIblNS6_9null_typeES8_S8_S8_S8_S8_S8_S8_EEEEZNS1_11reduce_implILb1ES3_NS6_12zip_iteratorINS7_INS6_11hip_rocprim26transform_input_iterator_tIbNSD_35transform_pair_of_input_iterators_tIbNS6_6detail15normal_iteratorINS6_10device_ptrIKtEEEESL_NS6_8equal_toItEEEENSG_9not_fun_tINSD_8identityEEEEENSD_19counting_iterator_tIlEES8_S8_S8_S8_S8_S8_S8_S8_EEEEPS9_S9_NSD_9__find_if7functorIS9_EEEE10hipError_tPvRmT1_T2_T3_mT4_P12ihipStream_tbEUlT_E1_NS1_11comp_targetILNS1_3genE2ELNS1_11target_archE906ELNS1_3gpuE6ELNS1_3repE0EEENS1_30default_config_static_selectorELNS0_4arch9wavefront6targetE0EEEvS14_,"axG",@progbits,_ZN7rocprim17ROCPRIM_400000_NS6detail17trampoline_kernelINS0_14default_configENS1_22reduce_config_selectorIN6thrust23THRUST_200600_302600_NS5tupleIblNS6_9null_typeES8_S8_S8_S8_S8_S8_S8_EEEEZNS1_11reduce_implILb1ES3_NS6_12zip_iteratorINS7_INS6_11hip_rocprim26transform_input_iterator_tIbNSD_35transform_pair_of_input_iterators_tIbNS6_6detail15normal_iteratorINS6_10device_ptrIKtEEEESL_NS6_8equal_toItEEEENSG_9not_fun_tINSD_8identityEEEEENSD_19counting_iterator_tIlEES8_S8_S8_S8_S8_S8_S8_S8_EEEEPS9_S9_NSD_9__find_if7functorIS9_EEEE10hipError_tPvRmT1_T2_T3_mT4_P12ihipStream_tbEUlT_E1_NS1_11comp_targetILNS1_3genE2ELNS1_11target_archE906ELNS1_3gpuE6ELNS1_3repE0EEENS1_30default_config_static_selectorELNS0_4arch9wavefront6targetE0EEEvS14_,comdat
.Lfunc_end201:
	.size	_ZN7rocprim17ROCPRIM_400000_NS6detail17trampoline_kernelINS0_14default_configENS1_22reduce_config_selectorIN6thrust23THRUST_200600_302600_NS5tupleIblNS6_9null_typeES8_S8_S8_S8_S8_S8_S8_EEEEZNS1_11reduce_implILb1ES3_NS6_12zip_iteratorINS7_INS6_11hip_rocprim26transform_input_iterator_tIbNSD_35transform_pair_of_input_iterators_tIbNS6_6detail15normal_iteratorINS6_10device_ptrIKtEEEESL_NS6_8equal_toItEEEENSG_9not_fun_tINSD_8identityEEEEENSD_19counting_iterator_tIlEES8_S8_S8_S8_S8_S8_S8_S8_EEEEPS9_S9_NSD_9__find_if7functorIS9_EEEE10hipError_tPvRmT1_T2_T3_mT4_P12ihipStream_tbEUlT_E1_NS1_11comp_targetILNS1_3genE2ELNS1_11target_archE906ELNS1_3gpuE6ELNS1_3repE0EEENS1_30default_config_static_selectorELNS0_4arch9wavefront6targetE0EEEvS14_, .Lfunc_end201-_ZN7rocprim17ROCPRIM_400000_NS6detail17trampoline_kernelINS0_14default_configENS1_22reduce_config_selectorIN6thrust23THRUST_200600_302600_NS5tupleIblNS6_9null_typeES8_S8_S8_S8_S8_S8_S8_EEEEZNS1_11reduce_implILb1ES3_NS6_12zip_iteratorINS7_INS6_11hip_rocprim26transform_input_iterator_tIbNSD_35transform_pair_of_input_iterators_tIbNS6_6detail15normal_iteratorINS6_10device_ptrIKtEEEESL_NS6_8equal_toItEEEENSG_9not_fun_tINSD_8identityEEEEENSD_19counting_iterator_tIlEES8_S8_S8_S8_S8_S8_S8_S8_EEEEPS9_S9_NSD_9__find_if7functorIS9_EEEE10hipError_tPvRmT1_T2_T3_mT4_P12ihipStream_tbEUlT_E1_NS1_11comp_targetILNS1_3genE2ELNS1_11target_archE906ELNS1_3gpuE6ELNS1_3repE0EEENS1_30default_config_static_selectorELNS0_4arch9wavefront6targetE0EEEvS14_
                                        ; -- End function
	.set _ZN7rocprim17ROCPRIM_400000_NS6detail17trampoline_kernelINS0_14default_configENS1_22reduce_config_selectorIN6thrust23THRUST_200600_302600_NS5tupleIblNS6_9null_typeES8_S8_S8_S8_S8_S8_S8_EEEEZNS1_11reduce_implILb1ES3_NS6_12zip_iteratorINS7_INS6_11hip_rocprim26transform_input_iterator_tIbNSD_35transform_pair_of_input_iterators_tIbNS6_6detail15normal_iteratorINS6_10device_ptrIKtEEEESL_NS6_8equal_toItEEEENSG_9not_fun_tINSD_8identityEEEEENSD_19counting_iterator_tIlEES8_S8_S8_S8_S8_S8_S8_S8_EEEEPS9_S9_NSD_9__find_if7functorIS9_EEEE10hipError_tPvRmT1_T2_T3_mT4_P12ihipStream_tbEUlT_E1_NS1_11comp_targetILNS1_3genE2ELNS1_11target_archE906ELNS1_3gpuE6ELNS1_3repE0EEENS1_30default_config_static_selectorELNS0_4arch9wavefront6targetE0EEEvS14_.num_vgpr, 0
	.set _ZN7rocprim17ROCPRIM_400000_NS6detail17trampoline_kernelINS0_14default_configENS1_22reduce_config_selectorIN6thrust23THRUST_200600_302600_NS5tupleIblNS6_9null_typeES8_S8_S8_S8_S8_S8_S8_EEEEZNS1_11reduce_implILb1ES3_NS6_12zip_iteratorINS7_INS6_11hip_rocprim26transform_input_iterator_tIbNSD_35transform_pair_of_input_iterators_tIbNS6_6detail15normal_iteratorINS6_10device_ptrIKtEEEESL_NS6_8equal_toItEEEENSG_9not_fun_tINSD_8identityEEEEENSD_19counting_iterator_tIlEES8_S8_S8_S8_S8_S8_S8_S8_EEEEPS9_S9_NSD_9__find_if7functorIS9_EEEE10hipError_tPvRmT1_T2_T3_mT4_P12ihipStream_tbEUlT_E1_NS1_11comp_targetILNS1_3genE2ELNS1_11target_archE906ELNS1_3gpuE6ELNS1_3repE0EEENS1_30default_config_static_selectorELNS0_4arch9wavefront6targetE0EEEvS14_.num_agpr, 0
	.set _ZN7rocprim17ROCPRIM_400000_NS6detail17trampoline_kernelINS0_14default_configENS1_22reduce_config_selectorIN6thrust23THRUST_200600_302600_NS5tupleIblNS6_9null_typeES8_S8_S8_S8_S8_S8_S8_EEEEZNS1_11reduce_implILb1ES3_NS6_12zip_iteratorINS7_INS6_11hip_rocprim26transform_input_iterator_tIbNSD_35transform_pair_of_input_iterators_tIbNS6_6detail15normal_iteratorINS6_10device_ptrIKtEEEESL_NS6_8equal_toItEEEENSG_9not_fun_tINSD_8identityEEEEENSD_19counting_iterator_tIlEES8_S8_S8_S8_S8_S8_S8_S8_EEEEPS9_S9_NSD_9__find_if7functorIS9_EEEE10hipError_tPvRmT1_T2_T3_mT4_P12ihipStream_tbEUlT_E1_NS1_11comp_targetILNS1_3genE2ELNS1_11target_archE906ELNS1_3gpuE6ELNS1_3repE0EEENS1_30default_config_static_selectorELNS0_4arch9wavefront6targetE0EEEvS14_.numbered_sgpr, 0
	.set _ZN7rocprim17ROCPRIM_400000_NS6detail17trampoline_kernelINS0_14default_configENS1_22reduce_config_selectorIN6thrust23THRUST_200600_302600_NS5tupleIblNS6_9null_typeES8_S8_S8_S8_S8_S8_S8_EEEEZNS1_11reduce_implILb1ES3_NS6_12zip_iteratorINS7_INS6_11hip_rocprim26transform_input_iterator_tIbNSD_35transform_pair_of_input_iterators_tIbNS6_6detail15normal_iteratorINS6_10device_ptrIKtEEEESL_NS6_8equal_toItEEEENSG_9not_fun_tINSD_8identityEEEEENSD_19counting_iterator_tIlEES8_S8_S8_S8_S8_S8_S8_S8_EEEEPS9_S9_NSD_9__find_if7functorIS9_EEEE10hipError_tPvRmT1_T2_T3_mT4_P12ihipStream_tbEUlT_E1_NS1_11comp_targetILNS1_3genE2ELNS1_11target_archE906ELNS1_3gpuE6ELNS1_3repE0EEENS1_30default_config_static_selectorELNS0_4arch9wavefront6targetE0EEEvS14_.num_named_barrier, 0
	.set _ZN7rocprim17ROCPRIM_400000_NS6detail17trampoline_kernelINS0_14default_configENS1_22reduce_config_selectorIN6thrust23THRUST_200600_302600_NS5tupleIblNS6_9null_typeES8_S8_S8_S8_S8_S8_S8_EEEEZNS1_11reduce_implILb1ES3_NS6_12zip_iteratorINS7_INS6_11hip_rocprim26transform_input_iterator_tIbNSD_35transform_pair_of_input_iterators_tIbNS6_6detail15normal_iteratorINS6_10device_ptrIKtEEEESL_NS6_8equal_toItEEEENSG_9not_fun_tINSD_8identityEEEEENSD_19counting_iterator_tIlEES8_S8_S8_S8_S8_S8_S8_S8_EEEEPS9_S9_NSD_9__find_if7functorIS9_EEEE10hipError_tPvRmT1_T2_T3_mT4_P12ihipStream_tbEUlT_E1_NS1_11comp_targetILNS1_3genE2ELNS1_11target_archE906ELNS1_3gpuE6ELNS1_3repE0EEENS1_30default_config_static_selectorELNS0_4arch9wavefront6targetE0EEEvS14_.private_seg_size, 0
	.set _ZN7rocprim17ROCPRIM_400000_NS6detail17trampoline_kernelINS0_14default_configENS1_22reduce_config_selectorIN6thrust23THRUST_200600_302600_NS5tupleIblNS6_9null_typeES8_S8_S8_S8_S8_S8_S8_EEEEZNS1_11reduce_implILb1ES3_NS6_12zip_iteratorINS7_INS6_11hip_rocprim26transform_input_iterator_tIbNSD_35transform_pair_of_input_iterators_tIbNS6_6detail15normal_iteratorINS6_10device_ptrIKtEEEESL_NS6_8equal_toItEEEENSG_9not_fun_tINSD_8identityEEEEENSD_19counting_iterator_tIlEES8_S8_S8_S8_S8_S8_S8_S8_EEEEPS9_S9_NSD_9__find_if7functorIS9_EEEE10hipError_tPvRmT1_T2_T3_mT4_P12ihipStream_tbEUlT_E1_NS1_11comp_targetILNS1_3genE2ELNS1_11target_archE906ELNS1_3gpuE6ELNS1_3repE0EEENS1_30default_config_static_selectorELNS0_4arch9wavefront6targetE0EEEvS14_.uses_vcc, 0
	.set _ZN7rocprim17ROCPRIM_400000_NS6detail17trampoline_kernelINS0_14default_configENS1_22reduce_config_selectorIN6thrust23THRUST_200600_302600_NS5tupleIblNS6_9null_typeES8_S8_S8_S8_S8_S8_S8_EEEEZNS1_11reduce_implILb1ES3_NS6_12zip_iteratorINS7_INS6_11hip_rocprim26transform_input_iterator_tIbNSD_35transform_pair_of_input_iterators_tIbNS6_6detail15normal_iteratorINS6_10device_ptrIKtEEEESL_NS6_8equal_toItEEEENSG_9not_fun_tINSD_8identityEEEEENSD_19counting_iterator_tIlEES8_S8_S8_S8_S8_S8_S8_S8_EEEEPS9_S9_NSD_9__find_if7functorIS9_EEEE10hipError_tPvRmT1_T2_T3_mT4_P12ihipStream_tbEUlT_E1_NS1_11comp_targetILNS1_3genE2ELNS1_11target_archE906ELNS1_3gpuE6ELNS1_3repE0EEENS1_30default_config_static_selectorELNS0_4arch9wavefront6targetE0EEEvS14_.uses_flat_scratch, 0
	.set _ZN7rocprim17ROCPRIM_400000_NS6detail17trampoline_kernelINS0_14default_configENS1_22reduce_config_selectorIN6thrust23THRUST_200600_302600_NS5tupleIblNS6_9null_typeES8_S8_S8_S8_S8_S8_S8_EEEEZNS1_11reduce_implILb1ES3_NS6_12zip_iteratorINS7_INS6_11hip_rocprim26transform_input_iterator_tIbNSD_35transform_pair_of_input_iterators_tIbNS6_6detail15normal_iteratorINS6_10device_ptrIKtEEEESL_NS6_8equal_toItEEEENSG_9not_fun_tINSD_8identityEEEEENSD_19counting_iterator_tIlEES8_S8_S8_S8_S8_S8_S8_S8_EEEEPS9_S9_NSD_9__find_if7functorIS9_EEEE10hipError_tPvRmT1_T2_T3_mT4_P12ihipStream_tbEUlT_E1_NS1_11comp_targetILNS1_3genE2ELNS1_11target_archE906ELNS1_3gpuE6ELNS1_3repE0EEENS1_30default_config_static_selectorELNS0_4arch9wavefront6targetE0EEEvS14_.has_dyn_sized_stack, 0
	.set _ZN7rocprim17ROCPRIM_400000_NS6detail17trampoline_kernelINS0_14default_configENS1_22reduce_config_selectorIN6thrust23THRUST_200600_302600_NS5tupleIblNS6_9null_typeES8_S8_S8_S8_S8_S8_S8_EEEEZNS1_11reduce_implILb1ES3_NS6_12zip_iteratorINS7_INS6_11hip_rocprim26transform_input_iterator_tIbNSD_35transform_pair_of_input_iterators_tIbNS6_6detail15normal_iteratorINS6_10device_ptrIKtEEEESL_NS6_8equal_toItEEEENSG_9not_fun_tINSD_8identityEEEEENSD_19counting_iterator_tIlEES8_S8_S8_S8_S8_S8_S8_S8_EEEEPS9_S9_NSD_9__find_if7functorIS9_EEEE10hipError_tPvRmT1_T2_T3_mT4_P12ihipStream_tbEUlT_E1_NS1_11comp_targetILNS1_3genE2ELNS1_11target_archE906ELNS1_3gpuE6ELNS1_3repE0EEENS1_30default_config_static_selectorELNS0_4arch9wavefront6targetE0EEEvS14_.has_recursion, 0
	.set _ZN7rocprim17ROCPRIM_400000_NS6detail17trampoline_kernelINS0_14default_configENS1_22reduce_config_selectorIN6thrust23THRUST_200600_302600_NS5tupleIblNS6_9null_typeES8_S8_S8_S8_S8_S8_S8_EEEEZNS1_11reduce_implILb1ES3_NS6_12zip_iteratorINS7_INS6_11hip_rocprim26transform_input_iterator_tIbNSD_35transform_pair_of_input_iterators_tIbNS6_6detail15normal_iteratorINS6_10device_ptrIKtEEEESL_NS6_8equal_toItEEEENSG_9not_fun_tINSD_8identityEEEEENSD_19counting_iterator_tIlEES8_S8_S8_S8_S8_S8_S8_S8_EEEEPS9_S9_NSD_9__find_if7functorIS9_EEEE10hipError_tPvRmT1_T2_T3_mT4_P12ihipStream_tbEUlT_E1_NS1_11comp_targetILNS1_3genE2ELNS1_11target_archE906ELNS1_3gpuE6ELNS1_3repE0EEENS1_30default_config_static_selectorELNS0_4arch9wavefront6targetE0EEEvS14_.has_indirect_call, 0
	.section	.AMDGPU.csdata,"",@progbits
; Kernel info:
; codeLenInByte = 0
; TotalNumSgprs: 0
; NumVgprs: 0
; ScratchSize: 0
; MemoryBound: 0
; FloatMode: 240
; IeeeMode: 1
; LDSByteSize: 0 bytes/workgroup (compile time only)
; SGPRBlocks: 0
; VGPRBlocks: 0
; NumSGPRsForWavesPerEU: 1
; NumVGPRsForWavesPerEU: 1
; NamedBarCnt: 0
; Occupancy: 16
; WaveLimiterHint : 0
; COMPUTE_PGM_RSRC2:SCRATCH_EN: 0
; COMPUTE_PGM_RSRC2:USER_SGPR: 2
; COMPUTE_PGM_RSRC2:TRAP_HANDLER: 0
; COMPUTE_PGM_RSRC2:TGID_X_EN: 1
; COMPUTE_PGM_RSRC2:TGID_Y_EN: 0
; COMPUTE_PGM_RSRC2:TGID_Z_EN: 0
; COMPUTE_PGM_RSRC2:TIDIG_COMP_CNT: 0
	.section	.text._ZN7rocprim17ROCPRIM_400000_NS6detail17trampoline_kernelINS0_14default_configENS1_22reduce_config_selectorIN6thrust23THRUST_200600_302600_NS5tupleIblNS6_9null_typeES8_S8_S8_S8_S8_S8_S8_EEEEZNS1_11reduce_implILb1ES3_NS6_12zip_iteratorINS7_INS6_11hip_rocprim26transform_input_iterator_tIbNSD_35transform_pair_of_input_iterators_tIbNS6_6detail15normal_iteratorINS6_10device_ptrIKtEEEESL_NS6_8equal_toItEEEENSG_9not_fun_tINSD_8identityEEEEENSD_19counting_iterator_tIlEES8_S8_S8_S8_S8_S8_S8_S8_EEEEPS9_S9_NSD_9__find_if7functorIS9_EEEE10hipError_tPvRmT1_T2_T3_mT4_P12ihipStream_tbEUlT_E1_NS1_11comp_targetILNS1_3genE10ELNS1_11target_archE1201ELNS1_3gpuE5ELNS1_3repE0EEENS1_30default_config_static_selectorELNS0_4arch9wavefront6targetE0EEEvS14_,"axG",@progbits,_ZN7rocprim17ROCPRIM_400000_NS6detail17trampoline_kernelINS0_14default_configENS1_22reduce_config_selectorIN6thrust23THRUST_200600_302600_NS5tupleIblNS6_9null_typeES8_S8_S8_S8_S8_S8_S8_EEEEZNS1_11reduce_implILb1ES3_NS6_12zip_iteratorINS7_INS6_11hip_rocprim26transform_input_iterator_tIbNSD_35transform_pair_of_input_iterators_tIbNS6_6detail15normal_iteratorINS6_10device_ptrIKtEEEESL_NS6_8equal_toItEEEENSG_9not_fun_tINSD_8identityEEEEENSD_19counting_iterator_tIlEES8_S8_S8_S8_S8_S8_S8_S8_EEEEPS9_S9_NSD_9__find_if7functorIS9_EEEE10hipError_tPvRmT1_T2_T3_mT4_P12ihipStream_tbEUlT_E1_NS1_11comp_targetILNS1_3genE10ELNS1_11target_archE1201ELNS1_3gpuE5ELNS1_3repE0EEENS1_30default_config_static_selectorELNS0_4arch9wavefront6targetE0EEEvS14_,comdat
	.protected	_ZN7rocprim17ROCPRIM_400000_NS6detail17trampoline_kernelINS0_14default_configENS1_22reduce_config_selectorIN6thrust23THRUST_200600_302600_NS5tupleIblNS6_9null_typeES8_S8_S8_S8_S8_S8_S8_EEEEZNS1_11reduce_implILb1ES3_NS6_12zip_iteratorINS7_INS6_11hip_rocprim26transform_input_iterator_tIbNSD_35transform_pair_of_input_iterators_tIbNS6_6detail15normal_iteratorINS6_10device_ptrIKtEEEESL_NS6_8equal_toItEEEENSG_9not_fun_tINSD_8identityEEEEENSD_19counting_iterator_tIlEES8_S8_S8_S8_S8_S8_S8_S8_EEEEPS9_S9_NSD_9__find_if7functorIS9_EEEE10hipError_tPvRmT1_T2_T3_mT4_P12ihipStream_tbEUlT_E1_NS1_11comp_targetILNS1_3genE10ELNS1_11target_archE1201ELNS1_3gpuE5ELNS1_3repE0EEENS1_30default_config_static_selectorELNS0_4arch9wavefront6targetE0EEEvS14_ ; -- Begin function _ZN7rocprim17ROCPRIM_400000_NS6detail17trampoline_kernelINS0_14default_configENS1_22reduce_config_selectorIN6thrust23THRUST_200600_302600_NS5tupleIblNS6_9null_typeES8_S8_S8_S8_S8_S8_S8_EEEEZNS1_11reduce_implILb1ES3_NS6_12zip_iteratorINS7_INS6_11hip_rocprim26transform_input_iterator_tIbNSD_35transform_pair_of_input_iterators_tIbNS6_6detail15normal_iteratorINS6_10device_ptrIKtEEEESL_NS6_8equal_toItEEEENSG_9not_fun_tINSD_8identityEEEEENSD_19counting_iterator_tIlEES8_S8_S8_S8_S8_S8_S8_S8_EEEEPS9_S9_NSD_9__find_if7functorIS9_EEEE10hipError_tPvRmT1_T2_T3_mT4_P12ihipStream_tbEUlT_E1_NS1_11comp_targetILNS1_3genE10ELNS1_11target_archE1201ELNS1_3gpuE5ELNS1_3repE0EEENS1_30default_config_static_selectorELNS0_4arch9wavefront6targetE0EEEvS14_
	.globl	_ZN7rocprim17ROCPRIM_400000_NS6detail17trampoline_kernelINS0_14default_configENS1_22reduce_config_selectorIN6thrust23THRUST_200600_302600_NS5tupleIblNS6_9null_typeES8_S8_S8_S8_S8_S8_S8_EEEEZNS1_11reduce_implILb1ES3_NS6_12zip_iteratorINS7_INS6_11hip_rocprim26transform_input_iterator_tIbNSD_35transform_pair_of_input_iterators_tIbNS6_6detail15normal_iteratorINS6_10device_ptrIKtEEEESL_NS6_8equal_toItEEEENSG_9not_fun_tINSD_8identityEEEEENSD_19counting_iterator_tIlEES8_S8_S8_S8_S8_S8_S8_S8_EEEEPS9_S9_NSD_9__find_if7functorIS9_EEEE10hipError_tPvRmT1_T2_T3_mT4_P12ihipStream_tbEUlT_E1_NS1_11comp_targetILNS1_3genE10ELNS1_11target_archE1201ELNS1_3gpuE5ELNS1_3repE0EEENS1_30default_config_static_selectorELNS0_4arch9wavefront6targetE0EEEvS14_
	.p2align	8
	.type	_ZN7rocprim17ROCPRIM_400000_NS6detail17trampoline_kernelINS0_14default_configENS1_22reduce_config_selectorIN6thrust23THRUST_200600_302600_NS5tupleIblNS6_9null_typeES8_S8_S8_S8_S8_S8_S8_EEEEZNS1_11reduce_implILb1ES3_NS6_12zip_iteratorINS7_INS6_11hip_rocprim26transform_input_iterator_tIbNSD_35transform_pair_of_input_iterators_tIbNS6_6detail15normal_iteratorINS6_10device_ptrIKtEEEESL_NS6_8equal_toItEEEENSG_9not_fun_tINSD_8identityEEEEENSD_19counting_iterator_tIlEES8_S8_S8_S8_S8_S8_S8_S8_EEEEPS9_S9_NSD_9__find_if7functorIS9_EEEE10hipError_tPvRmT1_T2_T3_mT4_P12ihipStream_tbEUlT_E1_NS1_11comp_targetILNS1_3genE10ELNS1_11target_archE1201ELNS1_3gpuE5ELNS1_3repE0EEENS1_30default_config_static_selectorELNS0_4arch9wavefront6targetE0EEEvS14_,@function
_ZN7rocprim17ROCPRIM_400000_NS6detail17trampoline_kernelINS0_14default_configENS1_22reduce_config_selectorIN6thrust23THRUST_200600_302600_NS5tupleIblNS6_9null_typeES8_S8_S8_S8_S8_S8_S8_EEEEZNS1_11reduce_implILb1ES3_NS6_12zip_iteratorINS7_INS6_11hip_rocprim26transform_input_iterator_tIbNSD_35transform_pair_of_input_iterators_tIbNS6_6detail15normal_iteratorINS6_10device_ptrIKtEEEESL_NS6_8equal_toItEEEENSG_9not_fun_tINSD_8identityEEEEENSD_19counting_iterator_tIlEES8_S8_S8_S8_S8_S8_S8_S8_EEEEPS9_S9_NSD_9__find_if7functorIS9_EEEE10hipError_tPvRmT1_T2_T3_mT4_P12ihipStream_tbEUlT_E1_NS1_11comp_targetILNS1_3genE10ELNS1_11target_archE1201ELNS1_3gpuE5ELNS1_3repE0EEENS1_30default_config_static_selectorELNS0_4arch9wavefront6targetE0EEEvS14_: ; @_ZN7rocprim17ROCPRIM_400000_NS6detail17trampoline_kernelINS0_14default_configENS1_22reduce_config_selectorIN6thrust23THRUST_200600_302600_NS5tupleIblNS6_9null_typeES8_S8_S8_S8_S8_S8_S8_EEEEZNS1_11reduce_implILb1ES3_NS6_12zip_iteratorINS7_INS6_11hip_rocprim26transform_input_iterator_tIbNSD_35transform_pair_of_input_iterators_tIbNS6_6detail15normal_iteratorINS6_10device_ptrIKtEEEESL_NS6_8equal_toItEEEENSG_9not_fun_tINSD_8identityEEEEENSD_19counting_iterator_tIlEES8_S8_S8_S8_S8_S8_S8_S8_EEEEPS9_S9_NSD_9__find_if7functorIS9_EEEE10hipError_tPvRmT1_T2_T3_mT4_P12ihipStream_tbEUlT_E1_NS1_11comp_targetILNS1_3genE10ELNS1_11target_archE1201ELNS1_3gpuE5ELNS1_3repE0EEENS1_30default_config_static_selectorELNS0_4arch9wavefront6targetE0EEEvS14_
; %bb.0:
	.section	.rodata,"a",@progbits
	.p2align	6, 0x0
	.amdhsa_kernel _ZN7rocprim17ROCPRIM_400000_NS6detail17trampoline_kernelINS0_14default_configENS1_22reduce_config_selectorIN6thrust23THRUST_200600_302600_NS5tupleIblNS6_9null_typeES8_S8_S8_S8_S8_S8_S8_EEEEZNS1_11reduce_implILb1ES3_NS6_12zip_iteratorINS7_INS6_11hip_rocprim26transform_input_iterator_tIbNSD_35transform_pair_of_input_iterators_tIbNS6_6detail15normal_iteratorINS6_10device_ptrIKtEEEESL_NS6_8equal_toItEEEENSG_9not_fun_tINSD_8identityEEEEENSD_19counting_iterator_tIlEES8_S8_S8_S8_S8_S8_S8_S8_EEEEPS9_S9_NSD_9__find_if7functorIS9_EEEE10hipError_tPvRmT1_T2_T3_mT4_P12ihipStream_tbEUlT_E1_NS1_11comp_targetILNS1_3genE10ELNS1_11target_archE1201ELNS1_3gpuE5ELNS1_3repE0EEENS1_30default_config_static_selectorELNS0_4arch9wavefront6targetE0EEEvS14_
		.amdhsa_group_segment_fixed_size 0
		.amdhsa_private_segment_fixed_size 0
		.amdhsa_kernarg_size 88
		.amdhsa_user_sgpr_count 2
		.amdhsa_user_sgpr_dispatch_ptr 0
		.amdhsa_user_sgpr_queue_ptr 0
		.amdhsa_user_sgpr_kernarg_segment_ptr 1
		.amdhsa_user_sgpr_dispatch_id 0
		.amdhsa_user_sgpr_kernarg_preload_length 0
		.amdhsa_user_sgpr_kernarg_preload_offset 0
		.amdhsa_user_sgpr_private_segment_size 0
		.amdhsa_wavefront_size32 1
		.amdhsa_uses_dynamic_stack 0
		.amdhsa_enable_private_segment 0
		.amdhsa_system_sgpr_workgroup_id_x 1
		.amdhsa_system_sgpr_workgroup_id_y 0
		.amdhsa_system_sgpr_workgroup_id_z 0
		.amdhsa_system_sgpr_workgroup_info 0
		.amdhsa_system_vgpr_workitem_id 0
		.amdhsa_next_free_vgpr 1
		.amdhsa_next_free_sgpr 1
		.amdhsa_named_barrier_count 0
		.amdhsa_reserve_vcc 0
		.amdhsa_float_round_mode_32 0
		.amdhsa_float_round_mode_16_64 0
		.amdhsa_float_denorm_mode_32 3
		.amdhsa_float_denorm_mode_16_64 3
		.amdhsa_fp16_overflow 0
		.amdhsa_memory_ordered 1
		.amdhsa_forward_progress 1
		.amdhsa_inst_pref_size 0
		.amdhsa_round_robin_scheduling 0
		.amdhsa_exception_fp_ieee_invalid_op 0
		.amdhsa_exception_fp_denorm_src 0
		.amdhsa_exception_fp_ieee_div_zero 0
		.amdhsa_exception_fp_ieee_overflow 0
		.amdhsa_exception_fp_ieee_underflow 0
		.amdhsa_exception_fp_ieee_inexact 0
		.amdhsa_exception_int_div_zero 0
	.end_amdhsa_kernel
	.section	.text._ZN7rocprim17ROCPRIM_400000_NS6detail17trampoline_kernelINS0_14default_configENS1_22reduce_config_selectorIN6thrust23THRUST_200600_302600_NS5tupleIblNS6_9null_typeES8_S8_S8_S8_S8_S8_S8_EEEEZNS1_11reduce_implILb1ES3_NS6_12zip_iteratorINS7_INS6_11hip_rocprim26transform_input_iterator_tIbNSD_35transform_pair_of_input_iterators_tIbNS6_6detail15normal_iteratorINS6_10device_ptrIKtEEEESL_NS6_8equal_toItEEEENSG_9not_fun_tINSD_8identityEEEEENSD_19counting_iterator_tIlEES8_S8_S8_S8_S8_S8_S8_S8_EEEEPS9_S9_NSD_9__find_if7functorIS9_EEEE10hipError_tPvRmT1_T2_T3_mT4_P12ihipStream_tbEUlT_E1_NS1_11comp_targetILNS1_3genE10ELNS1_11target_archE1201ELNS1_3gpuE5ELNS1_3repE0EEENS1_30default_config_static_selectorELNS0_4arch9wavefront6targetE0EEEvS14_,"axG",@progbits,_ZN7rocprim17ROCPRIM_400000_NS6detail17trampoline_kernelINS0_14default_configENS1_22reduce_config_selectorIN6thrust23THRUST_200600_302600_NS5tupleIblNS6_9null_typeES8_S8_S8_S8_S8_S8_S8_EEEEZNS1_11reduce_implILb1ES3_NS6_12zip_iteratorINS7_INS6_11hip_rocprim26transform_input_iterator_tIbNSD_35transform_pair_of_input_iterators_tIbNS6_6detail15normal_iteratorINS6_10device_ptrIKtEEEESL_NS6_8equal_toItEEEENSG_9not_fun_tINSD_8identityEEEEENSD_19counting_iterator_tIlEES8_S8_S8_S8_S8_S8_S8_S8_EEEEPS9_S9_NSD_9__find_if7functorIS9_EEEE10hipError_tPvRmT1_T2_T3_mT4_P12ihipStream_tbEUlT_E1_NS1_11comp_targetILNS1_3genE10ELNS1_11target_archE1201ELNS1_3gpuE5ELNS1_3repE0EEENS1_30default_config_static_selectorELNS0_4arch9wavefront6targetE0EEEvS14_,comdat
.Lfunc_end202:
	.size	_ZN7rocprim17ROCPRIM_400000_NS6detail17trampoline_kernelINS0_14default_configENS1_22reduce_config_selectorIN6thrust23THRUST_200600_302600_NS5tupleIblNS6_9null_typeES8_S8_S8_S8_S8_S8_S8_EEEEZNS1_11reduce_implILb1ES3_NS6_12zip_iteratorINS7_INS6_11hip_rocprim26transform_input_iterator_tIbNSD_35transform_pair_of_input_iterators_tIbNS6_6detail15normal_iteratorINS6_10device_ptrIKtEEEESL_NS6_8equal_toItEEEENSG_9not_fun_tINSD_8identityEEEEENSD_19counting_iterator_tIlEES8_S8_S8_S8_S8_S8_S8_S8_EEEEPS9_S9_NSD_9__find_if7functorIS9_EEEE10hipError_tPvRmT1_T2_T3_mT4_P12ihipStream_tbEUlT_E1_NS1_11comp_targetILNS1_3genE10ELNS1_11target_archE1201ELNS1_3gpuE5ELNS1_3repE0EEENS1_30default_config_static_selectorELNS0_4arch9wavefront6targetE0EEEvS14_, .Lfunc_end202-_ZN7rocprim17ROCPRIM_400000_NS6detail17trampoline_kernelINS0_14default_configENS1_22reduce_config_selectorIN6thrust23THRUST_200600_302600_NS5tupleIblNS6_9null_typeES8_S8_S8_S8_S8_S8_S8_EEEEZNS1_11reduce_implILb1ES3_NS6_12zip_iteratorINS7_INS6_11hip_rocprim26transform_input_iterator_tIbNSD_35transform_pair_of_input_iterators_tIbNS6_6detail15normal_iteratorINS6_10device_ptrIKtEEEESL_NS6_8equal_toItEEEENSG_9not_fun_tINSD_8identityEEEEENSD_19counting_iterator_tIlEES8_S8_S8_S8_S8_S8_S8_S8_EEEEPS9_S9_NSD_9__find_if7functorIS9_EEEE10hipError_tPvRmT1_T2_T3_mT4_P12ihipStream_tbEUlT_E1_NS1_11comp_targetILNS1_3genE10ELNS1_11target_archE1201ELNS1_3gpuE5ELNS1_3repE0EEENS1_30default_config_static_selectorELNS0_4arch9wavefront6targetE0EEEvS14_
                                        ; -- End function
	.set _ZN7rocprim17ROCPRIM_400000_NS6detail17trampoline_kernelINS0_14default_configENS1_22reduce_config_selectorIN6thrust23THRUST_200600_302600_NS5tupleIblNS6_9null_typeES8_S8_S8_S8_S8_S8_S8_EEEEZNS1_11reduce_implILb1ES3_NS6_12zip_iteratorINS7_INS6_11hip_rocprim26transform_input_iterator_tIbNSD_35transform_pair_of_input_iterators_tIbNS6_6detail15normal_iteratorINS6_10device_ptrIKtEEEESL_NS6_8equal_toItEEEENSG_9not_fun_tINSD_8identityEEEEENSD_19counting_iterator_tIlEES8_S8_S8_S8_S8_S8_S8_S8_EEEEPS9_S9_NSD_9__find_if7functorIS9_EEEE10hipError_tPvRmT1_T2_T3_mT4_P12ihipStream_tbEUlT_E1_NS1_11comp_targetILNS1_3genE10ELNS1_11target_archE1201ELNS1_3gpuE5ELNS1_3repE0EEENS1_30default_config_static_selectorELNS0_4arch9wavefront6targetE0EEEvS14_.num_vgpr, 0
	.set _ZN7rocprim17ROCPRIM_400000_NS6detail17trampoline_kernelINS0_14default_configENS1_22reduce_config_selectorIN6thrust23THRUST_200600_302600_NS5tupleIblNS6_9null_typeES8_S8_S8_S8_S8_S8_S8_EEEEZNS1_11reduce_implILb1ES3_NS6_12zip_iteratorINS7_INS6_11hip_rocprim26transform_input_iterator_tIbNSD_35transform_pair_of_input_iterators_tIbNS6_6detail15normal_iteratorINS6_10device_ptrIKtEEEESL_NS6_8equal_toItEEEENSG_9not_fun_tINSD_8identityEEEEENSD_19counting_iterator_tIlEES8_S8_S8_S8_S8_S8_S8_S8_EEEEPS9_S9_NSD_9__find_if7functorIS9_EEEE10hipError_tPvRmT1_T2_T3_mT4_P12ihipStream_tbEUlT_E1_NS1_11comp_targetILNS1_3genE10ELNS1_11target_archE1201ELNS1_3gpuE5ELNS1_3repE0EEENS1_30default_config_static_selectorELNS0_4arch9wavefront6targetE0EEEvS14_.num_agpr, 0
	.set _ZN7rocprim17ROCPRIM_400000_NS6detail17trampoline_kernelINS0_14default_configENS1_22reduce_config_selectorIN6thrust23THRUST_200600_302600_NS5tupleIblNS6_9null_typeES8_S8_S8_S8_S8_S8_S8_EEEEZNS1_11reduce_implILb1ES3_NS6_12zip_iteratorINS7_INS6_11hip_rocprim26transform_input_iterator_tIbNSD_35transform_pair_of_input_iterators_tIbNS6_6detail15normal_iteratorINS6_10device_ptrIKtEEEESL_NS6_8equal_toItEEEENSG_9not_fun_tINSD_8identityEEEEENSD_19counting_iterator_tIlEES8_S8_S8_S8_S8_S8_S8_S8_EEEEPS9_S9_NSD_9__find_if7functorIS9_EEEE10hipError_tPvRmT1_T2_T3_mT4_P12ihipStream_tbEUlT_E1_NS1_11comp_targetILNS1_3genE10ELNS1_11target_archE1201ELNS1_3gpuE5ELNS1_3repE0EEENS1_30default_config_static_selectorELNS0_4arch9wavefront6targetE0EEEvS14_.numbered_sgpr, 0
	.set _ZN7rocprim17ROCPRIM_400000_NS6detail17trampoline_kernelINS0_14default_configENS1_22reduce_config_selectorIN6thrust23THRUST_200600_302600_NS5tupleIblNS6_9null_typeES8_S8_S8_S8_S8_S8_S8_EEEEZNS1_11reduce_implILb1ES3_NS6_12zip_iteratorINS7_INS6_11hip_rocprim26transform_input_iterator_tIbNSD_35transform_pair_of_input_iterators_tIbNS6_6detail15normal_iteratorINS6_10device_ptrIKtEEEESL_NS6_8equal_toItEEEENSG_9not_fun_tINSD_8identityEEEEENSD_19counting_iterator_tIlEES8_S8_S8_S8_S8_S8_S8_S8_EEEEPS9_S9_NSD_9__find_if7functorIS9_EEEE10hipError_tPvRmT1_T2_T3_mT4_P12ihipStream_tbEUlT_E1_NS1_11comp_targetILNS1_3genE10ELNS1_11target_archE1201ELNS1_3gpuE5ELNS1_3repE0EEENS1_30default_config_static_selectorELNS0_4arch9wavefront6targetE0EEEvS14_.num_named_barrier, 0
	.set _ZN7rocprim17ROCPRIM_400000_NS6detail17trampoline_kernelINS0_14default_configENS1_22reduce_config_selectorIN6thrust23THRUST_200600_302600_NS5tupleIblNS6_9null_typeES8_S8_S8_S8_S8_S8_S8_EEEEZNS1_11reduce_implILb1ES3_NS6_12zip_iteratorINS7_INS6_11hip_rocprim26transform_input_iterator_tIbNSD_35transform_pair_of_input_iterators_tIbNS6_6detail15normal_iteratorINS6_10device_ptrIKtEEEESL_NS6_8equal_toItEEEENSG_9not_fun_tINSD_8identityEEEEENSD_19counting_iterator_tIlEES8_S8_S8_S8_S8_S8_S8_S8_EEEEPS9_S9_NSD_9__find_if7functorIS9_EEEE10hipError_tPvRmT1_T2_T3_mT4_P12ihipStream_tbEUlT_E1_NS1_11comp_targetILNS1_3genE10ELNS1_11target_archE1201ELNS1_3gpuE5ELNS1_3repE0EEENS1_30default_config_static_selectorELNS0_4arch9wavefront6targetE0EEEvS14_.private_seg_size, 0
	.set _ZN7rocprim17ROCPRIM_400000_NS6detail17trampoline_kernelINS0_14default_configENS1_22reduce_config_selectorIN6thrust23THRUST_200600_302600_NS5tupleIblNS6_9null_typeES8_S8_S8_S8_S8_S8_S8_EEEEZNS1_11reduce_implILb1ES3_NS6_12zip_iteratorINS7_INS6_11hip_rocprim26transform_input_iterator_tIbNSD_35transform_pair_of_input_iterators_tIbNS6_6detail15normal_iteratorINS6_10device_ptrIKtEEEESL_NS6_8equal_toItEEEENSG_9not_fun_tINSD_8identityEEEEENSD_19counting_iterator_tIlEES8_S8_S8_S8_S8_S8_S8_S8_EEEEPS9_S9_NSD_9__find_if7functorIS9_EEEE10hipError_tPvRmT1_T2_T3_mT4_P12ihipStream_tbEUlT_E1_NS1_11comp_targetILNS1_3genE10ELNS1_11target_archE1201ELNS1_3gpuE5ELNS1_3repE0EEENS1_30default_config_static_selectorELNS0_4arch9wavefront6targetE0EEEvS14_.uses_vcc, 0
	.set _ZN7rocprim17ROCPRIM_400000_NS6detail17trampoline_kernelINS0_14default_configENS1_22reduce_config_selectorIN6thrust23THRUST_200600_302600_NS5tupleIblNS6_9null_typeES8_S8_S8_S8_S8_S8_S8_EEEEZNS1_11reduce_implILb1ES3_NS6_12zip_iteratorINS7_INS6_11hip_rocprim26transform_input_iterator_tIbNSD_35transform_pair_of_input_iterators_tIbNS6_6detail15normal_iteratorINS6_10device_ptrIKtEEEESL_NS6_8equal_toItEEEENSG_9not_fun_tINSD_8identityEEEEENSD_19counting_iterator_tIlEES8_S8_S8_S8_S8_S8_S8_S8_EEEEPS9_S9_NSD_9__find_if7functorIS9_EEEE10hipError_tPvRmT1_T2_T3_mT4_P12ihipStream_tbEUlT_E1_NS1_11comp_targetILNS1_3genE10ELNS1_11target_archE1201ELNS1_3gpuE5ELNS1_3repE0EEENS1_30default_config_static_selectorELNS0_4arch9wavefront6targetE0EEEvS14_.uses_flat_scratch, 0
	.set _ZN7rocprim17ROCPRIM_400000_NS6detail17trampoline_kernelINS0_14default_configENS1_22reduce_config_selectorIN6thrust23THRUST_200600_302600_NS5tupleIblNS6_9null_typeES8_S8_S8_S8_S8_S8_S8_EEEEZNS1_11reduce_implILb1ES3_NS6_12zip_iteratorINS7_INS6_11hip_rocprim26transform_input_iterator_tIbNSD_35transform_pair_of_input_iterators_tIbNS6_6detail15normal_iteratorINS6_10device_ptrIKtEEEESL_NS6_8equal_toItEEEENSG_9not_fun_tINSD_8identityEEEEENSD_19counting_iterator_tIlEES8_S8_S8_S8_S8_S8_S8_S8_EEEEPS9_S9_NSD_9__find_if7functorIS9_EEEE10hipError_tPvRmT1_T2_T3_mT4_P12ihipStream_tbEUlT_E1_NS1_11comp_targetILNS1_3genE10ELNS1_11target_archE1201ELNS1_3gpuE5ELNS1_3repE0EEENS1_30default_config_static_selectorELNS0_4arch9wavefront6targetE0EEEvS14_.has_dyn_sized_stack, 0
	.set _ZN7rocprim17ROCPRIM_400000_NS6detail17trampoline_kernelINS0_14default_configENS1_22reduce_config_selectorIN6thrust23THRUST_200600_302600_NS5tupleIblNS6_9null_typeES8_S8_S8_S8_S8_S8_S8_EEEEZNS1_11reduce_implILb1ES3_NS6_12zip_iteratorINS7_INS6_11hip_rocprim26transform_input_iterator_tIbNSD_35transform_pair_of_input_iterators_tIbNS6_6detail15normal_iteratorINS6_10device_ptrIKtEEEESL_NS6_8equal_toItEEEENSG_9not_fun_tINSD_8identityEEEEENSD_19counting_iterator_tIlEES8_S8_S8_S8_S8_S8_S8_S8_EEEEPS9_S9_NSD_9__find_if7functorIS9_EEEE10hipError_tPvRmT1_T2_T3_mT4_P12ihipStream_tbEUlT_E1_NS1_11comp_targetILNS1_3genE10ELNS1_11target_archE1201ELNS1_3gpuE5ELNS1_3repE0EEENS1_30default_config_static_selectorELNS0_4arch9wavefront6targetE0EEEvS14_.has_recursion, 0
	.set _ZN7rocprim17ROCPRIM_400000_NS6detail17trampoline_kernelINS0_14default_configENS1_22reduce_config_selectorIN6thrust23THRUST_200600_302600_NS5tupleIblNS6_9null_typeES8_S8_S8_S8_S8_S8_S8_EEEEZNS1_11reduce_implILb1ES3_NS6_12zip_iteratorINS7_INS6_11hip_rocprim26transform_input_iterator_tIbNSD_35transform_pair_of_input_iterators_tIbNS6_6detail15normal_iteratorINS6_10device_ptrIKtEEEESL_NS6_8equal_toItEEEENSG_9not_fun_tINSD_8identityEEEEENSD_19counting_iterator_tIlEES8_S8_S8_S8_S8_S8_S8_S8_EEEEPS9_S9_NSD_9__find_if7functorIS9_EEEE10hipError_tPvRmT1_T2_T3_mT4_P12ihipStream_tbEUlT_E1_NS1_11comp_targetILNS1_3genE10ELNS1_11target_archE1201ELNS1_3gpuE5ELNS1_3repE0EEENS1_30default_config_static_selectorELNS0_4arch9wavefront6targetE0EEEvS14_.has_indirect_call, 0
	.section	.AMDGPU.csdata,"",@progbits
; Kernel info:
; codeLenInByte = 0
; TotalNumSgprs: 0
; NumVgprs: 0
; ScratchSize: 0
; MemoryBound: 0
; FloatMode: 240
; IeeeMode: 1
; LDSByteSize: 0 bytes/workgroup (compile time only)
; SGPRBlocks: 0
; VGPRBlocks: 0
; NumSGPRsForWavesPerEU: 1
; NumVGPRsForWavesPerEU: 1
; NamedBarCnt: 0
; Occupancy: 16
; WaveLimiterHint : 0
; COMPUTE_PGM_RSRC2:SCRATCH_EN: 0
; COMPUTE_PGM_RSRC2:USER_SGPR: 2
; COMPUTE_PGM_RSRC2:TRAP_HANDLER: 0
; COMPUTE_PGM_RSRC2:TGID_X_EN: 1
; COMPUTE_PGM_RSRC2:TGID_Y_EN: 0
; COMPUTE_PGM_RSRC2:TGID_Z_EN: 0
; COMPUTE_PGM_RSRC2:TIDIG_COMP_CNT: 0
	.section	.text._ZN7rocprim17ROCPRIM_400000_NS6detail17trampoline_kernelINS0_14default_configENS1_22reduce_config_selectorIN6thrust23THRUST_200600_302600_NS5tupleIblNS6_9null_typeES8_S8_S8_S8_S8_S8_S8_EEEEZNS1_11reduce_implILb1ES3_NS6_12zip_iteratorINS7_INS6_11hip_rocprim26transform_input_iterator_tIbNSD_35transform_pair_of_input_iterators_tIbNS6_6detail15normal_iteratorINS6_10device_ptrIKtEEEESL_NS6_8equal_toItEEEENSG_9not_fun_tINSD_8identityEEEEENSD_19counting_iterator_tIlEES8_S8_S8_S8_S8_S8_S8_S8_EEEEPS9_S9_NSD_9__find_if7functorIS9_EEEE10hipError_tPvRmT1_T2_T3_mT4_P12ihipStream_tbEUlT_E1_NS1_11comp_targetILNS1_3genE10ELNS1_11target_archE1200ELNS1_3gpuE4ELNS1_3repE0EEENS1_30default_config_static_selectorELNS0_4arch9wavefront6targetE0EEEvS14_,"axG",@progbits,_ZN7rocprim17ROCPRIM_400000_NS6detail17trampoline_kernelINS0_14default_configENS1_22reduce_config_selectorIN6thrust23THRUST_200600_302600_NS5tupleIblNS6_9null_typeES8_S8_S8_S8_S8_S8_S8_EEEEZNS1_11reduce_implILb1ES3_NS6_12zip_iteratorINS7_INS6_11hip_rocprim26transform_input_iterator_tIbNSD_35transform_pair_of_input_iterators_tIbNS6_6detail15normal_iteratorINS6_10device_ptrIKtEEEESL_NS6_8equal_toItEEEENSG_9not_fun_tINSD_8identityEEEEENSD_19counting_iterator_tIlEES8_S8_S8_S8_S8_S8_S8_S8_EEEEPS9_S9_NSD_9__find_if7functorIS9_EEEE10hipError_tPvRmT1_T2_T3_mT4_P12ihipStream_tbEUlT_E1_NS1_11comp_targetILNS1_3genE10ELNS1_11target_archE1200ELNS1_3gpuE4ELNS1_3repE0EEENS1_30default_config_static_selectorELNS0_4arch9wavefront6targetE0EEEvS14_,comdat
	.protected	_ZN7rocprim17ROCPRIM_400000_NS6detail17trampoline_kernelINS0_14default_configENS1_22reduce_config_selectorIN6thrust23THRUST_200600_302600_NS5tupleIblNS6_9null_typeES8_S8_S8_S8_S8_S8_S8_EEEEZNS1_11reduce_implILb1ES3_NS6_12zip_iteratorINS7_INS6_11hip_rocprim26transform_input_iterator_tIbNSD_35transform_pair_of_input_iterators_tIbNS6_6detail15normal_iteratorINS6_10device_ptrIKtEEEESL_NS6_8equal_toItEEEENSG_9not_fun_tINSD_8identityEEEEENSD_19counting_iterator_tIlEES8_S8_S8_S8_S8_S8_S8_S8_EEEEPS9_S9_NSD_9__find_if7functorIS9_EEEE10hipError_tPvRmT1_T2_T3_mT4_P12ihipStream_tbEUlT_E1_NS1_11comp_targetILNS1_3genE10ELNS1_11target_archE1200ELNS1_3gpuE4ELNS1_3repE0EEENS1_30default_config_static_selectorELNS0_4arch9wavefront6targetE0EEEvS14_ ; -- Begin function _ZN7rocprim17ROCPRIM_400000_NS6detail17trampoline_kernelINS0_14default_configENS1_22reduce_config_selectorIN6thrust23THRUST_200600_302600_NS5tupleIblNS6_9null_typeES8_S8_S8_S8_S8_S8_S8_EEEEZNS1_11reduce_implILb1ES3_NS6_12zip_iteratorINS7_INS6_11hip_rocprim26transform_input_iterator_tIbNSD_35transform_pair_of_input_iterators_tIbNS6_6detail15normal_iteratorINS6_10device_ptrIKtEEEESL_NS6_8equal_toItEEEENSG_9not_fun_tINSD_8identityEEEEENSD_19counting_iterator_tIlEES8_S8_S8_S8_S8_S8_S8_S8_EEEEPS9_S9_NSD_9__find_if7functorIS9_EEEE10hipError_tPvRmT1_T2_T3_mT4_P12ihipStream_tbEUlT_E1_NS1_11comp_targetILNS1_3genE10ELNS1_11target_archE1200ELNS1_3gpuE4ELNS1_3repE0EEENS1_30default_config_static_selectorELNS0_4arch9wavefront6targetE0EEEvS14_
	.globl	_ZN7rocprim17ROCPRIM_400000_NS6detail17trampoline_kernelINS0_14default_configENS1_22reduce_config_selectorIN6thrust23THRUST_200600_302600_NS5tupleIblNS6_9null_typeES8_S8_S8_S8_S8_S8_S8_EEEEZNS1_11reduce_implILb1ES3_NS6_12zip_iteratorINS7_INS6_11hip_rocprim26transform_input_iterator_tIbNSD_35transform_pair_of_input_iterators_tIbNS6_6detail15normal_iteratorINS6_10device_ptrIKtEEEESL_NS6_8equal_toItEEEENSG_9not_fun_tINSD_8identityEEEEENSD_19counting_iterator_tIlEES8_S8_S8_S8_S8_S8_S8_S8_EEEEPS9_S9_NSD_9__find_if7functorIS9_EEEE10hipError_tPvRmT1_T2_T3_mT4_P12ihipStream_tbEUlT_E1_NS1_11comp_targetILNS1_3genE10ELNS1_11target_archE1200ELNS1_3gpuE4ELNS1_3repE0EEENS1_30default_config_static_selectorELNS0_4arch9wavefront6targetE0EEEvS14_
	.p2align	8
	.type	_ZN7rocprim17ROCPRIM_400000_NS6detail17trampoline_kernelINS0_14default_configENS1_22reduce_config_selectorIN6thrust23THRUST_200600_302600_NS5tupleIblNS6_9null_typeES8_S8_S8_S8_S8_S8_S8_EEEEZNS1_11reduce_implILb1ES3_NS6_12zip_iteratorINS7_INS6_11hip_rocprim26transform_input_iterator_tIbNSD_35transform_pair_of_input_iterators_tIbNS6_6detail15normal_iteratorINS6_10device_ptrIKtEEEESL_NS6_8equal_toItEEEENSG_9not_fun_tINSD_8identityEEEEENSD_19counting_iterator_tIlEES8_S8_S8_S8_S8_S8_S8_S8_EEEEPS9_S9_NSD_9__find_if7functorIS9_EEEE10hipError_tPvRmT1_T2_T3_mT4_P12ihipStream_tbEUlT_E1_NS1_11comp_targetILNS1_3genE10ELNS1_11target_archE1200ELNS1_3gpuE4ELNS1_3repE0EEENS1_30default_config_static_selectorELNS0_4arch9wavefront6targetE0EEEvS14_,@function
_ZN7rocprim17ROCPRIM_400000_NS6detail17trampoline_kernelINS0_14default_configENS1_22reduce_config_selectorIN6thrust23THRUST_200600_302600_NS5tupleIblNS6_9null_typeES8_S8_S8_S8_S8_S8_S8_EEEEZNS1_11reduce_implILb1ES3_NS6_12zip_iteratorINS7_INS6_11hip_rocprim26transform_input_iterator_tIbNSD_35transform_pair_of_input_iterators_tIbNS6_6detail15normal_iteratorINS6_10device_ptrIKtEEEESL_NS6_8equal_toItEEEENSG_9not_fun_tINSD_8identityEEEEENSD_19counting_iterator_tIlEES8_S8_S8_S8_S8_S8_S8_S8_EEEEPS9_S9_NSD_9__find_if7functorIS9_EEEE10hipError_tPvRmT1_T2_T3_mT4_P12ihipStream_tbEUlT_E1_NS1_11comp_targetILNS1_3genE10ELNS1_11target_archE1200ELNS1_3gpuE4ELNS1_3repE0EEENS1_30default_config_static_selectorELNS0_4arch9wavefront6targetE0EEEvS14_: ; @_ZN7rocprim17ROCPRIM_400000_NS6detail17trampoline_kernelINS0_14default_configENS1_22reduce_config_selectorIN6thrust23THRUST_200600_302600_NS5tupleIblNS6_9null_typeES8_S8_S8_S8_S8_S8_S8_EEEEZNS1_11reduce_implILb1ES3_NS6_12zip_iteratorINS7_INS6_11hip_rocprim26transform_input_iterator_tIbNSD_35transform_pair_of_input_iterators_tIbNS6_6detail15normal_iteratorINS6_10device_ptrIKtEEEESL_NS6_8equal_toItEEEENSG_9not_fun_tINSD_8identityEEEEENSD_19counting_iterator_tIlEES8_S8_S8_S8_S8_S8_S8_S8_EEEEPS9_S9_NSD_9__find_if7functorIS9_EEEE10hipError_tPvRmT1_T2_T3_mT4_P12ihipStream_tbEUlT_E1_NS1_11comp_targetILNS1_3genE10ELNS1_11target_archE1200ELNS1_3gpuE4ELNS1_3repE0EEENS1_30default_config_static_selectorELNS0_4arch9wavefront6targetE0EEEvS14_
; %bb.0:
	.section	.rodata,"a",@progbits
	.p2align	6, 0x0
	.amdhsa_kernel _ZN7rocprim17ROCPRIM_400000_NS6detail17trampoline_kernelINS0_14default_configENS1_22reduce_config_selectorIN6thrust23THRUST_200600_302600_NS5tupleIblNS6_9null_typeES8_S8_S8_S8_S8_S8_S8_EEEEZNS1_11reduce_implILb1ES3_NS6_12zip_iteratorINS7_INS6_11hip_rocprim26transform_input_iterator_tIbNSD_35transform_pair_of_input_iterators_tIbNS6_6detail15normal_iteratorINS6_10device_ptrIKtEEEESL_NS6_8equal_toItEEEENSG_9not_fun_tINSD_8identityEEEEENSD_19counting_iterator_tIlEES8_S8_S8_S8_S8_S8_S8_S8_EEEEPS9_S9_NSD_9__find_if7functorIS9_EEEE10hipError_tPvRmT1_T2_T3_mT4_P12ihipStream_tbEUlT_E1_NS1_11comp_targetILNS1_3genE10ELNS1_11target_archE1200ELNS1_3gpuE4ELNS1_3repE0EEENS1_30default_config_static_selectorELNS0_4arch9wavefront6targetE0EEEvS14_
		.amdhsa_group_segment_fixed_size 0
		.amdhsa_private_segment_fixed_size 0
		.amdhsa_kernarg_size 88
		.amdhsa_user_sgpr_count 2
		.amdhsa_user_sgpr_dispatch_ptr 0
		.amdhsa_user_sgpr_queue_ptr 0
		.amdhsa_user_sgpr_kernarg_segment_ptr 1
		.amdhsa_user_sgpr_dispatch_id 0
		.amdhsa_user_sgpr_kernarg_preload_length 0
		.amdhsa_user_sgpr_kernarg_preload_offset 0
		.amdhsa_user_sgpr_private_segment_size 0
		.amdhsa_wavefront_size32 1
		.amdhsa_uses_dynamic_stack 0
		.amdhsa_enable_private_segment 0
		.amdhsa_system_sgpr_workgroup_id_x 1
		.amdhsa_system_sgpr_workgroup_id_y 0
		.amdhsa_system_sgpr_workgroup_id_z 0
		.amdhsa_system_sgpr_workgroup_info 0
		.amdhsa_system_vgpr_workitem_id 0
		.amdhsa_next_free_vgpr 1
		.amdhsa_next_free_sgpr 1
		.amdhsa_named_barrier_count 0
		.amdhsa_reserve_vcc 0
		.amdhsa_float_round_mode_32 0
		.amdhsa_float_round_mode_16_64 0
		.amdhsa_float_denorm_mode_32 3
		.amdhsa_float_denorm_mode_16_64 3
		.amdhsa_fp16_overflow 0
		.amdhsa_memory_ordered 1
		.amdhsa_forward_progress 1
		.amdhsa_inst_pref_size 0
		.amdhsa_round_robin_scheduling 0
		.amdhsa_exception_fp_ieee_invalid_op 0
		.amdhsa_exception_fp_denorm_src 0
		.amdhsa_exception_fp_ieee_div_zero 0
		.amdhsa_exception_fp_ieee_overflow 0
		.amdhsa_exception_fp_ieee_underflow 0
		.amdhsa_exception_fp_ieee_inexact 0
		.amdhsa_exception_int_div_zero 0
	.end_amdhsa_kernel
	.section	.text._ZN7rocprim17ROCPRIM_400000_NS6detail17trampoline_kernelINS0_14default_configENS1_22reduce_config_selectorIN6thrust23THRUST_200600_302600_NS5tupleIblNS6_9null_typeES8_S8_S8_S8_S8_S8_S8_EEEEZNS1_11reduce_implILb1ES3_NS6_12zip_iteratorINS7_INS6_11hip_rocprim26transform_input_iterator_tIbNSD_35transform_pair_of_input_iterators_tIbNS6_6detail15normal_iteratorINS6_10device_ptrIKtEEEESL_NS6_8equal_toItEEEENSG_9not_fun_tINSD_8identityEEEEENSD_19counting_iterator_tIlEES8_S8_S8_S8_S8_S8_S8_S8_EEEEPS9_S9_NSD_9__find_if7functorIS9_EEEE10hipError_tPvRmT1_T2_T3_mT4_P12ihipStream_tbEUlT_E1_NS1_11comp_targetILNS1_3genE10ELNS1_11target_archE1200ELNS1_3gpuE4ELNS1_3repE0EEENS1_30default_config_static_selectorELNS0_4arch9wavefront6targetE0EEEvS14_,"axG",@progbits,_ZN7rocprim17ROCPRIM_400000_NS6detail17trampoline_kernelINS0_14default_configENS1_22reduce_config_selectorIN6thrust23THRUST_200600_302600_NS5tupleIblNS6_9null_typeES8_S8_S8_S8_S8_S8_S8_EEEEZNS1_11reduce_implILb1ES3_NS6_12zip_iteratorINS7_INS6_11hip_rocprim26transform_input_iterator_tIbNSD_35transform_pair_of_input_iterators_tIbNS6_6detail15normal_iteratorINS6_10device_ptrIKtEEEESL_NS6_8equal_toItEEEENSG_9not_fun_tINSD_8identityEEEEENSD_19counting_iterator_tIlEES8_S8_S8_S8_S8_S8_S8_S8_EEEEPS9_S9_NSD_9__find_if7functorIS9_EEEE10hipError_tPvRmT1_T2_T3_mT4_P12ihipStream_tbEUlT_E1_NS1_11comp_targetILNS1_3genE10ELNS1_11target_archE1200ELNS1_3gpuE4ELNS1_3repE0EEENS1_30default_config_static_selectorELNS0_4arch9wavefront6targetE0EEEvS14_,comdat
.Lfunc_end203:
	.size	_ZN7rocprim17ROCPRIM_400000_NS6detail17trampoline_kernelINS0_14default_configENS1_22reduce_config_selectorIN6thrust23THRUST_200600_302600_NS5tupleIblNS6_9null_typeES8_S8_S8_S8_S8_S8_S8_EEEEZNS1_11reduce_implILb1ES3_NS6_12zip_iteratorINS7_INS6_11hip_rocprim26transform_input_iterator_tIbNSD_35transform_pair_of_input_iterators_tIbNS6_6detail15normal_iteratorINS6_10device_ptrIKtEEEESL_NS6_8equal_toItEEEENSG_9not_fun_tINSD_8identityEEEEENSD_19counting_iterator_tIlEES8_S8_S8_S8_S8_S8_S8_S8_EEEEPS9_S9_NSD_9__find_if7functorIS9_EEEE10hipError_tPvRmT1_T2_T3_mT4_P12ihipStream_tbEUlT_E1_NS1_11comp_targetILNS1_3genE10ELNS1_11target_archE1200ELNS1_3gpuE4ELNS1_3repE0EEENS1_30default_config_static_selectorELNS0_4arch9wavefront6targetE0EEEvS14_, .Lfunc_end203-_ZN7rocprim17ROCPRIM_400000_NS6detail17trampoline_kernelINS0_14default_configENS1_22reduce_config_selectorIN6thrust23THRUST_200600_302600_NS5tupleIblNS6_9null_typeES8_S8_S8_S8_S8_S8_S8_EEEEZNS1_11reduce_implILb1ES3_NS6_12zip_iteratorINS7_INS6_11hip_rocprim26transform_input_iterator_tIbNSD_35transform_pair_of_input_iterators_tIbNS6_6detail15normal_iteratorINS6_10device_ptrIKtEEEESL_NS6_8equal_toItEEEENSG_9not_fun_tINSD_8identityEEEEENSD_19counting_iterator_tIlEES8_S8_S8_S8_S8_S8_S8_S8_EEEEPS9_S9_NSD_9__find_if7functorIS9_EEEE10hipError_tPvRmT1_T2_T3_mT4_P12ihipStream_tbEUlT_E1_NS1_11comp_targetILNS1_3genE10ELNS1_11target_archE1200ELNS1_3gpuE4ELNS1_3repE0EEENS1_30default_config_static_selectorELNS0_4arch9wavefront6targetE0EEEvS14_
                                        ; -- End function
	.set _ZN7rocprim17ROCPRIM_400000_NS6detail17trampoline_kernelINS0_14default_configENS1_22reduce_config_selectorIN6thrust23THRUST_200600_302600_NS5tupleIblNS6_9null_typeES8_S8_S8_S8_S8_S8_S8_EEEEZNS1_11reduce_implILb1ES3_NS6_12zip_iteratorINS7_INS6_11hip_rocprim26transform_input_iterator_tIbNSD_35transform_pair_of_input_iterators_tIbNS6_6detail15normal_iteratorINS6_10device_ptrIKtEEEESL_NS6_8equal_toItEEEENSG_9not_fun_tINSD_8identityEEEEENSD_19counting_iterator_tIlEES8_S8_S8_S8_S8_S8_S8_S8_EEEEPS9_S9_NSD_9__find_if7functorIS9_EEEE10hipError_tPvRmT1_T2_T3_mT4_P12ihipStream_tbEUlT_E1_NS1_11comp_targetILNS1_3genE10ELNS1_11target_archE1200ELNS1_3gpuE4ELNS1_3repE0EEENS1_30default_config_static_selectorELNS0_4arch9wavefront6targetE0EEEvS14_.num_vgpr, 0
	.set _ZN7rocprim17ROCPRIM_400000_NS6detail17trampoline_kernelINS0_14default_configENS1_22reduce_config_selectorIN6thrust23THRUST_200600_302600_NS5tupleIblNS6_9null_typeES8_S8_S8_S8_S8_S8_S8_EEEEZNS1_11reduce_implILb1ES3_NS6_12zip_iteratorINS7_INS6_11hip_rocprim26transform_input_iterator_tIbNSD_35transform_pair_of_input_iterators_tIbNS6_6detail15normal_iteratorINS6_10device_ptrIKtEEEESL_NS6_8equal_toItEEEENSG_9not_fun_tINSD_8identityEEEEENSD_19counting_iterator_tIlEES8_S8_S8_S8_S8_S8_S8_S8_EEEEPS9_S9_NSD_9__find_if7functorIS9_EEEE10hipError_tPvRmT1_T2_T3_mT4_P12ihipStream_tbEUlT_E1_NS1_11comp_targetILNS1_3genE10ELNS1_11target_archE1200ELNS1_3gpuE4ELNS1_3repE0EEENS1_30default_config_static_selectorELNS0_4arch9wavefront6targetE0EEEvS14_.num_agpr, 0
	.set _ZN7rocprim17ROCPRIM_400000_NS6detail17trampoline_kernelINS0_14default_configENS1_22reduce_config_selectorIN6thrust23THRUST_200600_302600_NS5tupleIblNS6_9null_typeES8_S8_S8_S8_S8_S8_S8_EEEEZNS1_11reduce_implILb1ES3_NS6_12zip_iteratorINS7_INS6_11hip_rocprim26transform_input_iterator_tIbNSD_35transform_pair_of_input_iterators_tIbNS6_6detail15normal_iteratorINS6_10device_ptrIKtEEEESL_NS6_8equal_toItEEEENSG_9not_fun_tINSD_8identityEEEEENSD_19counting_iterator_tIlEES8_S8_S8_S8_S8_S8_S8_S8_EEEEPS9_S9_NSD_9__find_if7functorIS9_EEEE10hipError_tPvRmT1_T2_T3_mT4_P12ihipStream_tbEUlT_E1_NS1_11comp_targetILNS1_3genE10ELNS1_11target_archE1200ELNS1_3gpuE4ELNS1_3repE0EEENS1_30default_config_static_selectorELNS0_4arch9wavefront6targetE0EEEvS14_.numbered_sgpr, 0
	.set _ZN7rocprim17ROCPRIM_400000_NS6detail17trampoline_kernelINS0_14default_configENS1_22reduce_config_selectorIN6thrust23THRUST_200600_302600_NS5tupleIblNS6_9null_typeES8_S8_S8_S8_S8_S8_S8_EEEEZNS1_11reduce_implILb1ES3_NS6_12zip_iteratorINS7_INS6_11hip_rocprim26transform_input_iterator_tIbNSD_35transform_pair_of_input_iterators_tIbNS6_6detail15normal_iteratorINS6_10device_ptrIKtEEEESL_NS6_8equal_toItEEEENSG_9not_fun_tINSD_8identityEEEEENSD_19counting_iterator_tIlEES8_S8_S8_S8_S8_S8_S8_S8_EEEEPS9_S9_NSD_9__find_if7functorIS9_EEEE10hipError_tPvRmT1_T2_T3_mT4_P12ihipStream_tbEUlT_E1_NS1_11comp_targetILNS1_3genE10ELNS1_11target_archE1200ELNS1_3gpuE4ELNS1_3repE0EEENS1_30default_config_static_selectorELNS0_4arch9wavefront6targetE0EEEvS14_.num_named_barrier, 0
	.set _ZN7rocprim17ROCPRIM_400000_NS6detail17trampoline_kernelINS0_14default_configENS1_22reduce_config_selectorIN6thrust23THRUST_200600_302600_NS5tupleIblNS6_9null_typeES8_S8_S8_S8_S8_S8_S8_EEEEZNS1_11reduce_implILb1ES3_NS6_12zip_iteratorINS7_INS6_11hip_rocprim26transform_input_iterator_tIbNSD_35transform_pair_of_input_iterators_tIbNS6_6detail15normal_iteratorINS6_10device_ptrIKtEEEESL_NS6_8equal_toItEEEENSG_9not_fun_tINSD_8identityEEEEENSD_19counting_iterator_tIlEES8_S8_S8_S8_S8_S8_S8_S8_EEEEPS9_S9_NSD_9__find_if7functorIS9_EEEE10hipError_tPvRmT1_T2_T3_mT4_P12ihipStream_tbEUlT_E1_NS1_11comp_targetILNS1_3genE10ELNS1_11target_archE1200ELNS1_3gpuE4ELNS1_3repE0EEENS1_30default_config_static_selectorELNS0_4arch9wavefront6targetE0EEEvS14_.private_seg_size, 0
	.set _ZN7rocprim17ROCPRIM_400000_NS6detail17trampoline_kernelINS0_14default_configENS1_22reduce_config_selectorIN6thrust23THRUST_200600_302600_NS5tupleIblNS6_9null_typeES8_S8_S8_S8_S8_S8_S8_EEEEZNS1_11reduce_implILb1ES3_NS6_12zip_iteratorINS7_INS6_11hip_rocprim26transform_input_iterator_tIbNSD_35transform_pair_of_input_iterators_tIbNS6_6detail15normal_iteratorINS6_10device_ptrIKtEEEESL_NS6_8equal_toItEEEENSG_9not_fun_tINSD_8identityEEEEENSD_19counting_iterator_tIlEES8_S8_S8_S8_S8_S8_S8_S8_EEEEPS9_S9_NSD_9__find_if7functorIS9_EEEE10hipError_tPvRmT1_T2_T3_mT4_P12ihipStream_tbEUlT_E1_NS1_11comp_targetILNS1_3genE10ELNS1_11target_archE1200ELNS1_3gpuE4ELNS1_3repE0EEENS1_30default_config_static_selectorELNS0_4arch9wavefront6targetE0EEEvS14_.uses_vcc, 0
	.set _ZN7rocprim17ROCPRIM_400000_NS6detail17trampoline_kernelINS0_14default_configENS1_22reduce_config_selectorIN6thrust23THRUST_200600_302600_NS5tupleIblNS6_9null_typeES8_S8_S8_S8_S8_S8_S8_EEEEZNS1_11reduce_implILb1ES3_NS6_12zip_iteratorINS7_INS6_11hip_rocprim26transform_input_iterator_tIbNSD_35transform_pair_of_input_iterators_tIbNS6_6detail15normal_iteratorINS6_10device_ptrIKtEEEESL_NS6_8equal_toItEEEENSG_9not_fun_tINSD_8identityEEEEENSD_19counting_iterator_tIlEES8_S8_S8_S8_S8_S8_S8_S8_EEEEPS9_S9_NSD_9__find_if7functorIS9_EEEE10hipError_tPvRmT1_T2_T3_mT4_P12ihipStream_tbEUlT_E1_NS1_11comp_targetILNS1_3genE10ELNS1_11target_archE1200ELNS1_3gpuE4ELNS1_3repE0EEENS1_30default_config_static_selectorELNS0_4arch9wavefront6targetE0EEEvS14_.uses_flat_scratch, 0
	.set _ZN7rocprim17ROCPRIM_400000_NS6detail17trampoline_kernelINS0_14default_configENS1_22reduce_config_selectorIN6thrust23THRUST_200600_302600_NS5tupleIblNS6_9null_typeES8_S8_S8_S8_S8_S8_S8_EEEEZNS1_11reduce_implILb1ES3_NS6_12zip_iteratorINS7_INS6_11hip_rocprim26transform_input_iterator_tIbNSD_35transform_pair_of_input_iterators_tIbNS6_6detail15normal_iteratorINS6_10device_ptrIKtEEEESL_NS6_8equal_toItEEEENSG_9not_fun_tINSD_8identityEEEEENSD_19counting_iterator_tIlEES8_S8_S8_S8_S8_S8_S8_S8_EEEEPS9_S9_NSD_9__find_if7functorIS9_EEEE10hipError_tPvRmT1_T2_T3_mT4_P12ihipStream_tbEUlT_E1_NS1_11comp_targetILNS1_3genE10ELNS1_11target_archE1200ELNS1_3gpuE4ELNS1_3repE0EEENS1_30default_config_static_selectorELNS0_4arch9wavefront6targetE0EEEvS14_.has_dyn_sized_stack, 0
	.set _ZN7rocprim17ROCPRIM_400000_NS6detail17trampoline_kernelINS0_14default_configENS1_22reduce_config_selectorIN6thrust23THRUST_200600_302600_NS5tupleIblNS6_9null_typeES8_S8_S8_S8_S8_S8_S8_EEEEZNS1_11reduce_implILb1ES3_NS6_12zip_iteratorINS7_INS6_11hip_rocprim26transform_input_iterator_tIbNSD_35transform_pair_of_input_iterators_tIbNS6_6detail15normal_iteratorINS6_10device_ptrIKtEEEESL_NS6_8equal_toItEEEENSG_9not_fun_tINSD_8identityEEEEENSD_19counting_iterator_tIlEES8_S8_S8_S8_S8_S8_S8_S8_EEEEPS9_S9_NSD_9__find_if7functorIS9_EEEE10hipError_tPvRmT1_T2_T3_mT4_P12ihipStream_tbEUlT_E1_NS1_11comp_targetILNS1_3genE10ELNS1_11target_archE1200ELNS1_3gpuE4ELNS1_3repE0EEENS1_30default_config_static_selectorELNS0_4arch9wavefront6targetE0EEEvS14_.has_recursion, 0
	.set _ZN7rocprim17ROCPRIM_400000_NS6detail17trampoline_kernelINS0_14default_configENS1_22reduce_config_selectorIN6thrust23THRUST_200600_302600_NS5tupleIblNS6_9null_typeES8_S8_S8_S8_S8_S8_S8_EEEEZNS1_11reduce_implILb1ES3_NS6_12zip_iteratorINS7_INS6_11hip_rocprim26transform_input_iterator_tIbNSD_35transform_pair_of_input_iterators_tIbNS6_6detail15normal_iteratorINS6_10device_ptrIKtEEEESL_NS6_8equal_toItEEEENSG_9not_fun_tINSD_8identityEEEEENSD_19counting_iterator_tIlEES8_S8_S8_S8_S8_S8_S8_S8_EEEEPS9_S9_NSD_9__find_if7functorIS9_EEEE10hipError_tPvRmT1_T2_T3_mT4_P12ihipStream_tbEUlT_E1_NS1_11comp_targetILNS1_3genE10ELNS1_11target_archE1200ELNS1_3gpuE4ELNS1_3repE0EEENS1_30default_config_static_selectorELNS0_4arch9wavefront6targetE0EEEvS14_.has_indirect_call, 0
	.section	.AMDGPU.csdata,"",@progbits
; Kernel info:
; codeLenInByte = 0
; TotalNumSgprs: 0
; NumVgprs: 0
; ScratchSize: 0
; MemoryBound: 0
; FloatMode: 240
; IeeeMode: 1
; LDSByteSize: 0 bytes/workgroup (compile time only)
; SGPRBlocks: 0
; VGPRBlocks: 0
; NumSGPRsForWavesPerEU: 1
; NumVGPRsForWavesPerEU: 1
; NamedBarCnt: 0
; Occupancy: 16
; WaveLimiterHint : 0
; COMPUTE_PGM_RSRC2:SCRATCH_EN: 0
; COMPUTE_PGM_RSRC2:USER_SGPR: 2
; COMPUTE_PGM_RSRC2:TRAP_HANDLER: 0
; COMPUTE_PGM_RSRC2:TGID_X_EN: 1
; COMPUTE_PGM_RSRC2:TGID_Y_EN: 0
; COMPUTE_PGM_RSRC2:TGID_Z_EN: 0
; COMPUTE_PGM_RSRC2:TIDIG_COMP_CNT: 0
	.section	.text._ZN7rocprim17ROCPRIM_400000_NS6detail17trampoline_kernelINS0_14default_configENS1_22reduce_config_selectorIN6thrust23THRUST_200600_302600_NS5tupleIblNS6_9null_typeES8_S8_S8_S8_S8_S8_S8_EEEEZNS1_11reduce_implILb1ES3_NS6_12zip_iteratorINS7_INS6_11hip_rocprim26transform_input_iterator_tIbNSD_35transform_pair_of_input_iterators_tIbNS6_6detail15normal_iteratorINS6_10device_ptrIKtEEEESL_NS6_8equal_toItEEEENSG_9not_fun_tINSD_8identityEEEEENSD_19counting_iterator_tIlEES8_S8_S8_S8_S8_S8_S8_S8_EEEEPS9_S9_NSD_9__find_if7functorIS9_EEEE10hipError_tPvRmT1_T2_T3_mT4_P12ihipStream_tbEUlT_E1_NS1_11comp_targetILNS1_3genE9ELNS1_11target_archE1100ELNS1_3gpuE3ELNS1_3repE0EEENS1_30default_config_static_selectorELNS0_4arch9wavefront6targetE0EEEvS14_,"axG",@progbits,_ZN7rocprim17ROCPRIM_400000_NS6detail17trampoline_kernelINS0_14default_configENS1_22reduce_config_selectorIN6thrust23THRUST_200600_302600_NS5tupleIblNS6_9null_typeES8_S8_S8_S8_S8_S8_S8_EEEEZNS1_11reduce_implILb1ES3_NS6_12zip_iteratorINS7_INS6_11hip_rocprim26transform_input_iterator_tIbNSD_35transform_pair_of_input_iterators_tIbNS6_6detail15normal_iteratorINS6_10device_ptrIKtEEEESL_NS6_8equal_toItEEEENSG_9not_fun_tINSD_8identityEEEEENSD_19counting_iterator_tIlEES8_S8_S8_S8_S8_S8_S8_S8_EEEEPS9_S9_NSD_9__find_if7functorIS9_EEEE10hipError_tPvRmT1_T2_T3_mT4_P12ihipStream_tbEUlT_E1_NS1_11comp_targetILNS1_3genE9ELNS1_11target_archE1100ELNS1_3gpuE3ELNS1_3repE0EEENS1_30default_config_static_selectorELNS0_4arch9wavefront6targetE0EEEvS14_,comdat
	.protected	_ZN7rocprim17ROCPRIM_400000_NS6detail17trampoline_kernelINS0_14default_configENS1_22reduce_config_selectorIN6thrust23THRUST_200600_302600_NS5tupleIblNS6_9null_typeES8_S8_S8_S8_S8_S8_S8_EEEEZNS1_11reduce_implILb1ES3_NS6_12zip_iteratorINS7_INS6_11hip_rocprim26transform_input_iterator_tIbNSD_35transform_pair_of_input_iterators_tIbNS6_6detail15normal_iteratorINS6_10device_ptrIKtEEEESL_NS6_8equal_toItEEEENSG_9not_fun_tINSD_8identityEEEEENSD_19counting_iterator_tIlEES8_S8_S8_S8_S8_S8_S8_S8_EEEEPS9_S9_NSD_9__find_if7functorIS9_EEEE10hipError_tPvRmT1_T2_T3_mT4_P12ihipStream_tbEUlT_E1_NS1_11comp_targetILNS1_3genE9ELNS1_11target_archE1100ELNS1_3gpuE3ELNS1_3repE0EEENS1_30default_config_static_selectorELNS0_4arch9wavefront6targetE0EEEvS14_ ; -- Begin function _ZN7rocprim17ROCPRIM_400000_NS6detail17trampoline_kernelINS0_14default_configENS1_22reduce_config_selectorIN6thrust23THRUST_200600_302600_NS5tupleIblNS6_9null_typeES8_S8_S8_S8_S8_S8_S8_EEEEZNS1_11reduce_implILb1ES3_NS6_12zip_iteratorINS7_INS6_11hip_rocprim26transform_input_iterator_tIbNSD_35transform_pair_of_input_iterators_tIbNS6_6detail15normal_iteratorINS6_10device_ptrIKtEEEESL_NS6_8equal_toItEEEENSG_9not_fun_tINSD_8identityEEEEENSD_19counting_iterator_tIlEES8_S8_S8_S8_S8_S8_S8_S8_EEEEPS9_S9_NSD_9__find_if7functorIS9_EEEE10hipError_tPvRmT1_T2_T3_mT4_P12ihipStream_tbEUlT_E1_NS1_11comp_targetILNS1_3genE9ELNS1_11target_archE1100ELNS1_3gpuE3ELNS1_3repE0EEENS1_30default_config_static_selectorELNS0_4arch9wavefront6targetE0EEEvS14_
	.globl	_ZN7rocprim17ROCPRIM_400000_NS6detail17trampoline_kernelINS0_14default_configENS1_22reduce_config_selectorIN6thrust23THRUST_200600_302600_NS5tupleIblNS6_9null_typeES8_S8_S8_S8_S8_S8_S8_EEEEZNS1_11reduce_implILb1ES3_NS6_12zip_iteratorINS7_INS6_11hip_rocprim26transform_input_iterator_tIbNSD_35transform_pair_of_input_iterators_tIbNS6_6detail15normal_iteratorINS6_10device_ptrIKtEEEESL_NS6_8equal_toItEEEENSG_9not_fun_tINSD_8identityEEEEENSD_19counting_iterator_tIlEES8_S8_S8_S8_S8_S8_S8_S8_EEEEPS9_S9_NSD_9__find_if7functorIS9_EEEE10hipError_tPvRmT1_T2_T3_mT4_P12ihipStream_tbEUlT_E1_NS1_11comp_targetILNS1_3genE9ELNS1_11target_archE1100ELNS1_3gpuE3ELNS1_3repE0EEENS1_30default_config_static_selectorELNS0_4arch9wavefront6targetE0EEEvS14_
	.p2align	8
	.type	_ZN7rocprim17ROCPRIM_400000_NS6detail17trampoline_kernelINS0_14default_configENS1_22reduce_config_selectorIN6thrust23THRUST_200600_302600_NS5tupleIblNS6_9null_typeES8_S8_S8_S8_S8_S8_S8_EEEEZNS1_11reduce_implILb1ES3_NS6_12zip_iteratorINS7_INS6_11hip_rocprim26transform_input_iterator_tIbNSD_35transform_pair_of_input_iterators_tIbNS6_6detail15normal_iteratorINS6_10device_ptrIKtEEEESL_NS6_8equal_toItEEEENSG_9not_fun_tINSD_8identityEEEEENSD_19counting_iterator_tIlEES8_S8_S8_S8_S8_S8_S8_S8_EEEEPS9_S9_NSD_9__find_if7functorIS9_EEEE10hipError_tPvRmT1_T2_T3_mT4_P12ihipStream_tbEUlT_E1_NS1_11comp_targetILNS1_3genE9ELNS1_11target_archE1100ELNS1_3gpuE3ELNS1_3repE0EEENS1_30default_config_static_selectorELNS0_4arch9wavefront6targetE0EEEvS14_,@function
_ZN7rocprim17ROCPRIM_400000_NS6detail17trampoline_kernelINS0_14default_configENS1_22reduce_config_selectorIN6thrust23THRUST_200600_302600_NS5tupleIblNS6_9null_typeES8_S8_S8_S8_S8_S8_S8_EEEEZNS1_11reduce_implILb1ES3_NS6_12zip_iteratorINS7_INS6_11hip_rocprim26transform_input_iterator_tIbNSD_35transform_pair_of_input_iterators_tIbNS6_6detail15normal_iteratorINS6_10device_ptrIKtEEEESL_NS6_8equal_toItEEEENSG_9not_fun_tINSD_8identityEEEEENSD_19counting_iterator_tIlEES8_S8_S8_S8_S8_S8_S8_S8_EEEEPS9_S9_NSD_9__find_if7functorIS9_EEEE10hipError_tPvRmT1_T2_T3_mT4_P12ihipStream_tbEUlT_E1_NS1_11comp_targetILNS1_3genE9ELNS1_11target_archE1100ELNS1_3gpuE3ELNS1_3repE0EEENS1_30default_config_static_selectorELNS0_4arch9wavefront6targetE0EEEvS14_: ; @_ZN7rocprim17ROCPRIM_400000_NS6detail17trampoline_kernelINS0_14default_configENS1_22reduce_config_selectorIN6thrust23THRUST_200600_302600_NS5tupleIblNS6_9null_typeES8_S8_S8_S8_S8_S8_S8_EEEEZNS1_11reduce_implILb1ES3_NS6_12zip_iteratorINS7_INS6_11hip_rocprim26transform_input_iterator_tIbNSD_35transform_pair_of_input_iterators_tIbNS6_6detail15normal_iteratorINS6_10device_ptrIKtEEEESL_NS6_8equal_toItEEEENSG_9not_fun_tINSD_8identityEEEEENSD_19counting_iterator_tIlEES8_S8_S8_S8_S8_S8_S8_S8_EEEEPS9_S9_NSD_9__find_if7functorIS9_EEEE10hipError_tPvRmT1_T2_T3_mT4_P12ihipStream_tbEUlT_E1_NS1_11comp_targetILNS1_3genE9ELNS1_11target_archE1100ELNS1_3gpuE3ELNS1_3repE0EEENS1_30default_config_static_selectorELNS0_4arch9wavefront6targetE0EEEvS14_
; %bb.0:
	.section	.rodata,"a",@progbits
	.p2align	6, 0x0
	.amdhsa_kernel _ZN7rocprim17ROCPRIM_400000_NS6detail17trampoline_kernelINS0_14default_configENS1_22reduce_config_selectorIN6thrust23THRUST_200600_302600_NS5tupleIblNS6_9null_typeES8_S8_S8_S8_S8_S8_S8_EEEEZNS1_11reduce_implILb1ES3_NS6_12zip_iteratorINS7_INS6_11hip_rocprim26transform_input_iterator_tIbNSD_35transform_pair_of_input_iterators_tIbNS6_6detail15normal_iteratorINS6_10device_ptrIKtEEEESL_NS6_8equal_toItEEEENSG_9not_fun_tINSD_8identityEEEEENSD_19counting_iterator_tIlEES8_S8_S8_S8_S8_S8_S8_S8_EEEEPS9_S9_NSD_9__find_if7functorIS9_EEEE10hipError_tPvRmT1_T2_T3_mT4_P12ihipStream_tbEUlT_E1_NS1_11comp_targetILNS1_3genE9ELNS1_11target_archE1100ELNS1_3gpuE3ELNS1_3repE0EEENS1_30default_config_static_selectorELNS0_4arch9wavefront6targetE0EEEvS14_
		.amdhsa_group_segment_fixed_size 0
		.amdhsa_private_segment_fixed_size 0
		.amdhsa_kernarg_size 88
		.amdhsa_user_sgpr_count 2
		.amdhsa_user_sgpr_dispatch_ptr 0
		.amdhsa_user_sgpr_queue_ptr 0
		.amdhsa_user_sgpr_kernarg_segment_ptr 1
		.amdhsa_user_sgpr_dispatch_id 0
		.amdhsa_user_sgpr_kernarg_preload_length 0
		.amdhsa_user_sgpr_kernarg_preload_offset 0
		.amdhsa_user_sgpr_private_segment_size 0
		.amdhsa_wavefront_size32 1
		.amdhsa_uses_dynamic_stack 0
		.amdhsa_enable_private_segment 0
		.amdhsa_system_sgpr_workgroup_id_x 1
		.amdhsa_system_sgpr_workgroup_id_y 0
		.amdhsa_system_sgpr_workgroup_id_z 0
		.amdhsa_system_sgpr_workgroup_info 0
		.amdhsa_system_vgpr_workitem_id 0
		.amdhsa_next_free_vgpr 1
		.amdhsa_next_free_sgpr 1
		.amdhsa_named_barrier_count 0
		.amdhsa_reserve_vcc 0
		.amdhsa_float_round_mode_32 0
		.amdhsa_float_round_mode_16_64 0
		.amdhsa_float_denorm_mode_32 3
		.amdhsa_float_denorm_mode_16_64 3
		.amdhsa_fp16_overflow 0
		.amdhsa_memory_ordered 1
		.amdhsa_forward_progress 1
		.amdhsa_inst_pref_size 0
		.amdhsa_round_robin_scheduling 0
		.amdhsa_exception_fp_ieee_invalid_op 0
		.amdhsa_exception_fp_denorm_src 0
		.amdhsa_exception_fp_ieee_div_zero 0
		.amdhsa_exception_fp_ieee_overflow 0
		.amdhsa_exception_fp_ieee_underflow 0
		.amdhsa_exception_fp_ieee_inexact 0
		.amdhsa_exception_int_div_zero 0
	.end_amdhsa_kernel
	.section	.text._ZN7rocprim17ROCPRIM_400000_NS6detail17trampoline_kernelINS0_14default_configENS1_22reduce_config_selectorIN6thrust23THRUST_200600_302600_NS5tupleIblNS6_9null_typeES8_S8_S8_S8_S8_S8_S8_EEEEZNS1_11reduce_implILb1ES3_NS6_12zip_iteratorINS7_INS6_11hip_rocprim26transform_input_iterator_tIbNSD_35transform_pair_of_input_iterators_tIbNS6_6detail15normal_iteratorINS6_10device_ptrIKtEEEESL_NS6_8equal_toItEEEENSG_9not_fun_tINSD_8identityEEEEENSD_19counting_iterator_tIlEES8_S8_S8_S8_S8_S8_S8_S8_EEEEPS9_S9_NSD_9__find_if7functorIS9_EEEE10hipError_tPvRmT1_T2_T3_mT4_P12ihipStream_tbEUlT_E1_NS1_11comp_targetILNS1_3genE9ELNS1_11target_archE1100ELNS1_3gpuE3ELNS1_3repE0EEENS1_30default_config_static_selectorELNS0_4arch9wavefront6targetE0EEEvS14_,"axG",@progbits,_ZN7rocprim17ROCPRIM_400000_NS6detail17trampoline_kernelINS0_14default_configENS1_22reduce_config_selectorIN6thrust23THRUST_200600_302600_NS5tupleIblNS6_9null_typeES8_S8_S8_S8_S8_S8_S8_EEEEZNS1_11reduce_implILb1ES3_NS6_12zip_iteratorINS7_INS6_11hip_rocprim26transform_input_iterator_tIbNSD_35transform_pair_of_input_iterators_tIbNS6_6detail15normal_iteratorINS6_10device_ptrIKtEEEESL_NS6_8equal_toItEEEENSG_9not_fun_tINSD_8identityEEEEENSD_19counting_iterator_tIlEES8_S8_S8_S8_S8_S8_S8_S8_EEEEPS9_S9_NSD_9__find_if7functorIS9_EEEE10hipError_tPvRmT1_T2_T3_mT4_P12ihipStream_tbEUlT_E1_NS1_11comp_targetILNS1_3genE9ELNS1_11target_archE1100ELNS1_3gpuE3ELNS1_3repE0EEENS1_30default_config_static_selectorELNS0_4arch9wavefront6targetE0EEEvS14_,comdat
.Lfunc_end204:
	.size	_ZN7rocprim17ROCPRIM_400000_NS6detail17trampoline_kernelINS0_14default_configENS1_22reduce_config_selectorIN6thrust23THRUST_200600_302600_NS5tupleIblNS6_9null_typeES8_S8_S8_S8_S8_S8_S8_EEEEZNS1_11reduce_implILb1ES3_NS6_12zip_iteratorINS7_INS6_11hip_rocprim26transform_input_iterator_tIbNSD_35transform_pair_of_input_iterators_tIbNS6_6detail15normal_iteratorINS6_10device_ptrIKtEEEESL_NS6_8equal_toItEEEENSG_9not_fun_tINSD_8identityEEEEENSD_19counting_iterator_tIlEES8_S8_S8_S8_S8_S8_S8_S8_EEEEPS9_S9_NSD_9__find_if7functorIS9_EEEE10hipError_tPvRmT1_T2_T3_mT4_P12ihipStream_tbEUlT_E1_NS1_11comp_targetILNS1_3genE9ELNS1_11target_archE1100ELNS1_3gpuE3ELNS1_3repE0EEENS1_30default_config_static_selectorELNS0_4arch9wavefront6targetE0EEEvS14_, .Lfunc_end204-_ZN7rocprim17ROCPRIM_400000_NS6detail17trampoline_kernelINS0_14default_configENS1_22reduce_config_selectorIN6thrust23THRUST_200600_302600_NS5tupleIblNS6_9null_typeES8_S8_S8_S8_S8_S8_S8_EEEEZNS1_11reduce_implILb1ES3_NS6_12zip_iteratorINS7_INS6_11hip_rocprim26transform_input_iterator_tIbNSD_35transform_pair_of_input_iterators_tIbNS6_6detail15normal_iteratorINS6_10device_ptrIKtEEEESL_NS6_8equal_toItEEEENSG_9not_fun_tINSD_8identityEEEEENSD_19counting_iterator_tIlEES8_S8_S8_S8_S8_S8_S8_S8_EEEEPS9_S9_NSD_9__find_if7functorIS9_EEEE10hipError_tPvRmT1_T2_T3_mT4_P12ihipStream_tbEUlT_E1_NS1_11comp_targetILNS1_3genE9ELNS1_11target_archE1100ELNS1_3gpuE3ELNS1_3repE0EEENS1_30default_config_static_selectorELNS0_4arch9wavefront6targetE0EEEvS14_
                                        ; -- End function
	.set _ZN7rocprim17ROCPRIM_400000_NS6detail17trampoline_kernelINS0_14default_configENS1_22reduce_config_selectorIN6thrust23THRUST_200600_302600_NS5tupleIblNS6_9null_typeES8_S8_S8_S8_S8_S8_S8_EEEEZNS1_11reduce_implILb1ES3_NS6_12zip_iteratorINS7_INS6_11hip_rocprim26transform_input_iterator_tIbNSD_35transform_pair_of_input_iterators_tIbNS6_6detail15normal_iteratorINS6_10device_ptrIKtEEEESL_NS6_8equal_toItEEEENSG_9not_fun_tINSD_8identityEEEEENSD_19counting_iterator_tIlEES8_S8_S8_S8_S8_S8_S8_S8_EEEEPS9_S9_NSD_9__find_if7functorIS9_EEEE10hipError_tPvRmT1_T2_T3_mT4_P12ihipStream_tbEUlT_E1_NS1_11comp_targetILNS1_3genE9ELNS1_11target_archE1100ELNS1_3gpuE3ELNS1_3repE0EEENS1_30default_config_static_selectorELNS0_4arch9wavefront6targetE0EEEvS14_.num_vgpr, 0
	.set _ZN7rocprim17ROCPRIM_400000_NS6detail17trampoline_kernelINS0_14default_configENS1_22reduce_config_selectorIN6thrust23THRUST_200600_302600_NS5tupleIblNS6_9null_typeES8_S8_S8_S8_S8_S8_S8_EEEEZNS1_11reduce_implILb1ES3_NS6_12zip_iteratorINS7_INS6_11hip_rocprim26transform_input_iterator_tIbNSD_35transform_pair_of_input_iterators_tIbNS6_6detail15normal_iteratorINS6_10device_ptrIKtEEEESL_NS6_8equal_toItEEEENSG_9not_fun_tINSD_8identityEEEEENSD_19counting_iterator_tIlEES8_S8_S8_S8_S8_S8_S8_S8_EEEEPS9_S9_NSD_9__find_if7functorIS9_EEEE10hipError_tPvRmT1_T2_T3_mT4_P12ihipStream_tbEUlT_E1_NS1_11comp_targetILNS1_3genE9ELNS1_11target_archE1100ELNS1_3gpuE3ELNS1_3repE0EEENS1_30default_config_static_selectorELNS0_4arch9wavefront6targetE0EEEvS14_.num_agpr, 0
	.set _ZN7rocprim17ROCPRIM_400000_NS6detail17trampoline_kernelINS0_14default_configENS1_22reduce_config_selectorIN6thrust23THRUST_200600_302600_NS5tupleIblNS6_9null_typeES8_S8_S8_S8_S8_S8_S8_EEEEZNS1_11reduce_implILb1ES3_NS6_12zip_iteratorINS7_INS6_11hip_rocprim26transform_input_iterator_tIbNSD_35transform_pair_of_input_iterators_tIbNS6_6detail15normal_iteratorINS6_10device_ptrIKtEEEESL_NS6_8equal_toItEEEENSG_9not_fun_tINSD_8identityEEEEENSD_19counting_iterator_tIlEES8_S8_S8_S8_S8_S8_S8_S8_EEEEPS9_S9_NSD_9__find_if7functorIS9_EEEE10hipError_tPvRmT1_T2_T3_mT4_P12ihipStream_tbEUlT_E1_NS1_11comp_targetILNS1_3genE9ELNS1_11target_archE1100ELNS1_3gpuE3ELNS1_3repE0EEENS1_30default_config_static_selectorELNS0_4arch9wavefront6targetE0EEEvS14_.numbered_sgpr, 0
	.set _ZN7rocprim17ROCPRIM_400000_NS6detail17trampoline_kernelINS0_14default_configENS1_22reduce_config_selectorIN6thrust23THRUST_200600_302600_NS5tupleIblNS6_9null_typeES8_S8_S8_S8_S8_S8_S8_EEEEZNS1_11reduce_implILb1ES3_NS6_12zip_iteratorINS7_INS6_11hip_rocprim26transform_input_iterator_tIbNSD_35transform_pair_of_input_iterators_tIbNS6_6detail15normal_iteratorINS6_10device_ptrIKtEEEESL_NS6_8equal_toItEEEENSG_9not_fun_tINSD_8identityEEEEENSD_19counting_iterator_tIlEES8_S8_S8_S8_S8_S8_S8_S8_EEEEPS9_S9_NSD_9__find_if7functorIS9_EEEE10hipError_tPvRmT1_T2_T3_mT4_P12ihipStream_tbEUlT_E1_NS1_11comp_targetILNS1_3genE9ELNS1_11target_archE1100ELNS1_3gpuE3ELNS1_3repE0EEENS1_30default_config_static_selectorELNS0_4arch9wavefront6targetE0EEEvS14_.num_named_barrier, 0
	.set _ZN7rocprim17ROCPRIM_400000_NS6detail17trampoline_kernelINS0_14default_configENS1_22reduce_config_selectorIN6thrust23THRUST_200600_302600_NS5tupleIblNS6_9null_typeES8_S8_S8_S8_S8_S8_S8_EEEEZNS1_11reduce_implILb1ES3_NS6_12zip_iteratorINS7_INS6_11hip_rocprim26transform_input_iterator_tIbNSD_35transform_pair_of_input_iterators_tIbNS6_6detail15normal_iteratorINS6_10device_ptrIKtEEEESL_NS6_8equal_toItEEEENSG_9not_fun_tINSD_8identityEEEEENSD_19counting_iterator_tIlEES8_S8_S8_S8_S8_S8_S8_S8_EEEEPS9_S9_NSD_9__find_if7functorIS9_EEEE10hipError_tPvRmT1_T2_T3_mT4_P12ihipStream_tbEUlT_E1_NS1_11comp_targetILNS1_3genE9ELNS1_11target_archE1100ELNS1_3gpuE3ELNS1_3repE0EEENS1_30default_config_static_selectorELNS0_4arch9wavefront6targetE0EEEvS14_.private_seg_size, 0
	.set _ZN7rocprim17ROCPRIM_400000_NS6detail17trampoline_kernelINS0_14default_configENS1_22reduce_config_selectorIN6thrust23THRUST_200600_302600_NS5tupleIblNS6_9null_typeES8_S8_S8_S8_S8_S8_S8_EEEEZNS1_11reduce_implILb1ES3_NS6_12zip_iteratorINS7_INS6_11hip_rocprim26transform_input_iterator_tIbNSD_35transform_pair_of_input_iterators_tIbNS6_6detail15normal_iteratorINS6_10device_ptrIKtEEEESL_NS6_8equal_toItEEEENSG_9not_fun_tINSD_8identityEEEEENSD_19counting_iterator_tIlEES8_S8_S8_S8_S8_S8_S8_S8_EEEEPS9_S9_NSD_9__find_if7functorIS9_EEEE10hipError_tPvRmT1_T2_T3_mT4_P12ihipStream_tbEUlT_E1_NS1_11comp_targetILNS1_3genE9ELNS1_11target_archE1100ELNS1_3gpuE3ELNS1_3repE0EEENS1_30default_config_static_selectorELNS0_4arch9wavefront6targetE0EEEvS14_.uses_vcc, 0
	.set _ZN7rocprim17ROCPRIM_400000_NS6detail17trampoline_kernelINS0_14default_configENS1_22reduce_config_selectorIN6thrust23THRUST_200600_302600_NS5tupleIblNS6_9null_typeES8_S8_S8_S8_S8_S8_S8_EEEEZNS1_11reduce_implILb1ES3_NS6_12zip_iteratorINS7_INS6_11hip_rocprim26transform_input_iterator_tIbNSD_35transform_pair_of_input_iterators_tIbNS6_6detail15normal_iteratorINS6_10device_ptrIKtEEEESL_NS6_8equal_toItEEEENSG_9not_fun_tINSD_8identityEEEEENSD_19counting_iterator_tIlEES8_S8_S8_S8_S8_S8_S8_S8_EEEEPS9_S9_NSD_9__find_if7functorIS9_EEEE10hipError_tPvRmT1_T2_T3_mT4_P12ihipStream_tbEUlT_E1_NS1_11comp_targetILNS1_3genE9ELNS1_11target_archE1100ELNS1_3gpuE3ELNS1_3repE0EEENS1_30default_config_static_selectorELNS0_4arch9wavefront6targetE0EEEvS14_.uses_flat_scratch, 0
	.set _ZN7rocprim17ROCPRIM_400000_NS6detail17trampoline_kernelINS0_14default_configENS1_22reduce_config_selectorIN6thrust23THRUST_200600_302600_NS5tupleIblNS6_9null_typeES8_S8_S8_S8_S8_S8_S8_EEEEZNS1_11reduce_implILb1ES3_NS6_12zip_iteratorINS7_INS6_11hip_rocprim26transform_input_iterator_tIbNSD_35transform_pair_of_input_iterators_tIbNS6_6detail15normal_iteratorINS6_10device_ptrIKtEEEESL_NS6_8equal_toItEEEENSG_9not_fun_tINSD_8identityEEEEENSD_19counting_iterator_tIlEES8_S8_S8_S8_S8_S8_S8_S8_EEEEPS9_S9_NSD_9__find_if7functorIS9_EEEE10hipError_tPvRmT1_T2_T3_mT4_P12ihipStream_tbEUlT_E1_NS1_11comp_targetILNS1_3genE9ELNS1_11target_archE1100ELNS1_3gpuE3ELNS1_3repE0EEENS1_30default_config_static_selectorELNS0_4arch9wavefront6targetE0EEEvS14_.has_dyn_sized_stack, 0
	.set _ZN7rocprim17ROCPRIM_400000_NS6detail17trampoline_kernelINS0_14default_configENS1_22reduce_config_selectorIN6thrust23THRUST_200600_302600_NS5tupleIblNS6_9null_typeES8_S8_S8_S8_S8_S8_S8_EEEEZNS1_11reduce_implILb1ES3_NS6_12zip_iteratorINS7_INS6_11hip_rocprim26transform_input_iterator_tIbNSD_35transform_pair_of_input_iterators_tIbNS6_6detail15normal_iteratorINS6_10device_ptrIKtEEEESL_NS6_8equal_toItEEEENSG_9not_fun_tINSD_8identityEEEEENSD_19counting_iterator_tIlEES8_S8_S8_S8_S8_S8_S8_S8_EEEEPS9_S9_NSD_9__find_if7functorIS9_EEEE10hipError_tPvRmT1_T2_T3_mT4_P12ihipStream_tbEUlT_E1_NS1_11comp_targetILNS1_3genE9ELNS1_11target_archE1100ELNS1_3gpuE3ELNS1_3repE0EEENS1_30default_config_static_selectorELNS0_4arch9wavefront6targetE0EEEvS14_.has_recursion, 0
	.set _ZN7rocprim17ROCPRIM_400000_NS6detail17trampoline_kernelINS0_14default_configENS1_22reduce_config_selectorIN6thrust23THRUST_200600_302600_NS5tupleIblNS6_9null_typeES8_S8_S8_S8_S8_S8_S8_EEEEZNS1_11reduce_implILb1ES3_NS6_12zip_iteratorINS7_INS6_11hip_rocprim26transform_input_iterator_tIbNSD_35transform_pair_of_input_iterators_tIbNS6_6detail15normal_iteratorINS6_10device_ptrIKtEEEESL_NS6_8equal_toItEEEENSG_9not_fun_tINSD_8identityEEEEENSD_19counting_iterator_tIlEES8_S8_S8_S8_S8_S8_S8_S8_EEEEPS9_S9_NSD_9__find_if7functorIS9_EEEE10hipError_tPvRmT1_T2_T3_mT4_P12ihipStream_tbEUlT_E1_NS1_11comp_targetILNS1_3genE9ELNS1_11target_archE1100ELNS1_3gpuE3ELNS1_3repE0EEENS1_30default_config_static_selectorELNS0_4arch9wavefront6targetE0EEEvS14_.has_indirect_call, 0
	.section	.AMDGPU.csdata,"",@progbits
; Kernel info:
; codeLenInByte = 0
; TotalNumSgprs: 0
; NumVgprs: 0
; ScratchSize: 0
; MemoryBound: 0
; FloatMode: 240
; IeeeMode: 1
; LDSByteSize: 0 bytes/workgroup (compile time only)
; SGPRBlocks: 0
; VGPRBlocks: 0
; NumSGPRsForWavesPerEU: 1
; NumVGPRsForWavesPerEU: 1
; NamedBarCnt: 0
; Occupancy: 16
; WaveLimiterHint : 0
; COMPUTE_PGM_RSRC2:SCRATCH_EN: 0
; COMPUTE_PGM_RSRC2:USER_SGPR: 2
; COMPUTE_PGM_RSRC2:TRAP_HANDLER: 0
; COMPUTE_PGM_RSRC2:TGID_X_EN: 1
; COMPUTE_PGM_RSRC2:TGID_Y_EN: 0
; COMPUTE_PGM_RSRC2:TGID_Z_EN: 0
; COMPUTE_PGM_RSRC2:TIDIG_COMP_CNT: 0
	.section	.text._ZN7rocprim17ROCPRIM_400000_NS6detail17trampoline_kernelINS0_14default_configENS1_22reduce_config_selectorIN6thrust23THRUST_200600_302600_NS5tupleIblNS6_9null_typeES8_S8_S8_S8_S8_S8_S8_EEEEZNS1_11reduce_implILb1ES3_NS6_12zip_iteratorINS7_INS6_11hip_rocprim26transform_input_iterator_tIbNSD_35transform_pair_of_input_iterators_tIbNS6_6detail15normal_iteratorINS6_10device_ptrIKtEEEESL_NS6_8equal_toItEEEENSG_9not_fun_tINSD_8identityEEEEENSD_19counting_iterator_tIlEES8_S8_S8_S8_S8_S8_S8_S8_EEEEPS9_S9_NSD_9__find_if7functorIS9_EEEE10hipError_tPvRmT1_T2_T3_mT4_P12ihipStream_tbEUlT_E1_NS1_11comp_targetILNS1_3genE8ELNS1_11target_archE1030ELNS1_3gpuE2ELNS1_3repE0EEENS1_30default_config_static_selectorELNS0_4arch9wavefront6targetE0EEEvS14_,"axG",@progbits,_ZN7rocprim17ROCPRIM_400000_NS6detail17trampoline_kernelINS0_14default_configENS1_22reduce_config_selectorIN6thrust23THRUST_200600_302600_NS5tupleIblNS6_9null_typeES8_S8_S8_S8_S8_S8_S8_EEEEZNS1_11reduce_implILb1ES3_NS6_12zip_iteratorINS7_INS6_11hip_rocprim26transform_input_iterator_tIbNSD_35transform_pair_of_input_iterators_tIbNS6_6detail15normal_iteratorINS6_10device_ptrIKtEEEESL_NS6_8equal_toItEEEENSG_9not_fun_tINSD_8identityEEEEENSD_19counting_iterator_tIlEES8_S8_S8_S8_S8_S8_S8_S8_EEEEPS9_S9_NSD_9__find_if7functorIS9_EEEE10hipError_tPvRmT1_T2_T3_mT4_P12ihipStream_tbEUlT_E1_NS1_11comp_targetILNS1_3genE8ELNS1_11target_archE1030ELNS1_3gpuE2ELNS1_3repE0EEENS1_30default_config_static_selectorELNS0_4arch9wavefront6targetE0EEEvS14_,comdat
	.protected	_ZN7rocprim17ROCPRIM_400000_NS6detail17trampoline_kernelINS0_14default_configENS1_22reduce_config_selectorIN6thrust23THRUST_200600_302600_NS5tupleIblNS6_9null_typeES8_S8_S8_S8_S8_S8_S8_EEEEZNS1_11reduce_implILb1ES3_NS6_12zip_iteratorINS7_INS6_11hip_rocprim26transform_input_iterator_tIbNSD_35transform_pair_of_input_iterators_tIbNS6_6detail15normal_iteratorINS6_10device_ptrIKtEEEESL_NS6_8equal_toItEEEENSG_9not_fun_tINSD_8identityEEEEENSD_19counting_iterator_tIlEES8_S8_S8_S8_S8_S8_S8_S8_EEEEPS9_S9_NSD_9__find_if7functorIS9_EEEE10hipError_tPvRmT1_T2_T3_mT4_P12ihipStream_tbEUlT_E1_NS1_11comp_targetILNS1_3genE8ELNS1_11target_archE1030ELNS1_3gpuE2ELNS1_3repE0EEENS1_30default_config_static_selectorELNS0_4arch9wavefront6targetE0EEEvS14_ ; -- Begin function _ZN7rocprim17ROCPRIM_400000_NS6detail17trampoline_kernelINS0_14default_configENS1_22reduce_config_selectorIN6thrust23THRUST_200600_302600_NS5tupleIblNS6_9null_typeES8_S8_S8_S8_S8_S8_S8_EEEEZNS1_11reduce_implILb1ES3_NS6_12zip_iteratorINS7_INS6_11hip_rocprim26transform_input_iterator_tIbNSD_35transform_pair_of_input_iterators_tIbNS6_6detail15normal_iteratorINS6_10device_ptrIKtEEEESL_NS6_8equal_toItEEEENSG_9not_fun_tINSD_8identityEEEEENSD_19counting_iterator_tIlEES8_S8_S8_S8_S8_S8_S8_S8_EEEEPS9_S9_NSD_9__find_if7functorIS9_EEEE10hipError_tPvRmT1_T2_T3_mT4_P12ihipStream_tbEUlT_E1_NS1_11comp_targetILNS1_3genE8ELNS1_11target_archE1030ELNS1_3gpuE2ELNS1_3repE0EEENS1_30default_config_static_selectorELNS0_4arch9wavefront6targetE0EEEvS14_
	.globl	_ZN7rocprim17ROCPRIM_400000_NS6detail17trampoline_kernelINS0_14default_configENS1_22reduce_config_selectorIN6thrust23THRUST_200600_302600_NS5tupleIblNS6_9null_typeES8_S8_S8_S8_S8_S8_S8_EEEEZNS1_11reduce_implILb1ES3_NS6_12zip_iteratorINS7_INS6_11hip_rocprim26transform_input_iterator_tIbNSD_35transform_pair_of_input_iterators_tIbNS6_6detail15normal_iteratorINS6_10device_ptrIKtEEEESL_NS6_8equal_toItEEEENSG_9not_fun_tINSD_8identityEEEEENSD_19counting_iterator_tIlEES8_S8_S8_S8_S8_S8_S8_S8_EEEEPS9_S9_NSD_9__find_if7functorIS9_EEEE10hipError_tPvRmT1_T2_T3_mT4_P12ihipStream_tbEUlT_E1_NS1_11comp_targetILNS1_3genE8ELNS1_11target_archE1030ELNS1_3gpuE2ELNS1_3repE0EEENS1_30default_config_static_selectorELNS0_4arch9wavefront6targetE0EEEvS14_
	.p2align	8
	.type	_ZN7rocprim17ROCPRIM_400000_NS6detail17trampoline_kernelINS0_14default_configENS1_22reduce_config_selectorIN6thrust23THRUST_200600_302600_NS5tupleIblNS6_9null_typeES8_S8_S8_S8_S8_S8_S8_EEEEZNS1_11reduce_implILb1ES3_NS6_12zip_iteratorINS7_INS6_11hip_rocprim26transform_input_iterator_tIbNSD_35transform_pair_of_input_iterators_tIbNS6_6detail15normal_iteratorINS6_10device_ptrIKtEEEESL_NS6_8equal_toItEEEENSG_9not_fun_tINSD_8identityEEEEENSD_19counting_iterator_tIlEES8_S8_S8_S8_S8_S8_S8_S8_EEEEPS9_S9_NSD_9__find_if7functorIS9_EEEE10hipError_tPvRmT1_T2_T3_mT4_P12ihipStream_tbEUlT_E1_NS1_11comp_targetILNS1_3genE8ELNS1_11target_archE1030ELNS1_3gpuE2ELNS1_3repE0EEENS1_30default_config_static_selectorELNS0_4arch9wavefront6targetE0EEEvS14_,@function
_ZN7rocprim17ROCPRIM_400000_NS6detail17trampoline_kernelINS0_14default_configENS1_22reduce_config_selectorIN6thrust23THRUST_200600_302600_NS5tupleIblNS6_9null_typeES8_S8_S8_S8_S8_S8_S8_EEEEZNS1_11reduce_implILb1ES3_NS6_12zip_iteratorINS7_INS6_11hip_rocprim26transform_input_iterator_tIbNSD_35transform_pair_of_input_iterators_tIbNS6_6detail15normal_iteratorINS6_10device_ptrIKtEEEESL_NS6_8equal_toItEEEENSG_9not_fun_tINSD_8identityEEEEENSD_19counting_iterator_tIlEES8_S8_S8_S8_S8_S8_S8_S8_EEEEPS9_S9_NSD_9__find_if7functorIS9_EEEE10hipError_tPvRmT1_T2_T3_mT4_P12ihipStream_tbEUlT_E1_NS1_11comp_targetILNS1_3genE8ELNS1_11target_archE1030ELNS1_3gpuE2ELNS1_3repE0EEENS1_30default_config_static_selectorELNS0_4arch9wavefront6targetE0EEEvS14_: ; @_ZN7rocprim17ROCPRIM_400000_NS6detail17trampoline_kernelINS0_14default_configENS1_22reduce_config_selectorIN6thrust23THRUST_200600_302600_NS5tupleIblNS6_9null_typeES8_S8_S8_S8_S8_S8_S8_EEEEZNS1_11reduce_implILb1ES3_NS6_12zip_iteratorINS7_INS6_11hip_rocprim26transform_input_iterator_tIbNSD_35transform_pair_of_input_iterators_tIbNS6_6detail15normal_iteratorINS6_10device_ptrIKtEEEESL_NS6_8equal_toItEEEENSG_9not_fun_tINSD_8identityEEEEENSD_19counting_iterator_tIlEES8_S8_S8_S8_S8_S8_S8_S8_EEEEPS9_S9_NSD_9__find_if7functorIS9_EEEE10hipError_tPvRmT1_T2_T3_mT4_P12ihipStream_tbEUlT_E1_NS1_11comp_targetILNS1_3genE8ELNS1_11target_archE1030ELNS1_3gpuE2ELNS1_3repE0EEENS1_30default_config_static_selectorELNS0_4arch9wavefront6targetE0EEEvS14_
; %bb.0:
	.section	.rodata,"a",@progbits
	.p2align	6, 0x0
	.amdhsa_kernel _ZN7rocprim17ROCPRIM_400000_NS6detail17trampoline_kernelINS0_14default_configENS1_22reduce_config_selectorIN6thrust23THRUST_200600_302600_NS5tupleIblNS6_9null_typeES8_S8_S8_S8_S8_S8_S8_EEEEZNS1_11reduce_implILb1ES3_NS6_12zip_iteratorINS7_INS6_11hip_rocprim26transform_input_iterator_tIbNSD_35transform_pair_of_input_iterators_tIbNS6_6detail15normal_iteratorINS6_10device_ptrIKtEEEESL_NS6_8equal_toItEEEENSG_9not_fun_tINSD_8identityEEEEENSD_19counting_iterator_tIlEES8_S8_S8_S8_S8_S8_S8_S8_EEEEPS9_S9_NSD_9__find_if7functorIS9_EEEE10hipError_tPvRmT1_T2_T3_mT4_P12ihipStream_tbEUlT_E1_NS1_11comp_targetILNS1_3genE8ELNS1_11target_archE1030ELNS1_3gpuE2ELNS1_3repE0EEENS1_30default_config_static_selectorELNS0_4arch9wavefront6targetE0EEEvS14_
		.amdhsa_group_segment_fixed_size 0
		.amdhsa_private_segment_fixed_size 0
		.amdhsa_kernarg_size 88
		.amdhsa_user_sgpr_count 2
		.amdhsa_user_sgpr_dispatch_ptr 0
		.amdhsa_user_sgpr_queue_ptr 0
		.amdhsa_user_sgpr_kernarg_segment_ptr 1
		.amdhsa_user_sgpr_dispatch_id 0
		.amdhsa_user_sgpr_kernarg_preload_length 0
		.amdhsa_user_sgpr_kernarg_preload_offset 0
		.amdhsa_user_sgpr_private_segment_size 0
		.amdhsa_wavefront_size32 1
		.amdhsa_uses_dynamic_stack 0
		.amdhsa_enable_private_segment 0
		.amdhsa_system_sgpr_workgroup_id_x 1
		.amdhsa_system_sgpr_workgroup_id_y 0
		.amdhsa_system_sgpr_workgroup_id_z 0
		.amdhsa_system_sgpr_workgroup_info 0
		.amdhsa_system_vgpr_workitem_id 0
		.amdhsa_next_free_vgpr 1
		.amdhsa_next_free_sgpr 1
		.amdhsa_named_barrier_count 0
		.amdhsa_reserve_vcc 0
		.amdhsa_float_round_mode_32 0
		.amdhsa_float_round_mode_16_64 0
		.amdhsa_float_denorm_mode_32 3
		.amdhsa_float_denorm_mode_16_64 3
		.amdhsa_fp16_overflow 0
		.amdhsa_memory_ordered 1
		.amdhsa_forward_progress 1
		.amdhsa_inst_pref_size 0
		.amdhsa_round_robin_scheduling 0
		.amdhsa_exception_fp_ieee_invalid_op 0
		.amdhsa_exception_fp_denorm_src 0
		.amdhsa_exception_fp_ieee_div_zero 0
		.amdhsa_exception_fp_ieee_overflow 0
		.amdhsa_exception_fp_ieee_underflow 0
		.amdhsa_exception_fp_ieee_inexact 0
		.amdhsa_exception_int_div_zero 0
	.end_amdhsa_kernel
	.section	.text._ZN7rocprim17ROCPRIM_400000_NS6detail17trampoline_kernelINS0_14default_configENS1_22reduce_config_selectorIN6thrust23THRUST_200600_302600_NS5tupleIblNS6_9null_typeES8_S8_S8_S8_S8_S8_S8_EEEEZNS1_11reduce_implILb1ES3_NS6_12zip_iteratorINS7_INS6_11hip_rocprim26transform_input_iterator_tIbNSD_35transform_pair_of_input_iterators_tIbNS6_6detail15normal_iteratorINS6_10device_ptrIKtEEEESL_NS6_8equal_toItEEEENSG_9not_fun_tINSD_8identityEEEEENSD_19counting_iterator_tIlEES8_S8_S8_S8_S8_S8_S8_S8_EEEEPS9_S9_NSD_9__find_if7functorIS9_EEEE10hipError_tPvRmT1_T2_T3_mT4_P12ihipStream_tbEUlT_E1_NS1_11comp_targetILNS1_3genE8ELNS1_11target_archE1030ELNS1_3gpuE2ELNS1_3repE0EEENS1_30default_config_static_selectorELNS0_4arch9wavefront6targetE0EEEvS14_,"axG",@progbits,_ZN7rocprim17ROCPRIM_400000_NS6detail17trampoline_kernelINS0_14default_configENS1_22reduce_config_selectorIN6thrust23THRUST_200600_302600_NS5tupleIblNS6_9null_typeES8_S8_S8_S8_S8_S8_S8_EEEEZNS1_11reduce_implILb1ES3_NS6_12zip_iteratorINS7_INS6_11hip_rocprim26transform_input_iterator_tIbNSD_35transform_pair_of_input_iterators_tIbNS6_6detail15normal_iteratorINS6_10device_ptrIKtEEEESL_NS6_8equal_toItEEEENSG_9not_fun_tINSD_8identityEEEEENSD_19counting_iterator_tIlEES8_S8_S8_S8_S8_S8_S8_S8_EEEEPS9_S9_NSD_9__find_if7functorIS9_EEEE10hipError_tPvRmT1_T2_T3_mT4_P12ihipStream_tbEUlT_E1_NS1_11comp_targetILNS1_3genE8ELNS1_11target_archE1030ELNS1_3gpuE2ELNS1_3repE0EEENS1_30default_config_static_selectorELNS0_4arch9wavefront6targetE0EEEvS14_,comdat
.Lfunc_end205:
	.size	_ZN7rocprim17ROCPRIM_400000_NS6detail17trampoline_kernelINS0_14default_configENS1_22reduce_config_selectorIN6thrust23THRUST_200600_302600_NS5tupleIblNS6_9null_typeES8_S8_S8_S8_S8_S8_S8_EEEEZNS1_11reduce_implILb1ES3_NS6_12zip_iteratorINS7_INS6_11hip_rocprim26transform_input_iterator_tIbNSD_35transform_pair_of_input_iterators_tIbNS6_6detail15normal_iteratorINS6_10device_ptrIKtEEEESL_NS6_8equal_toItEEEENSG_9not_fun_tINSD_8identityEEEEENSD_19counting_iterator_tIlEES8_S8_S8_S8_S8_S8_S8_S8_EEEEPS9_S9_NSD_9__find_if7functorIS9_EEEE10hipError_tPvRmT1_T2_T3_mT4_P12ihipStream_tbEUlT_E1_NS1_11comp_targetILNS1_3genE8ELNS1_11target_archE1030ELNS1_3gpuE2ELNS1_3repE0EEENS1_30default_config_static_selectorELNS0_4arch9wavefront6targetE0EEEvS14_, .Lfunc_end205-_ZN7rocprim17ROCPRIM_400000_NS6detail17trampoline_kernelINS0_14default_configENS1_22reduce_config_selectorIN6thrust23THRUST_200600_302600_NS5tupleIblNS6_9null_typeES8_S8_S8_S8_S8_S8_S8_EEEEZNS1_11reduce_implILb1ES3_NS6_12zip_iteratorINS7_INS6_11hip_rocprim26transform_input_iterator_tIbNSD_35transform_pair_of_input_iterators_tIbNS6_6detail15normal_iteratorINS6_10device_ptrIKtEEEESL_NS6_8equal_toItEEEENSG_9not_fun_tINSD_8identityEEEEENSD_19counting_iterator_tIlEES8_S8_S8_S8_S8_S8_S8_S8_EEEEPS9_S9_NSD_9__find_if7functorIS9_EEEE10hipError_tPvRmT1_T2_T3_mT4_P12ihipStream_tbEUlT_E1_NS1_11comp_targetILNS1_3genE8ELNS1_11target_archE1030ELNS1_3gpuE2ELNS1_3repE0EEENS1_30default_config_static_selectorELNS0_4arch9wavefront6targetE0EEEvS14_
                                        ; -- End function
	.set _ZN7rocprim17ROCPRIM_400000_NS6detail17trampoline_kernelINS0_14default_configENS1_22reduce_config_selectorIN6thrust23THRUST_200600_302600_NS5tupleIblNS6_9null_typeES8_S8_S8_S8_S8_S8_S8_EEEEZNS1_11reduce_implILb1ES3_NS6_12zip_iteratorINS7_INS6_11hip_rocprim26transform_input_iterator_tIbNSD_35transform_pair_of_input_iterators_tIbNS6_6detail15normal_iteratorINS6_10device_ptrIKtEEEESL_NS6_8equal_toItEEEENSG_9not_fun_tINSD_8identityEEEEENSD_19counting_iterator_tIlEES8_S8_S8_S8_S8_S8_S8_S8_EEEEPS9_S9_NSD_9__find_if7functorIS9_EEEE10hipError_tPvRmT1_T2_T3_mT4_P12ihipStream_tbEUlT_E1_NS1_11comp_targetILNS1_3genE8ELNS1_11target_archE1030ELNS1_3gpuE2ELNS1_3repE0EEENS1_30default_config_static_selectorELNS0_4arch9wavefront6targetE0EEEvS14_.num_vgpr, 0
	.set _ZN7rocprim17ROCPRIM_400000_NS6detail17trampoline_kernelINS0_14default_configENS1_22reduce_config_selectorIN6thrust23THRUST_200600_302600_NS5tupleIblNS6_9null_typeES8_S8_S8_S8_S8_S8_S8_EEEEZNS1_11reduce_implILb1ES3_NS6_12zip_iteratorINS7_INS6_11hip_rocprim26transform_input_iterator_tIbNSD_35transform_pair_of_input_iterators_tIbNS6_6detail15normal_iteratorINS6_10device_ptrIKtEEEESL_NS6_8equal_toItEEEENSG_9not_fun_tINSD_8identityEEEEENSD_19counting_iterator_tIlEES8_S8_S8_S8_S8_S8_S8_S8_EEEEPS9_S9_NSD_9__find_if7functorIS9_EEEE10hipError_tPvRmT1_T2_T3_mT4_P12ihipStream_tbEUlT_E1_NS1_11comp_targetILNS1_3genE8ELNS1_11target_archE1030ELNS1_3gpuE2ELNS1_3repE0EEENS1_30default_config_static_selectorELNS0_4arch9wavefront6targetE0EEEvS14_.num_agpr, 0
	.set _ZN7rocprim17ROCPRIM_400000_NS6detail17trampoline_kernelINS0_14default_configENS1_22reduce_config_selectorIN6thrust23THRUST_200600_302600_NS5tupleIblNS6_9null_typeES8_S8_S8_S8_S8_S8_S8_EEEEZNS1_11reduce_implILb1ES3_NS6_12zip_iteratorINS7_INS6_11hip_rocprim26transform_input_iterator_tIbNSD_35transform_pair_of_input_iterators_tIbNS6_6detail15normal_iteratorINS6_10device_ptrIKtEEEESL_NS6_8equal_toItEEEENSG_9not_fun_tINSD_8identityEEEEENSD_19counting_iterator_tIlEES8_S8_S8_S8_S8_S8_S8_S8_EEEEPS9_S9_NSD_9__find_if7functorIS9_EEEE10hipError_tPvRmT1_T2_T3_mT4_P12ihipStream_tbEUlT_E1_NS1_11comp_targetILNS1_3genE8ELNS1_11target_archE1030ELNS1_3gpuE2ELNS1_3repE0EEENS1_30default_config_static_selectorELNS0_4arch9wavefront6targetE0EEEvS14_.numbered_sgpr, 0
	.set _ZN7rocprim17ROCPRIM_400000_NS6detail17trampoline_kernelINS0_14default_configENS1_22reduce_config_selectorIN6thrust23THRUST_200600_302600_NS5tupleIblNS6_9null_typeES8_S8_S8_S8_S8_S8_S8_EEEEZNS1_11reduce_implILb1ES3_NS6_12zip_iteratorINS7_INS6_11hip_rocprim26transform_input_iterator_tIbNSD_35transform_pair_of_input_iterators_tIbNS6_6detail15normal_iteratorINS6_10device_ptrIKtEEEESL_NS6_8equal_toItEEEENSG_9not_fun_tINSD_8identityEEEEENSD_19counting_iterator_tIlEES8_S8_S8_S8_S8_S8_S8_S8_EEEEPS9_S9_NSD_9__find_if7functorIS9_EEEE10hipError_tPvRmT1_T2_T3_mT4_P12ihipStream_tbEUlT_E1_NS1_11comp_targetILNS1_3genE8ELNS1_11target_archE1030ELNS1_3gpuE2ELNS1_3repE0EEENS1_30default_config_static_selectorELNS0_4arch9wavefront6targetE0EEEvS14_.num_named_barrier, 0
	.set _ZN7rocprim17ROCPRIM_400000_NS6detail17trampoline_kernelINS0_14default_configENS1_22reduce_config_selectorIN6thrust23THRUST_200600_302600_NS5tupleIblNS6_9null_typeES8_S8_S8_S8_S8_S8_S8_EEEEZNS1_11reduce_implILb1ES3_NS6_12zip_iteratorINS7_INS6_11hip_rocprim26transform_input_iterator_tIbNSD_35transform_pair_of_input_iterators_tIbNS6_6detail15normal_iteratorINS6_10device_ptrIKtEEEESL_NS6_8equal_toItEEEENSG_9not_fun_tINSD_8identityEEEEENSD_19counting_iterator_tIlEES8_S8_S8_S8_S8_S8_S8_S8_EEEEPS9_S9_NSD_9__find_if7functorIS9_EEEE10hipError_tPvRmT1_T2_T3_mT4_P12ihipStream_tbEUlT_E1_NS1_11comp_targetILNS1_3genE8ELNS1_11target_archE1030ELNS1_3gpuE2ELNS1_3repE0EEENS1_30default_config_static_selectorELNS0_4arch9wavefront6targetE0EEEvS14_.private_seg_size, 0
	.set _ZN7rocprim17ROCPRIM_400000_NS6detail17trampoline_kernelINS0_14default_configENS1_22reduce_config_selectorIN6thrust23THRUST_200600_302600_NS5tupleIblNS6_9null_typeES8_S8_S8_S8_S8_S8_S8_EEEEZNS1_11reduce_implILb1ES3_NS6_12zip_iteratorINS7_INS6_11hip_rocprim26transform_input_iterator_tIbNSD_35transform_pair_of_input_iterators_tIbNS6_6detail15normal_iteratorINS6_10device_ptrIKtEEEESL_NS6_8equal_toItEEEENSG_9not_fun_tINSD_8identityEEEEENSD_19counting_iterator_tIlEES8_S8_S8_S8_S8_S8_S8_S8_EEEEPS9_S9_NSD_9__find_if7functorIS9_EEEE10hipError_tPvRmT1_T2_T3_mT4_P12ihipStream_tbEUlT_E1_NS1_11comp_targetILNS1_3genE8ELNS1_11target_archE1030ELNS1_3gpuE2ELNS1_3repE0EEENS1_30default_config_static_selectorELNS0_4arch9wavefront6targetE0EEEvS14_.uses_vcc, 0
	.set _ZN7rocprim17ROCPRIM_400000_NS6detail17trampoline_kernelINS0_14default_configENS1_22reduce_config_selectorIN6thrust23THRUST_200600_302600_NS5tupleIblNS6_9null_typeES8_S8_S8_S8_S8_S8_S8_EEEEZNS1_11reduce_implILb1ES3_NS6_12zip_iteratorINS7_INS6_11hip_rocprim26transform_input_iterator_tIbNSD_35transform_pair_of_input_iterators_tIbNS6_6detail15normal_iteratorINS6_10device_ptrIKtEEEESL_NS6_8equal_toItEEEENSG_9not_fun_tINSD_8identityEEEEENSD_19counting_iterator_tIlEES8_S8_S8_S8_S8_S8_S8_S8_EEEEPS9_S9_NSD_9__find_if7functorIS9_EEEE10hipError_tPvRmT1_T2_T3_mT4_P12ihipStream_tbEUlT_E1_NS1_11comp_targetILNS1_3genE8ELNS1_11target_archE1030ELNS1_3gpuE2ELNS1_3repE0EEENS1_30default_config_static_selectorELNS0_4arch9wavefront6targetE0EEEvS14_.uses_flat_scratch, 0
	.set _ZN7rocprim17ROCPRIM_400000_NS6detail17trampoline_kernelINS0_14default_configENS1_22reduce_config_selectorIN6thrust23THRUST_200600_302600_NS5tupleIblNS6_9null_typeES8_S8_S8_S8_S8_S8_S8_EEEEZNS1_11reduce_implILb1ES3_NS6_12zip_iteratorINS7_INS6_11hip_rocprim26transform_input_iterator_tIbNSD_35transform_pair_of_input_iterators_tIbNS6_6detail15normal_iteratorINS6_10device_ptrIKtEEEESL_NS6_8equal_toItEEEENSG_9not_fun_tINSD_8identityEEEEENSD_19counting_iterator_tIlEES8_S8_S8_S8_S8_S8_S8_S8_EEEEPS9_S9_NSD_9__find_if7functorIS9_EEEE10hipError_tPvRmT1_T2_T3_mT4_P12ihipStream_tbEUlT_E1_NS1_11comp_targetILNS1_3genE8ELNS1_11target_archE1030ELNS1_3gpuE2ELNS1_3repE0EEENS1_30default_config_static_selectorELNS0_4arch9wavefront6targetE0EEEvS14_.has_dyn_sized_stack, 0
	.set _ZN7rocprim17ROCPRIM_400000_NS6detail17trampoline_kernelINS0_14default_configENS1_22reduce_config_selectorIN6thrust23THRUST_200600_302600_NS5tupleIblNS6_9null_typeES8_S8_S8_S8_S8_S8_S8_EEEEZNS1_11reduce_implILb1ES3_NS6_12zip_iteratorINS7_INS6_11hip_rocprim26transform_input_iterator_tIbNSD_35transform_pair_of_input_iterators_tIbNS6_6detail15normal_iteratorINS6_10device_ptrIKtEEEESL_NS6_8equal_toItEEEENSG_9not_fun_tINSD_8identityEEEEENSD_19counting_iterator_tIlEES8_S8_S8_S8_S8_S8_S8_S8_EEEEPS9_S9_NSD_9__find_if7functorIS9_EEEE10hipError_tPvRmT1_T2_T3_mT4_P12ihipStream_tbEUlT_E1_NS1_11comp_targetILNS1_3genE8ELNS1_11target_archE1030ELNS1_3gpuE2ELNS1_3repE0EEENS1_30default_config_static_selectorELNS0_4arch9wavefront6targetE0EEEvS14_.has_recursion, 0
	.set _ZN7rocprim17ROCPRIM_400000_NS6detail17trampoline_kernelINS0_14default_configENS1_22reduce_config_selectorIN6thrust23THRUST_200600_302600_NS5tupleIblNS6_9null_typeES8_S8_S8_S8_S8_S8_S8_EEEEZNS1_11reduce_implILb1ES3_NS6_12zip_iteratorINS7_INS6_11hip_rocprim26transform_input_iterator_tIbNSD_35transform_pair_of_input_iterators_tIbNS6_6detail15normal_iteratorINS6_10device_ptrIKtEEEESL_NS6_8equal_toItEEEENSG_9not_fun_tINSD_8identityEEEEENSD_19counting_iterator_tIlEES8_S8_S8_S8_S8_S8_S8_S8_EEEEPS9_S9_NSD_9__find_if7functorIS9_EEEE10hipError_tPvRmT1_T2_T3_mT4_P12ihipStream_tbEUlT_E1_NS1_11comp_targetILNS1_3genE8ELNS1_11target_archE1030ELNS1_3gpuE2ELNS1_3repE0EEENS1_30default_config_static_selectorELNS0_4arch9wavefront6targetE0EEEvS14_.has_indirect_call, 0
	.section	.AMDGPU.csdata,"",@progbits
; Kernel info:
; codeLenInByte = 0
; TotalNumSgprs: 0
; NumVgprs: 0
; ScratchSize: 0
; MemoryBound: 0
; FloatMode: 240
; IeeeMode: 1
; LDSByteSize: 0 bytes/workgroup (compile time only)
; SGPRBlocks: 0
; VGPRBlocks: 0
; NumSGPRsForWavesPerEU: 1
; NumVGPRsForWavesPerEU: 1
; NamedBarCnt: 0
; Occupancy: 16
; WaveLimiterHint : 0
; COMPUTE_PGM_RSRC2:SCRATCH_EN: 0
; COMPUTE_PGM_RSRC2:USER_SGPR: 2
; COMPUTE_PGM_RSRC2:TRAP_HANDLER: 0
; COMPUTE_PGM_RSRC2:TGID_X_EN: 1
; COMPUTE_PGM_RSRC2:TGID_Y_EN: 0
; COMPUTE_PGM_RSRC2:TGID_Z_EN: 0
; COMPUTE_PGM_RSRC2:TIDIG_COMP_CNT: 0
	.section	.text._ZN6thrust23THRUST_200600_302600_NS11hip_rocprim14__parallel_for6kernelILj256ENS1_20__uninitialized_fill7functorINS0_10device_ptrIxEExEEmLj1EEEvT0_T1_SA_,"axG",@progbits,_ZN6thrust23THRUST_200600_302600_NS11hip_rocprim14__parallel_for6kernelILj256ENS1_20__uninitialized_fill7functorINS0_10device_ptrIxEExEEmLj1EEEvT0_T1_SA_,comdat
	.protected	_ZN6thrust23THRUST_200600_302600_NS11hip_rocprim14__parallel_for6kernelILj256ENS1_20__uninitialized_fill7functorINS0_10device_ptrIxEExEEmLj1EEEvT0_T1_SA_ ; -- Begin function _ZN6thrust23THRUST_200600_302600_NS11hip_rocprim14__parallel_for6kernelILj256ENS1_20__uninitialized_fill7functorINS0_10device_ptrIxEExEEmLj1EEEvT0_T1_SA_
	.globl	_ZN6thrust23THRUST_200600_302600_NS11hip_rocprim14__parallel_for6kernelILj256ENS1_20__uninitialized_fill7functorINS0_10device_ptrIxEExEEmLj1EEEvT0_T1_SA_
	.p2align	8
	.type	_ZN6thrust23THRUST_200600_302600_NS11hip_rocprim14__parallel_for6kernelILj256ENS1_20__uninitialized_fill7functorINS0_10device_ptrIxEExEEmLj1EEEvT0_T1_SA_,@function
_ZN6thrust23THRUST_200600_302600_NS11hip_rocprim14__parallel_for6kernelILj256ENS1_20__uninitialized_fill7functorINS0_10device_ptrIxEExEEmLj1EEEvT0_T1_SA_: ; @_ZN6thrust23THRUST_200600_302600_NS11hip_rocprim14__parallel_for6kernelILj256ENS1_20__uninitialized_fill7functorINS0_10device_ptrIxEExEEmLj1EEEvT0_T1_SA_
; %bb.0:
	s_load_b256 s[4:11], s[0:1], 0x0
	s_wait_xcnt 0x0
	s_bfe_u32 s0, ttmp6, 0x4000c
	s_and_b32 s1, ttmp6, 15
	s_add_co_i32 s0, s0, 1
	s_getreg_b32 s2, hwreg(HW_REG_IB_STS2, 6, 4)
	s_mul_i32 s0, ttmp9, s0
	s_delay_alu instid0(SALU_CYCLE_1)
	s_add_co_i32 s1, s1, s0
	s_cmp_eq_u32 s2, 0
	s_cselect_b32 s0, ttmp9, s1
	s_mov_b32 s1, 0
	s_lshl_b32 s0, s0, 8
	s_wait_kmcnt 0x0
	s_add_nc_u64 s[0:1], s[10:11], s[0:1]
	s_delay_alu instid0(SALU_CYCLE_1) | instskip(NEXT) | instid1(SALU_CYCLE_1)
	s_sub_nc_u64 s[2:3], s[8:9], s[0:1]
	v_cmp_lt_u64_e64 s3, 0xff, s[2:3]
	s_and_b32 vcc_lo, exec_lo, s3
	s_mov_b32 s3, -1
	s_cbranch_vccz .LBB206_3
; %bb.1:
	s_and_not1_b32 vcc_lo, exec_lo, s3
	s_cbranch_vccz .LBB206_6
.LBB206_2:
	s_endpgm
.LBB206_3:
	v_cmp_gt_u32_e32 vcc_lo, s2, v0
	s_and_saveexec_b32 s2, vcc_lo
	s_cbranch_execz .LBB206_5
; %bb.4:
	v_mov_b64_e32 v[2:3], s[6:7]
	s_lshl_b64 s[8:9], s[0:1], 3
	s_delay_alu instid0(SALU_CYCLE_1)
	s_add_nc_u64 s[8:9], s[4:5], s[8:9]
	flat_store_b64 v0, v[2:3], s[8:9] scale_offset
.LBB206_5:
	s_wait_xcnt 0x0
	s_or_b32 exec_lo, exec_lo, s2
	s_cbranch_execnz .LBB206_2
.LBB206_6:
	v_mov_b64_e32 v[2:3], s[6:7]
	s_lshl_b64 s[0:1], s[0:1], 3
	s_delay_alu instid0(SALU_CYCLE_1)
	s_add_nc_u64 s[0:1], s[4:5], s[0:1]
	flat_store_b64 v0, v[2:3], s[0:1] scale_offset
	s_endpgm
	.section	.rodata,"a",@progbits
	.p2align	6, 0x0
	.amdhsa_kernel _ZN6thrust23THRUST_200600_302600_NS11hip_rocprim14__parallel_for6kernelILj256ENS1_20__uninitialized_fill7functorINS0_10device_ptrIxEExEEmLj1EEEvT0_T1_SA_
		.amdhsa_group_segment_fixed_size 0
		.amdhsa_private_segment_fixed_size 0
		.amdhsa_kernarg_size 32
		.amdhsa_user_sgpr_count 2
		.amdhsa_user_sgpr_dispatch_ptr 0
		.amdhsa_user_sgpr_queue_ptr 0
		.amdhsa_user_sgpr_kernarg_segment_ptr 1
		.amdhsa_user_sgpr_dispatch_id 0
		.amdhsa_user_sgpr_kernarg_preload_length 0
		.amdhsa_user_sgpr_kernarg_preload_offset 0
		.amdhsa_user_sgpr_private_segment_size 0
		.amdhsa_wavefront_size32 1
		.amdhsa_uses_dynamic_stack 0
		.amdhsa_enable_private_segment 0
		.amdhsa_system_sgpr_workgroup_id_x 1
		.amdhsa_system_sgpr_workgroup_id_y 0
		.amdhsa_system_sgpr_workgroup_id_z 0
		.amdhsa_system_sgpr_workgroup_info 0
		.amdhsa_system_vgpr_workitem_id 0
		.amdhsa_next_free_vgpr 4
		.amdhsa_next_free_sgpr 12
		.amdhsa_named_barrier_count 0
		.amdhsa_reserve_vcc 1
		.amdhsa_float_round_mode_32 0
		.amdhsa_float_round_mode_16_64 0
		.amdhsa_float_denorm_mode_32 3
		.amdhsa_float_denorm_mode_16_64 3
		.amdhsa_fp16_overflow 0
		.amdhsa_memory_ordered 1
		.amdhsa_forward_progress 1
		.amdhsa_inst_pref_size 2
		.amdhsa_round_robin_scheduling 0
		.amdhsa_exception_fp_ieee_invalid_op 0
		.amdhsa_exception_fp_denorm_src 0
		.amdhsa_exception_fp_ieee_div_zero 0
		.amdhsa_exception_fp_ieee_overflow 0
		.amdhsa_exception_fp_ieee_underflow 0
		.amdhsa_exception_fp_ieee_inexact 0
		.amdhsa_exception_int_div_zero 0
	.end_amdhsa_kernel
	.section	.text._ZN6thrust23THRUST_200600_302600_NS11hip_rocprim14__parallel_for6kernelILj256ENS1_20__uninitialized_fill7functorINS0_10device_ptrIxEExEEmLj1EEEvT0_T1_SA_,"axG",@progbits,_ZN6thrust23THRUST_200600_302600_NS11hip_rocprim14__parallel_for6kernelILj256ENS1_20__uninitialized_fill7functorINS0_10device_ptrIxEExEEmLj1EEEvT0_T1_SA_,comdat
.Lfunc_end206:
	.size	_ZN6thrust23THRUST_200600_302600_NS11hip_rocprim14__parallel_for6kernelILj256ENS1_20__uninitialized_fill7functorINS0_10device_ptrIxEExEEmLj1EEEvT0_T1_SA_, .Lfunc_end206-_ZN6thrust23THRUST_200600_302600_NS11hip_rocprim14__parallel_for6kernelILj256ENS1_20__uninitialized_fill7functorINS0_10device_ptrIxEExEEmLj1EEEvT0_T1_SA_
                                        ; -- End function
	.set _ZN6thrust23THRUST_200600_302600_NS11hip_rocprim14__parallel_for6kernelILj256ENS1_20__uninitialized_fill7functorINS0_10device_ptrIxEExEEmLj1EEEvT0_T1_SA_.num_vgpr, 4
	.set _ZN6thrust23THRUST_200600_302600_NS11hip_rocprim14__parallel_for6kernelILj256ENS1_20__uninitialized_fill7functorINS0_10device_ptrIxEExEEmLj1EEEvT0_T1_SA_.num_agpr, 0
	.set _ZN6thrust23THRUST_200600_302600_NS11hip_rocprim14__parallel_for6kernelILj256ENS1_20__uninitialized_fill7functorINS0_10device_ptrIxEExEEmLj1EEEvT0_T1_SA_.numbered_sgpr, 12
	.set _ZN6thrust23THRUST_200600_302600_NS11hip_rocprim14__parallel_for6kernelILj256ENS1_20__uninitialized_fill7functorINS0_10device_ptrIxEExEEmLj1EEEvT0_T1_SA_.num_named_barrier, 0
	.set _ZN6thrust23THRUST_200600_302600_NS11hip_rocprim14__parallel_for6kernelILj256ENS1_20__uninitialized_fill7functorINS0_10device_ptrIxEExEEmLj1EEEvT0_T1_SA_.private_seg_size, 0
	.set _ZN6thrust23THRUST_200600_302600_NS11hip_rocprim14__parallel_for6kernelILj256ENS1_20__uninitialized_fill7functorINS0_10device_ptrIxEExEEmLj1EEEvT0_T1_SA_.uses_vcc, 1
	.set _ZN6thrust23THRUST_200600_302600_NS11hip_rocprim14__parallel_for6kernelILj256ENS1_20__uninitialized_fill7functorINS0_10device_ptrIxEExEEmLj1EEEvT0_T1_SA_.uses_flat_scratch, 0
	.set _ZN6thrust23THRUST_200600_302600_NS11hip_rocprim14__parallel_for6kernelILj256ENS1_20__uninitialized_fill7functorINS0_10device_ptrIxEExEEmLj1EEEvT0_T1_SA_.has_dyn_sized_stack, 0
	.set _ZN6thrust23THRUST_200600_302600_NS11hip_rocprim14__parallel_for6kernelILj256ENS1_20__uninitialized_fill7functorINS0_10device_ptrIxEExEEmLj1EEEvT0_T1_SA_.has_recursion, 0
	.set _ZN6thrust23THRUST_200600_302600_NS11hip_rocprim14__parallel_for6kernelILj256ENS1_20__uninitialized_fill7functorINS0_10device_ptrIxEExEEmLj1EEEvT0_T1_SA_.has_indirect_call, 0
	.section	.AMDGPU.csdata,"",@progbits
; Kernel info:
; codeLenInByte = 196
; TotalNumSgprs: 14
; NumVgprs: 4
; ScratchSize: 0
; MemoryBound: 0
; FloatMode: 240
; IeeeMode: 1
; LDSByteSize: 0 bytes/workgroup (compile time only)
; SGPRBlocks: 0
; VGPRBlocks: 0
; NumSGPRsForWavesPerEU: 14
; NumVGPRsForWavesPerEU: 4
; NamedBarCnt: 0
; Occupancy: 16
; WaveLimiterHint : 0
; COMPUTE_PGM_RSRC2:SCRATCH_EN: 0
; COMPUTE_PGM_RSRC2:USER_SGPR: 2
; COMPUTE_PGM_RSRC2:TRAP_HANDLER: 0
; COMPUTE_PGM_RSRC2:TGID_X_EN: 1
; COMPUTE_PGM_RSRC2:TGID_Y_EN: 0
; COMPUTE_PGM_RSRC2:TGID_Z_EN: 0
; COMPUTE_PGM_RSRC2:TIDIG_COMP_CNT: 0
	.section	.text._ZN7rocprim17ROCPRIM_400000_NS6detail17trampoline_kernelINS0_14default_configENS1_21merge_config_selectorINS0_5tupleIJxxEEENS0_10empty_typeEEEZNS1_10merge_implIS3_NS0_12zip_iteratorINS5_IJN6thrust23THRUST_200600_302600_NS6detail15normal_iteratorINSC_10device_ptrIKxEEEESI_EEEEESK_NSA_INS5_IJNSE_INSF_IxEEEESM_EEEEEPS7_SP_SP_NSC_11hip_rocprim7__merge17predicate_wrapperIxxNSC_4lessIxEEEEEE10hipError_tPvRmT0_T1_T2_T3_T4_T5_mmT6_P12ihipStream_tbEUlT_E_NS1_11comp_targetILNS1_3genE0ELNS1_11target_archE4294967295ELNS1_3gpuE0ELNS1_3repE0EEENS1_30default_config_static_selectorELNS0_4arch9wavefront6targetE0EEEvS10_,"axG",@progbits,_ZN7rocprim17ROCPRIM_400000_NS6detail17trampoline_kernelINS0_14default_configENS1_21merge_config_selectorINS0_5tupleIJxxEEENS0_10empty_typeEEEZNS1_10merge_implIS3_NS0_12zip_iteratorINS5_IJN6thrust23THRUST_200600_302600_NS6detail15normal_iteratorINSC_10device_ptrIKxEEEESI_EEEEESK_NSA_INS5_IJNSE_INSF_IxEEEESM_EEEEEPS7_SP_SP_NSC_11hip_rocprim7__merge17predicate_wrapperIxxNSC_4lessIxEEEEEE10hipError_tPvRmT0_T1_T2_T3_T4_T5_mmT6_P12ihipStream_tbEUlT_E_NS1_11comp_targetILNS1_3genE0ELNS1_11target_archE4294967295ELNS1_3gpuE0ELNS1_3repE0EEENS1_30default_config_static_selectorELNS0_4arch9wavefront6targetE0EEEvS10_,comdat
	.protected	_ZN7rocprim17ROCPRIM_400000_NS6detail17trampoline_kernelINS0_14default_configENS1_21merge_config_selectorINS0_5tupleIJxxEEENS0_10empty_typeEEEZNS1_10merge_implIS3_NS0_12zip_iteratorINS5_IJN6thrust23THRUST_200600_302600_NS6detail15normal_iteratorINSC_10device_ptrIKxEEEESI_EEEEESK_NSA_INS5_IJNSE_INSF_IxEEEESM_EEEEEPS7_SP_SP_NSC_11hip_rocprim7__merge17predicate_wrapperIxxNSC_4lessIxEEEEEE10hipError_tPvRmT0_T1_T2_T3_T4_T5_mmT6_P12ihipStream_tbEUlT_E_NS1_11comp_targetILNS1_3genE0ELNS1_11target_archE4294967295ELNS1_3gpuE0ELNS1_3repE0EEENS1_30default_config_static_selectorELNS0_4arch9wavefront6targetE0EEEvS10_ ; -- Begin function _ZN7rocprim17ROCPRIM_400000_NS6detail17trampoline_kernelINS0_14default_configENS1_21merge_config_selectorINS0_5tupleIJxxEEENS0_10empty_typeEEEZNS1_10merge_implIS3_NS0_12zip_iteratorINS5_IJN6thrust23THRUST_200600_302600_NS6detail15normal_iteratorINSC_10device_ptrIKxEEEESI_EEEEESK_NSA_INS5_IJNSE_INSF_IxEEEESM_EEEEEPS7_SP_SP_NSC_11hip_rocprim7__merge17predicate_wrapperIxxNSC_4lessIxEEEEEE10hipError_tPvRmT0_T1_T2_T3_T4_T5_mmT6_P12ihipStream_tbEUlT_E_NS1_11comp_targetILNS1_3genE0ELNS1_11target_archE4294967295ELNS1_3gpuE0ELNS1_3repE0EEENS1_30default_config_static_selectorELNS0_4arch9wavefront6targetE0EEEvS10_
	.globl	_ZN7rocprim17ROCPRIM_400000_NS6detail17trampoline_kernelINS0_14default_configENS1_21merge_config_selectorINS0_5tupleIJxxEEENS0_10empty_typeEEEZNS1_10merge_implIS3_NS0_12zip_iteratorINS5_IJN6thrust23THRUST_200600_302600_NS6detail15normal_iteratorINSC_10device_ptrIKxEEEESI_EEEEESK_NSA_INS5_IJNSE_INSF_IxEEEESM_EEEEEPS7_SP_SP_NSC_11hip_rocprim7__merge17predicate_wrapperIxxNSC_4lessIxEEEEEE10hipError_tPvRmT0_T1_T2_T3_T4_T5_mmT6_P12ihipStream_tbEUlT_E_NS1_11comp_targetILNS1_3genE0ELNS1_11target_archE4294967295ELNS1_3gpuE0ELNS1_3repE0EEENS1_30default_config_static_selectorELNS0_4arch9wavefront6targetE0EEEvS10_
	.p2align	8
	.type	_ZN7rocprim17ROCPRIM_400000_NS6detail17trampoline_kernelINS0_14default_configENS1_21merge_config_selectorINS0_5tupleIJxxEEENS0_10empty_typeEEEZNS1_10merge_implIS3_NS0_12zip_iteratorINS5_IJN6thrust23THRUST_200600_302600_NS6detail15normal_iteratorINSC_10device_ptrIKxEEEESI_EEEEESK_NSA_INS5_IJNSE_INSF_IxEEEESM_EEEEEPS7_SP_SP_NSC_11hip_rocprim7__merge17predicate_wrapperIxxNSC_4lessIxEEEEEE10hipError_tPvRmT0_T1_T2_T3_T4_T5_mmT6_P12ihipStream_tbEUlT_E_NS1_11comp_targetILNS1_3genE0ELNS1_11target_archE4294967295ELNS1_3gpuE0ELNS1_3repE0EEENS1_30default_config_static_selectorELNS0_4arch9wavefront6targetE0EEEvS10_,@function
_ZN7rocprim17ROCPRIM_400000_NS6detail17trampoline_kernelINS0_14default_configENS1_21merge_config_selectorINS0_5tupleIJxxEEENS0_10empty_typeEEEZNS1_10merge_implIS3_NS0_12zip_iteratorINS5_IJN6thrust23THRUST_200600_302600_NS6detail15normal_iteratorINSC_10device_ptrIKxEEEESI_EEEEESK_NSA_INS5_IJNSE_INSF_IxEEEESM_EEEEEPS7_SP_SP_NSC_11hip_rocprim7__merge17predicate_wrapperIxxNSC_4lessIxEEEEEE10hipError_tPvRmT0_T1_T2_T3_T4_T5_mmT6_P12ihipStream_tbEUlT_E_NS1_11comp_targetILNS1_3genE0ELNS1_11target_archE4294967295ELNS1_3gpuE0ELNS1_3repE0EEENS1_30default_config_static_selectorELNS0_4arch9wavefront6targetE0EEEvS10_: ; @_ZN7rocprim17ROCPRIM_400000_NS6detail17trampoline_kernelINS0_14default_configENS1_21merge_config_selectorINS0_5tupleIJxxEEENS0_10empty_typeEEEZNS1_10merge_implIS3_NS0_12zip_iteratorINS5_IJN6thrust23THRUST_200600_302600_NS6detail15normal_iteratorINSC_10device_ptrIKxEEEESI_EEEEESK_NSA_INS5_IJNSE_INSF_IxEEEESM_EEEEEPS7_SP_SP_NSC_11hip_rocprim7__merge17predicate_wrapperIxxNSC_4lessIxEEEEEE10hipError_tPvRmT0_T1_T2_T3_T4_T5_mmT6_P12ihipStream_tbEUlT_E_NS1_11comp_targetILNS1_3genE0ELNS1_11target_archE4294967295ELNS1_3gpuE0ELNS1_3repE0EEENS1_30default_config_static_selectorELNS0_4arch9wavefront6targetE0EEEvS10_
; %bb.0:
	s_clause 0x2
	s_load_b32 s4, s[0:1], 0x38
	s_load_b32 s2, s[0:1], 0x4c
	s_load_b128 s[8:11], s[0:1], 0x28
	s_getreg_b32 s7, hwreg(HW_REG_IB_STS2, 6, 4)
	s_wait_kmcnt 0x0
	s_cvt_f32_u32 s3, s4
	s_and_b32 s6, s2, 0xffff
	s_and_b32 s2, ttmp6, 15
	s_delay_alu instid0(SALU_CYCLE_1) | instskip(SKIP_1) | instid1(SALU_CYCLE_1)
	v_rcp_iflag_f32_e32 v1, s3
	s_bfe_u32 s3, ttmp6, 0x4000c
	s_add_co_i32 s3, s3, 1
	s_delay_alu instid0(SALU_CYCLE_1) | instskip(NEXT) | instid1(SALU_CYCLE_1)
	s_mul_i32 s3, ttmp9, s3
	s_add_co_i32 s2, s2, s3
	v_nop
	s_delay_alu instid0(TRANS32_DEP_1)
	v_readfirstlane_b32 s5, v1
	s_cmp_eq_u32 s7, 0
	s_cselect_b32 s7, ttmp9, s2
	s_sub_co_i32 s12, 0, s4
	s_mul_f32 s5, s5, 0x4f7ffffe
	s_add_nc_u64 s[2:3], s[10:11], s[8:9]
	v_mad_u32 v6, s7, s6, v0
	s_add_co_i32 s13, s4, s2
	s_cvt_u32_f32 s5, s5
	s_add_co_i32 s13, s13, -1
	s_delay_alu instid0(SALU_CYCLE_2) | instskip(NEXT) | instid1(SALU_CYCLE_1)
	s_mul_i32 s12, s12, s5
	s_mul_hi_u32 s12, s5, s12
	s_delay_alu instid0(SALU_CYCLE_1) | instskip(NEXT) | instid1(SALU_CYCLE_1)
	s_add_co_i32 s5, s5, s12
	s_mul_hi_u32 s5, s13, s5
	s_delay_alu instid0(SALU_CYCLE_1) | instskip(SKIP_2) | instid1(SALU_CYCLE_1)
	s_mul_i32 s12, s5, s4
	s_add_co_i32 s7, s5, 1
	s_sub_co_i32 s6, s13, s12
	s_sub_co_i32 s12, s6, s4
	s_cmp_ge_u32 s6, s4
	s_cselect_b32 s5, s7, s5
	s_cselect_b32 s6, s12, s6
	s_add_co_i32 s7, s5, 1
	s_cmp_ge_u32 s6, s4
	s_cselect_b32 s5, s7, s5
	s_delay_alu instid0(SALU_CYCLE_1)
	v_cmp_ge_u32_e32 vcc_lo, s5, v6
	s_and_saveexec_b32 s5, vcc_lo
	s_cbranch_execz .LBB207_6
; %bb.1:
	v_mul_lo_u32 v0, v6, s4
	v_mov_b32_e32 v1, 0
	s_load_b128 s[4:7], s[0:1], 0x0
	s_delay_alu instid0(VALU_DEP_1) | instskip(SKIP_1) | instid1(VALU_DEP_1)
	v_min_u64 v[4:5], v[0:1], s[2:3]
	s_mov_b32 s2, exec_lo
	v_max_u64 v[0:1], v[4:5], s[10:11]
	v_min_u64 v[2:3], v[4:5], s[8:9]
	s_delay_alu instid0(VALU_DEP_2) | instskip(NEXT) | instid1(VALU_DEP_1)
	v_sub_nc_u64_e64 v[0:1], v[0:1], s[10:11]
	v_cmpx_lt_u64_e64 v[0:1], v[2:3]
	s_cbranch_execz .LBB207_5
; %bb.2:
	s_wait_xcnt 0x0
	s_load_b64 s[0:1], s[0:1], 0x18
	s_wait_kmcnt 0x0
	v_lshl_add_u64 v[4:5], v[4:5], 3, s[0:1]
	s_mov_b32 s0, 0
.LBB207_3:                              ; =>This Inner Loop Header: Depth=1
	v_add_nc_u64_e32 v[8:9], v[2:3], v[0:1]
	s_delay_alu instid0(VALU_DEP_1) | instskip(NEXT) | instid1(VALU_DEP_1)
	v_lshrrev_b64 v[8:9], 1, v[8:9]
	v_lshlrev_b64_e32 v[10:11], 3, v[8:9]
	s_delay_alu instid0(VALU_DEP_1) | instskip(NEXT) | instid1(VALU_DEP_2)
	v_xor_b32_e32 v13, -1, v11
	v_xor_b32_e32 v12, -8, v10
	v_add_nc_u64_e32 v[10:11], s[6:7], v[10:11]
	s_delay_alu instid0(VALU_DEP_2)
	v_add_nc_u64_e32 v[12:13], v[4:5], v[12:13]
	global_load_b64 v[14:15], v[10:11], off
	global_load_b64 v[16:17], v[12:13], off
	s_wait_xcnt 0x1
	v_add_nc_u64_e32 v[10:11], 1, v[8:9]
	s_wait_loadcnt 0x0
	v_cmp_lt_i64_e32 vcc_lo, v[16:17], v[14:15]
	v_dual_cndmask_b32 v3, v3, v9 :: v_dual_cndmask_b32 v2, v2, v8
	s_delay_alu instid0(VALU_DEP_3) | instskip(NEXT) | instid1(VALU_DEP_1)
	v_dual_cndmask_b32 v1, v11, v1 :: v_dual_cndmask_b32 v0, v10, v0
	v_cmp_ge_u64_e32 vcc_lo, v[0:1], v[2:3]
	s_or_b32 s0, vcc_lo, s0
	s_delay_alu instid0(SALU_CYCLE_1)
	s_and_not1_b32 exec_lo, exec_lo, s0
	s_cbranch_execnz .LBB207_3
; %bb.4:
	s_or_b32 exec_lo, exec_lo, s0
.LBB207_5:
	s_delay_alu instid0(SALU_CYCLE_1)
	s_or_b32 exec_lo, exec_lo, s2
	s_wait_kmcnt 0x0
	global_store_b32 v6, v0, s[4:5] scale_offset
.LBB207_6:
	s_endpgm
	.section	.rodata,"a",@progbits
	.p2align	6, 0x0
	.amdhsa_kernel _ZN7rocprim17ROCPRIM_400000_NS6detail17trampoline_kernelINS0_14default_configENS1_21merge_config_selectorINS0_5tupleIJxxEEENS0_10empty_typeEEEZNS1_10merge_implIS3_NS0_12zip_iteratorINS5_IJN6thrust23THRUST_200600_302600_NS6detail15normal_iteratorINSC_10device_ptrIKxEEEESI_EEEEESK_NSA_INS5_IJNSE_INSF_IxEEEESM_EEEEEPS7_SP_SP_NSC_11hip_rocprim7__merge17predicate_wrapperIxxNSC_4lessIxEEEEEE10hipError_tPvRmT0_T1_T2_T3_T4_T5_mmT6_P12ihipStream_tbEUlT_E_NS1_11comp_targetILNS1_3genE0ELNS1_11target_archE4294967295ELNS1_3gpuE0ELNS1_3repE0EEENS1_30default_config_static_selectorELNS0_4arch9wavefront6targetE0EEEvS10_
		.amdhsa_group_segment_fixed_size 0
		.amdhsa_private_segment_fixed_size 0
		.amdhsa_kernarg_size 320
		.amdhsa_user_sgpr_count 2
		.amdhsa_user_sgpr_dispatch_ptr 0
		.amdhsa_user_sgpr_queue_ptr 0
		.amdhsa_user_sgpr_kernarg_segment_ptr 1
		.amdhsa_user_sgpr_dispatch_id 0
		.amdhsa_user_sgpr_kernarg_preload_length 0
		.amdhsa_user_sgpr_kernarg_preload_offset 0
		.amdhsa_user_sgpr_private_segment_size 0
		.amdhsa_wavefront_size32 1
		.amdhsa_uses_dynamic_stack 0
		.amdhsa_enable_private_segment 0
		.amdhsa_system_sgpr_workgroup_id_x 1
		.amdhsa_system_sgpr_workgroup_id_y 0
		.amdhsa_system_sgpr_workgroup_id_z 0
		.amdhsa_system_sgpr_workgroup_info 0
		.amdhsa_system_vgpr_workitem_id 0
		.amdhsa_next_free_vgpr 18
		.amdhsa_next_free_sgpr 14
		.amdhsa_named_barrier_count 0
		.amdhsa_reserve_vcc 1
		.amdhsa_float_round_mode_32 0
		.amdhsa_float_round_mode_16_64 0
		.amdhsa_float_denorm_mode_32 3
		.amdhsa_float_denorm_mode_16_64 3
		.amdhsa_fp16_overflow 0
		.amdhsa_memory_ordered 1
		.amdhsa_forward_progress 1
		.amdhsa_inst_pref_size 4
		.amdhsa_round_robin_scheduling 0
		.amdhsa_exception_fp_ieee_invalid_op 0
		.amdhsa_exception_fp_denorm_src 0
		.amdhsa_exception_fp_ieee_div_zero 0
		.amdhsa_exception_fp_ieee_overflow 0
		.amdhsa_exception_fp_ieee_underflow 0
		.amdhsa_exception_fp_ieee_inexact 0
		.amdhsa_exception_int_div_zero 0
	.end_amdhsa_kernel
	.section	.text._ZN7rocprim17ROCPRIM_400000_NS6detail17trampoline_kernelINS0_14default_configENS1_21merge_config_selectorINS0_5tupleIJxxEEENS0_10empty_typeEEEZNS1_10merge_implIS3_NS0_12zip_iteratorINS5_IJN6thrust23THRUST_200600_302600_NS6detail15normal_iteratorINSC_10device_ptrIKxEEEESI_EEEEESK_NSA_INS5_IJNSE_INSF_IxEEEESM_EEEEEPS7_SP_SP_NSC_11hip_rocprim7__merge17predicate_wrapperIxxNSC_4lessIxEEEEEE10hipError_tPvRmT0_T1_T2_T3_T4_T5_mmT6_P12ihipStream_tbEUlT_E_NS1_11comp_targetILNS1_3genE0ELNS1_11target_archE4294967295ELNS1_3gpuE0ELNS1_3repE0EEENS1_30default_config_static_selectorELNS0_4arch9wavefront6targetE0EEEvS10_,"axG",@progbits,_ZN7rocprim17ROCPRIM_400000_NS6detail17trampoline_kernelINS0_14default_configENS1_21merge_config_selectorINS0_5tupleIJxxEEENS0_10empty_typeEEEZNS1_10merge_implIS3_NS0_12zip_iteratorINS5_IJN6thrust23THRUST_200600_302600_NS6detail15normal_iteratorINSC_10device_ptrIKxEEEESI_EEEEESK_NSA_INS5_IJNSE_INSF_IxEEEESM_EEEEEPS7_SP_SP_NSC_11hip_rocprim7__merge17predicate_wrapperIxxNSC_4lessIxEEEEEE10hipError_tPvRmT0_T1_T2_T3_T4_T5_mmT6_P12ihipStream_tbEUlT_E_NS1_11comp_targetILNS1_3genE0ELNS1_11target_archE4294967295ELNS1_3gpuE0ELNS1_3repE0EEENS1_30default_config_static_selectorELNS0_4arch9wavefront6targetE0EEEvS10_,comdat
.Lfunc_end207:
	.size	_ZN7rocprim17ROCPRIM_400000_NS6detail17trampoline_kernelINS0_14default_configENS1_21merge_config_selectorINS0_5tupleIJxxEEENS0_10empty_typeEEEZNS1_10merge_implIS3_NS0_12zip_iteratorINS5_IJN6thrust23THRUST_200600_302600_NS6detail15normal_iteratorINSC_10device_ptrIKxEEEESI_EEEEESK_NSA_INS5_IJNSE_INSF_IxEEEESM_EEEEEPS7_SP_SP_NSC_11hip_rocprim7__merge17predicate_wrapperIxxNSC_4lessIxEEEEEE10hipError_tPvRmT0_T1_T2_T3_T4_T5_mmT6_P12ihipStream_tbEUlT_E_NS1_11comp_targetILNS1_3genE0ELNS1_11target_archE4294967295ELNS1_3gpuE0ELNS1_3repE0EEENS1_30default_config_static_selectorELNS0_4arch9wavefront6targetE0EEEvS10_, .Lfunc_end207-_ZN7rocprim17ROCPRIM_400000_NS6detail17trampoline_kernelINS0_14default_configENS1_21merge_config_selectorINS0_5tupleIJxxEEENS0_10empty_typeEEEZNS1_10merge_implIS3_NS0_12zip_iteratorINS5_IJN6thrust23THRUST_200600_302600_NS6detail15normal_iteratorINSC_10device_ptrIKxEEEESI_EEEEESK_NSA_INS5_IJNSE_INSF_IxEEEESM_EEEEEPS7_SP_SP_NSC_11hip_rocprim7__merge17predicate_wrapperIxxNSC_4lessIxEEEEEE10hipError_tPvRmT0_T1_T2_T3_T4_T5_mmT6_P12ihipStream_tbEUlT_E_NS1_11comp_targetILNS1_3genE0ELNS1_11target_archE4294967295ELNS1_3gpuE0ELNS1_3repE0EEENS1_30default_config_static_selectorELNS0_4arch9wavefront6targetE0EEEvS10_
                                        ; -- End function
	.set _ZN7rocprim17ROCPRIM_400000_NS6detail17trampoline_kernelINS0_14default_configENS1_21merge_config_selectorINS0_5tupleIJxxEEENS0_10empty_typeEEEZNS1_10merge_implIS3_NS0_12zip_iteratorINS5_IJN6thrust23THRUST_200600_302600_NS6detail15normal_iteratorINSC_10device_ptrIKxEEEESI_EEEEESK_NSA_INS5_IJNSE_INSF_IxEEEESM_EEEEEPS7_SP_SP_NSC_11hip_rocprim7__merge17predicate_wrapperIxxNSC_4lessIxEEEEEE10hipError_tPvRmT0_T1_T2_T3_T4_T5_mmT6_P12ihipStream_tbEUlT_E_NS1_11comp_targetILNS1_3genE0ELNS1_11target_archE4294967295ELNS1_3gpuE0ELNS1_3repE0EEENS1_30default_config_static_selectorELNS0_4arch9wavefront6targetE0EEEvS10_.num_vgpr, 18
	.set _ZN7rocprim17ROCPRIM_400000_NS6detail17trampoline_kernelINS0_14default_configENS1_21merge_config_selectorINS0_5tupleIJxxEEENS0_10empty_typeEEEZNS1_10merge_implIS3_NS0_12zip_iteratorINS5_IJN6thrust23THRUST_200600_302600_NS6detail15normal_iteratorINSC_10device_ptrIKxEEEESI_EEEEESK_NSA_INS5_IJNSE_INSF_IxEEEESM_EEEEEPS7_SP_SP_NSC_11hip_rocprim7__merge17predicate_wrapperIxxNSC_4lessIxEEEEEE10hipError_tPvRmT0_T1_T2_T3_T4_T5_mmT6_P12ihipStream_tbEUlT_E_NS1_11comp_targetILNS1_3genE0ELNS1_11target_archE4294967295ELNS1_3gpuE0ELNS1_3repE0EEENS1_30default_config_static_selectorELNS0_4arch9wavefront6targetE0EEEvS10_.num_agpr, 0
	.set _ZN7rocprim17ROCPRIM_400000_NS6detail17trampoline_kernelINS0_14default_configENS1_21merge_config_selectorINS0_5tupleIJxxEEENS0_10empty_typeEEEZNS1_10merge_implIS3_NS0_12zip_iteratorINS5_IJN6thrust23THRUST_200600_302600_NS6detail15normal_iteratorINSC_10device_ptrIKxEEEESI_EEEEESK_NSA_INS5_IJNSE_INSF_IxEEEESM_EEEEEPS7_SP_SP_NSC_11hip_rocprim7__merge17predicate_wrapperIxxNSC_4lessIxEEEEEE10hipError_tPvRmT0_T1_T2_T3_T4_T5_mmT6_P12ihipStream_tbEUlT_E_NS1_11comp_targetILNS1_3genE0ELNS1_11target_archE4294967295ELNS1_3gpuE0ELNS1_3repE0EEENS1_30default_config_static_selectorELNS0_4arch9wavefront6targetE0EEEvS10_.numbered_sgpr, 14
	.set _ZN7rocprim17ROCPRIM_400000_NS6detail17trampoline_kernelINS0_14default_configENS1_21merge_config_selectorINS0_5tupleIJxxEEENS0_10empty_typeEEEZNS1_10merge_implIS3_NS0_12zip_iteratorINS5_IJN6thrust23THRUST_200600_302600_NS6detail15normal_iteratorINSC_10device_ptrIKxEEEESI_EEEEESK_NSA_INS5_IJNSE_INSF_IxEEEESM_EEEEEPS7_SP_SP_NSC_11hip_rocprim7__merge17predicate_wrapperIxxNSC_4lessIxEEEEEE10hipError_tPvRmT0_T1_T2_T3_T4_T5_mmT6_P12ihipStream_tbEUlT_E_NS1_11comp_targetILNS1_3genE0ELNS1_11target_archE4294967295ELNS1_3gpuE0ELNS1_3repE0EEENS1_30default_config_static_selectorELNS0_4arch9wavefront6targetE0EEEvS10_.num_named_barrier, 0
	.set _ZN7rocprim17ROCPRIM_400000_NS6detail17trampoline_kernelINS0_14default_configENS1_21merge_config_selectorINS0_5tupleIJxxEEENS0_10empty_typeEEEZNS1_10merge_implIS3_NS0_12zip_iteratorINS5_IJN6thrust23THRUST_200600_302600_NS6detail15normal_iteratorINSC_10device_ptrIKxEEEESI_EEEEESK_NSA_INS5_IJNSE_INSF_IxEEEESM_EEEEEPS7_SP_SP_NSC_11hip_rocprim7__merge17predicate_wrapperIxxNSC_4lessIxEEEEEE10hipError_tPvRmT0_T1_T2_T3_T4_T5_mmT6_P12ihipStream_tbEUlT_E_NS1_11comp_targetILNS1_3genE0ELNS1_11target_archE4294967295ELNS1_3gpuE0ELNS1_3repE0EEENS1_30default_config_static_selectorELNS0_4arch9wavefront6targetE0EEEvS10_.private_seg_size, 0
	.set _ZN7rocprim17ROCPRIM_400000_NS6detail17trampoline_kernelINS0_14default_configENS1_21merge_config_selectorINS0_5tupleIJxxEEENS0_10empty_typeEEEZNS1_10merge_implIS3_NS0_12zip_iteratorINS5_IJN6thrust23THRUST_200600_302600_NS6detail15normal_iteratorINSC_10device_ptrIKxEEEESI_EEEEESK_NSA_INS5_IJNSE_INSF_IxEEEESM_EEEEEPS7_SP_SP_NSC_11hip_rocprim7__merge17predicate_wrapperIxxNSC_4lessIxEEEEEE10hipError_tPvRmT0_T1_T2_T3_T4_T5_mmT6_P12ihipStream_tbEUlT_E_NS1_11comp_targetILNS1_3genE0ELNS1_11target_archE4294967295ELNS1_3gpuE0ELNS1_3repE0EEENS1_30default_config_static_selectorELNS0_4arch9wavefront6targetE0EEEvS10_.uses_vcc, 1
	.set _ZN7rocprim17ROCPRIM_400000_NS6detail17trampoline_kernelINS0_14default_configENS1_21merge_config_selectorINS0_5tupleIJxxEEENS0_10empty_typeEEEZNS1_10merge_implIS3_NS0_12zip_iteratorINS5_IJN6thrust23THRUST_200600_302600_NS6detail15normal_iteratorINSC_10device_ptrIKxEEEESI_EEEEESK_NSA_INS5_IJNSE_INSF_IxEEEESM_EEEEEPS7_SP_SP_NSC_11hip_rocprim7__merge17predicate_wrapperIxxNSC_4lessIxEEEEEE10hipError_tPvRmT0_T1_T2_T3_T4_T5_mmT6_P12ihipStream_tbEUlT_E_NS1_11comp_targetILNS1_3genE0ELNS1_11target_archE4294967295ELNS1_3gpuE0ELNS1_3repE0EEENS1_30default_config_static_selectorELNS0_4arch9wavefront6targetE0EEEvS10_.uses_flat_scratch, 0
	.set _ZN7rocprim17ROCPRIM_400000_NS6detail17trampoline_kernelINS0_14default_configENS1_21merge_config_selectorINS0_5tupleIJxxEEENS0_10empty_typeEEEZNS1_10merge_implIS3_NS0_12zip_iteratorINS5_IJN6thrust23THRUST_200600_302600_NS6detail15normal_iteratorINSC_10device_ptrIKxEEEESI_EEEEESK_NSA_INS5_IJNSE_INSF_IxEEEESM_EEEEEPS7_SP_SP_NSC_11hip_rocprim7__merge17predicate_wrapperIxxNSC_4lessIxEEEEEE10hipError_tPvRmT0_T1_T2_T3_T4_T5_mmT6_P12ihipStream_tbEUlT_E_NS1_11comp_targetILNS1_3genE0ELNS1_11target_archE4294967295ELNS1_3gpuE0ELNS1_3repE0EEENS1_30default_config_static_selectorELNS0_4arch9wavefront6targetE0EEEvS10_.has_dyn_sized_stack, 0
	.set _ZN7rocprim17ROCPRIM_400000_NS6detail17trampoline_kernelINS0_14default_configENS1_21merge_config_selectorINS0_5tupleIJxxEEENS0_10empty_typeEEEZNS1_10merge_implIS3_NS0_12zip_iteratorINS5_IJN6thrust23THRUST_200600_302600_NS6detail15normal_iteratorINSC_10device_ptrIKxEEEESI_EEEEESK_NSA_INS5_IJNSE_INSF_IxEEEESM_EEEEEPS7_SP_SP_NSC_11hip_rocprim7__merge17predicate_wrapperIxxNSC_4lessIxEEEEEE10hipError_tPvRmT0_T1_T2_T3_T4_T5_mmT6_P12ihipStream_tbEUlT_E_NS1_11comp_targetILNS1_3genE0ELNS1_11target_archE4294967295ELNS1_3gpuE0ELNS1_3repE0EEENS1_30default_config_static_selectorELNS0_4arch9wavefront6targetE0EEEvS10_.has_recursion, 0
	.set _ZN7rocprim17ROCPRIM_400000_NS6detail17trampoline_kernelINS0_14default_configENS1_21merge_config_selectorINS0_5tupleIJxxEEENS0_10empty_typeEEEZNS1_10merge_implIS3_NS0_12zip_iteratorINS5_IJN6thrust23THRUST_200600_302600_NS6detail15normal_iteratorINSC_10device_ptrIKxEEEESI_EEEEESK_NSA_INS5_IJNSE_INSF_IxEEEESM_EEEEEPS7_SP_SP_NSC_11hip_rocprim7__merge17predicate_wrapperIxxNSC_4lessIxEEEEEE10hipError_tPvRmT0_T1_T2_T3_T4_T5_mmT6_P12ihipStream_tbEUlT_E_NS1_11comp_targetILNS1_3genE0ELNS1_11target_archE4294967295ELNS1_3gpuE0ELNS1_3repE0EEENS1_30default_config_static_selectorELNS0_4arch9wavefront6targetE0EEEvS10_.has_indirect_call, 0
	.section	.AMDGPU.csdata,"",@progbits
; Kernel info:
; codeLenInByte = 484
; TotalNumSgprs: 16
; NumVgprs: 18
; ScratchSize: 0
; MemoryBound: 0
; FloatMode: 240
; IeeeMode: 1
; LDSByteSize: 0 bytes/workgroup (compile time only)
; SGPRBlocks: 0
; VGPRBlocks: 1
; NumSGPRsForWavesPerEU: 16
; NumVGPRsForWavesPerEU: 18
; NamedBarCnt: 0
; Occupancy: 16
; WaveLimiterHint : 0
; COMPUTE_PGM_RSRC2:SCRATCH_EN: 0
; COMPUTE_PGM_RSRC2:USER_SGPR: 2
; COMPUTE_PGM_RSRC2:TRAP_HANDLER: 0
; COMPUTE_PGM_RSRC2:TGID_X_EN: 1
; COMPUTE_PGM_RSRC2:TGID_Y_EN: 0
; COMPUTE_PGM_RSRC2:TGID_Z_EN: 0
; COMPUTE_PGM_RSRC2:TIDIG_COMP_CNT: 0
	.section	.text._ZN7rocprim17ROCPRIM_400000_NS6detail17trampoline_kernelINS0_14default_configENS1_21merge_config_selectorINS0_5tupleIJxxEEENS0_10empty_typeEEEZNS1_10merge_implIS3_NS0_12zip_iteratorINS5_IJN6thrust23THRUST_200600_302600_NS6detail15normal_iteratorINSC_10device_ptrIKxEEEESI_EEEEESK_NSA_INS5_IJNSE_INSF_IxEEEESM_EEEEEPS7_SP_SP_NSC_11hip_rocprim7__merge17predicate_wrapperIxxNSC_4lessIxEEEEEE10hipError_tPvRmT0_T1_T2_T3_T4_T5_mmT6_P12ihipStream_tbEUlT_E_NS1_11comp_targetILNS1_3genE5ELNS1_11target_archE942ELNS1_3gpuE9ELNS1_3repE0EEENS1_30default_config_static_selectorELNS0_4arch9wavefront6targetE0EEEvS10_,"axG",@progbits,_ZN7rocprim17ROCPRIM_400000_NS6detail17trampoline_kernelINS0_14default_configENS1_21merge_config_selectorINS0_5tupleIJxxEEENS0_10empty_typeEEEZNS1_10merge_implIS3_NS0_12zip_iteratorINS5_IJN6thrust23THRUST_200600_302600_NS6detail15normal_iteratorINSC_10device_ptrIKxEEEESI_EEEEESK_NSA_INS5_IJNSE_INSF_IxEEEESM_EEEEEPS7_SP_SP_NSC_11hip_rocprim7__merge17predicate_wrapperIxxNSC_4lessIxEEEEEE10hipError_tPvRmT0_T1_T2_T3_T4_T5_mmT6_P12ihipStream_tbEUlT_E_NS1_11comp_targetILNS1_3genE5ELNS1_11target_archE942ELNS1_3gpuE9ELNS1_3repE0EEENS1_30default_config_static_selectorELNS0_4arch9wavefront6targetE0EEEvS10_,comdat
	.protected	_ZN7rocprim17ROCPRIM_400000_NS6detail17trampoline_kernelINS0_14default_configENS1_21merge_config_selectorINS0_5tupleIJxxEEENS0_10empty_typeEEEZNS1_10merge_implIS3_NS0_12zip_iteratorINS5_IJN6thrust23THRUST_200600_302600_NS6detail15normal_iteratorINSC_10device_ptrIKxEEEESI_EEEEESK_NSA_INS5_IJNSE_INSF_IxEEEESM_EEEEEPS7_SP_SP_NSC_11hip_rocprim7__merge17predicate_wrapperIxxNSC_4lessIxEEEEEE10hipError_tPvRmT0_T1_T2_T3_T4_T5_mmT6_P12ihipStream_tbEUlT_E_NS1_11comp_targetILNS1_3genE5ELNS1_11target_archE942ELNS1_3gpuE9ELNS1_3repE0EEENS1_30default_config_static_selectorELNS0_4arch9wavefront6targetE0EEEvS10_ ; -- Begin function _ZN7rocprim17ROCPRIM_400000_NS6detail17trampoline_kernelINS0_14default_configENS1_21merge_config_selectorINS0_5tupleIJxxEEENS0_10empty_typeEEEZNS1_10merge_implIS3_NS0_12zip_iteratorINS5_IJN6thrust23THRUST_200600_302600_NS6detail15normal_iteratorINSC_10device_ptrIKxEEEESI_EEEEESK_NSA_INS5_IJNSE_INSF_IxEEEESM_EEEEEPS7_SP_SP_NSC_11hip_rocprim7__merge17predicate_wrapperIxxNSC_4lessIxEEEEEE10hipError_tPvRmT0_T1_T2_T3_T4_T5_mmT6_P12ihipStream_tbEUlT_E_NS1_11comp_targetILNS1_3genE5ELNS1_11target_archE942ELNS1_3gpuE9ELNS1_3repE0EEENS1_30default_config_static_selectorELNS0_4arch9wavefront6targetE0EEEvS10_
	.globl	_ZN7rocprim17ROCPRIM_400000_NS6detail17trampoline_kernelINS0_14default_configENS1_21merge_config_selectorINS0_5tupleIJxxEEENS0_10empty_typeEEEZNS1_10merge_implIS3_NS0_12zip_iteratorINS5_IJN6thrust23THRUST_200600_302600_NS6detail15normal_iteratorINSC_10device_ptrIKxEEEESI_EEEEESK_NSA_INS5_IJNSE_INSF_IxEEEESM_EEEEEPS7_SP_SP_NSC_11hip_rocprim7__merge17predicate_wrapperIxxNSC_4lessIxEEEEEE10hipError_tPvRmT0_T1_T2_T3_T4_T5_mmT6_P12ihipStream_tbEUlT_E_NS1_11comp_targetILNS1_3genE5ELNS1_11target_archE942ELNS1_3gpuE9ELNS1_3repE0EEENS1_30default_config_static_selectorELNS0_4arch9wavefront6targetE0EEEvS10_
	.p2align	8
	.type	_ZN7rocprim17ROCPRIM_400000_NS6detail17trampoline_kernelINS0_14default_configENS1_21merge_config_selectorINS0_5tupleIJxxEEENS0_10empty_typeEEEZNS1_10merge_implIS3_NS0_12zip_iteratorINS5_IJN6thrust23THRUST_200600_302600_NS6detail15normal_iteratorINSC_10device_ptrIKxEEEESI_EEEEESK_NSA_INS5_IJNSE_INSF_IxEEEESM_EEEEEPS7_SP_SP_NSC_11hip_rocprim7__merge17predicate_wrapperIxxNSC_4lessIxEEEEEE10hipError_tPvRmT0_T1_T2_T3_T4_T5_mmT6_P12ihipStream_tbEUlT_E_NS1_11comp_targetILNS1_3genE5ELNS1_11target_archE942ELNS1_3gpuE9ELNS1_3repE0EEENS1_30default_config_static_selectorELNS0_4arch9wavefront6targetE0EEEvS10_,@function
_ZN7rocprim17ROCPRIM_400000_NS6detail17trampoline_kernelINS0_14default_configENS1_21merge_config_selectorINS0_5tupleIJxxEEENS0_10empty_typeEEEZNS1_10merge_implIS3_NS0_12zip_iteratorINS5_IJN6thrust23THRUST_200600_302600_NS6detail15normal_iteratorINSC_10device_ptrIKxEEEESI_EEEEESK_NSA_INS5_IJNSE_INSF_IxEEEESM_EEEEEPS7_SP_SP_NSC_11hip_rocprim7__merge17predicate_wrapperIxxNSC_4lessIxEEEEEE10hipError_tPvRmT0_T1_T2_T3_T4_T5_mmT6_P12ihipStream_tbEUlT_E_NS1_11comp_targetILNS1_3genE5ELNS1_11target_archE942ELNS1_3gpuE9ELNS1_3repE0EEENS1_30default_config_static_selectorELNS0_4arch9wavefront6targetE0EEEvS10_: ; @_ZN7rocprim17ROCPRIM_400000_NS6detail17trampoline_kernelINS0_14default_configENS1_21merge_config_selectorINS0_5tupleIJxxEEENS0_10empty_typeEEEZNS1_10merge_implIS3_NS0_12zip_iteratorINS5_IJN6thrust23THRUST_200600_302600_NS6detail15normal_iteratorINSC_10device_ptrIKxEEEESI_EEEEESK_NSA_INS5_IJNSE_INSF_IxEEEESM_EEEEEPS7_SP_SP_NSC_11hip_rocprim7__merge17predicate_wrapperIxxNSC_4lessIxEEEEEE10hipError_tPvRmT0_T1_T2_T3_T4_T5_mmT6_P12ihipStream_tbEUlT_E_NS1_11comp_targetILNS1_3genE5ELNS1_11target_archE942ELNS1_3gpuE9ELNS1_3repE0EEENS1_30default_config_static_selectorELNS0_4arch9wavefront6targetE0EEEvS10_
; %bb.0:
	.section	.rodata,"a",@progbits
	.p2align	6, 0x0
	.amdhsa_kernel _ZN7rocprim17ROCPRIM_400000_NS6detail17trampoline_kernelINS0_14default_configENS1_21merge_config_selectorINS0_5tupleIJxxEEENS0_10empty_typeEEEZNS1_10merge_implIS3_NS0_12zip_iteratorINS5_IJN6thrust23THRUST_200600_302600_NS6detail15normal_iteratorINSC_10device_ptrIKxEEEESI_EEEEESK_NSA_INS5_IJNSE_INSF_IxEEEESM_EEEEEPS7_SP_SP_NSC_11hip_rocprim7__merge17predicate_wrapperIxxNSC_4lessIxEEEEEE10hipError_tPvRmT0_T1_T2_T3_T4_T5_mmT6_P12ihipStream_tbEUlT_E_NS1_11comp_targetILNS1_3genE5ELNS1_11target_archE942ELNS1_3gpuE9ELNS1_3repE0EEENS1_30default_config_static_selectorELNS0_4arch9wavefront6targetE0EEEvS10_
		.amdhsa_group_segment_fixed_size 0
		.amdhsa_private_segment_fixed_size 0
		.amdhsa_kernarg_size 64
		.amdhsa_user_sgpr_count 2
		.amdhsa_user_sgpr_dispatch_ptr 0
		.amdhsa_user_sgpr_queue_ptr 0
		.amdhsa_user_sgpr_kernarg_segment_ptr 1
		.amdhsa_user_sgpr_dispatch_id 0
		.amdhsa_user_sgpr_kernarg_preload_length 0
		.amdhsa_user_sgpr_kernarg_preload_offset 0
		.amdhsa_user_sgpr_private_segment_size 0
		.amdhsa_wavefront_size32 1
		.amdhsa_uses_dynamic_stack 0
		.amdhsa_enable_private_segment 0
		.amdhsa_system_sgpr_workgroup_id_x 1
		.amdhsa_system_sgpr_workgroup_id_y 0
		.amdhsa_system_sgpr_workgroup_id_z 0
		.amdhsa_system_sgpr_workgroup_info 0
		.amdhsa_system_vgpr_workitem_id 0
		.amdhsa_next_free_vgpr 1
		.amdhsa_next_free_sgpr 1
		.amdhsa_named_barrier_count 0
		.amdhsa_reserve_vcc 0
		.amdhsa_float_round_mode_32 0
		.amdhsa_float_round_mode_16_64 0
		.amdhsa_float_denorm_mode_32 3
		.amdhsa_float_denorm_mode_16_64 3
		.amdhsa_fp16_overflow 0
		.amdhsa_memory_ordered 1
		.amdhsa_forward_progress 1
		.amdhsa_inst_pref_size 0
		.amdhsa_round_robin_scheduling 0
		.amdhsa_exception_fp_ieee_invalid_op 0
		.amdhsa_exception_fp_denorm_src 0
		.amdhsa_exception_fp_ieee_div_zero 0
		.amdhsa_exception_fp_ieee_overflow 0
		.amdhsa_exception_fp_ieee_underflow 0
		.amdhsa_exception_fp_ieee_inexact 0
		.amdhsa_exception_int_div_zero 0
	.end_amdhsa_kernel
	.section	.text._ZN7rocprim17ROCPRIM_400000_NS6detail17trampoline_kernelINS0_14default_configENS1_21merge_config_selectorINS0_5tupleIJxxEEENS0_10empty_typeEEEZNS1_10merge_implIS3_NS0_12zip_iteratorINS5_IJN6thrust23THRUST_200600_302600_NS6detail15normal_iteratorINSC_10device_ptrIKxEEEESI_EEEEESK_NSA_INS5_IJNSE_INSF_IxEEEESM_EEEEEPS7_SP_SP_NSC_11hip_rocprim7__merge17predicate_wrapperIxxNSC_4lessIxEEEEEE10hipError_tPvRmT0_T1_T2_T3_T4_T5_mmT6_P12ihipStream_tbEUlT_E_NS1_11comp_targetILNS1_3genE5ELNS1_11target_archE942ELNS1_3gpuE9ELNS1_3repE0EEENS1_30default_config_static_selectorELNS0_4arch9wavefront6targetE0EEEvS10_,"axG",@progbits,_ZN7rocprim17ROCPRIM_400000_NS6detail17trampoline_kernelINS0_14default_configENS1_21merge_config_selectorINS0_5tupleIJxxEEENS0_10empty_typeEEEZNS1_10merge_implIS3_NS0_12zip_iteratorINS5_IJN6thrust23THRUST_200600_302600_NS6detail15normal_iteratorINSC_10device_ptrIKxEEEESI_EEEEESK_NSA_INS5_IJNSE_INSF_IxEEEESM_EEEEEPS7_SP_SP_NSC_11hip_rocprim7__merge17predicate_wrapperIxxNSC_4lessIxEEEEEE10hipError_tPvRmT0_T1_T2_T3_T4_T5_mmT6_P12ihipStream_tbEUlT_E_NS1_11comp_targetILNS1_3genE5ELNS1_11target_archE942ELNS1_3gpuE9ELNS1_3repE0EEENS1_30default_config_static_selectorELNS0_4arch9wavefront6targetE0EEEvS10_,comdat
.Lfunc_end208:
	.size	_ZN7rocprim17ROCPRIM_400000_NS6detail17trampoline_kernelINS0_14default_configENS1_21merge_config_selectorINS0_5tupleIJxxEEENS0_10empty_typeEEEZNS1_10merge_implIS3_NS0_12zip_iteratorINS5_IJN6thrust23THRUST_200600_302600_NS6detail15normal_iteratorINSC_10device_ptrIKxEEEESI_EEEEESK_NSA_INS5_IJNSE_INSF_IxEEEESM_EEEEEPS7_SP_SP_NSC_11hip_rocprim7__merge17predicate_wrapperIxxNSC_4lessIxEEEEEE10hipError_tPvRmT0_T1_T2_T3_T4_T5_mmT6_P12ihipStream_tbEUlT_E_NS1_11comp_targetILNS1_3genE5ELNS1_11target_archE942ELNS1_3gpuE9ELNS1_3repE0EEENS1_30default_config_static_selectorELNS0_4arch9wavefront6targetE0EEEvS10_, .Lfunc_end208-_ZN7rocprim17ROCPRIM_400000_NS6detail17trampoline_kernelINS0_14default_configENS1_21merge_config_selectorINS0_5tupleIJxxEEENS0_10empty_typeEEEZNS1_10merge_implIS3_NS0_12zip_iteratorINS5_IJN6thrust23THRUST_200600_302600_NS6detail15normal_iteratorINSC_10device_ptrIKxEEEESI_EEEEESK_NSA_INS5_IJNSE_INSF_IxEEEESM_EEEEEPS7_SP_SP_NSC_11hip_rocprim7__merge17predicate_wrapperIxxNSC_4lessIxEEEEEE10hipError_tPvRmT0_T1_T2_T3_T4_T5_mmT6_P12ihipStream_tbEUlT_E_NS1_11comp_targetILNS1_3genE5ELNS1_11target_archE942ELNS1_3gpuE9ELNS1_3repE0EEENS1_30default_config_static_selectorELNS0_4arch9wavefront6targetE0EEEvS10_
                                        ; -- End function
	.set _ZN7rocprim17ROCPRIM_400000_NS6detail17trampoline_kernelINS0_14default_configENS1_21merge_config_selectorINS0_5tupleIJxxEEENS0_10empty_typeEEEZNS1_10merge_implIS3_NS0_12zip_iteratorINS5_IJN6thrust23THRUST_200600_302600_NS6detail15normal_iteratorINSC_10device_ptrIKxEEEESI_EEEEESK_NSA_INS5_IJNSE_INSF_IxEEEESM_EEEEEPS7_SP_SP_NSC_11hip_rocprim7__merge17predicate_wrapperIxxNSC_4lessIxEEEEEE10hipError_tPvRmT0_T1_T2_T3_T4_T5_mmT6_P12ihipStream_tbEUlT_E_NS1_11comp_targetILNS1_3genE5ELNS1_11target_archE942ELNS1_3gpuE9ELNS1_3repE0EEENS1_30default_config_static_selectorELNS0_4arch9wavefront6targetE0EEEvS10_.num_vgpr, 0
	.set _ZN7rocprim17ROCPRIM_400000_NS6detail17trampoline_kernelINS0_14default_configENS1_21merge_config_selectorINS0_5tupleIJxxEEENS0_10empty_typeEEEZNS1_10merge_implIS3_NS0_12zip_iteratorINS5_IJN6thrust23THRUST_200600_302600_NS6detail15normal_iteratorINSC_10device_ptrIKxEEEESI_EEEEESK_NSA_INS5_IJNSE_INSF_IxEEEESM_EEEEEPS7_SP_SP_NSC_11hip_rocprim7__merge17predicate_wrapperIxxNSC_4lessIxEEEEEE10hipError_tPvRmT0_T1_T2_T3_T4_T5_mmT6_P12ihipStream_tbEUlT_E_NS1_11comp_targetILNS1_3genE5ELNS1_11target_archE942ELNS1_3gpuE9ELNS1_3repE0EEENS1_30default_config_static_selectorELNS0_4arch9wavefront6targetE0EEEvS10_.num_agpr, 0
	.set _ZN7rocprim17ROCPRIM_400000_NS6detail17trampoline_kernelINS0_14default_configENS1_21merge_config_selectorINS0_5tupleIJxxEEENS0_10empty_typeEEEZNS1_10merge_implIS3_NS0_12zip_iteratorINS5_IJN6thrust23THRUST_200600_302600_NS6detail15normal_iteratorINSC_10device_ptrIKxEEEESI_EEEEESK_NSA_INS5_IJNSE_INSF_IxEEEESM_EEEEEPS7_SP_SP_NSC_11hip_rocprim7__merge17predicate_wrapperIxxNSC_4lessIxEEEEEE10hipError_tPvRmT0_T1_T2_T3_T4_T5_mmT6_P12ihipStream_tbEUlT_E_NS1_11comp_targetILNS1_3genE5ELNS1_11target_archE942ELNS1_3gpuE9ELNS1_3repE0EEENS1_30default_config_static_selectorELNS0_4arch9wavefront6targetE0EEEvS10_.numbered_sgpr, 0
	.set _ZN7rocprim17ROCPRIM_400000_NS6detail17trampoline_kernelINS0_14default_configENS1_21merge_config_selectorINS0_5tupleIJxxEEENS0_10empty_typeEEEZNS1_10merge_implIS3_NS0_12zip_iteratorINS5_IJN6thrust23THRUST_200600_302600_NS6detail15normal_iteratorINSC_10device_ptrIKxEEEESI_EEEEESK_NSA_INS5_IJNSE_INSF_IxEEEESM_EEEEEPS7_SP_SP_NSC_11hip_rocprim7__merge17predicate_wrapperIxxNSC_4lessIxEEEEEE10hipError_tPvRmT0_T1_T2_T3_T4_T5_mmT6_P12ihipStream_tbEUlT_E_NS1_11comp_targetILNS1_3genE5ELNS1_11target_archE942ELNS1_3gpuE9ELNS1_3repE0EEENS1_30default_config_static_selectorELNS0_4arch9wavefront6targetE0EEEvS10_.num_named_barrier, 0
	.set _ZN7rocprim17ROCPRIM_400000_NS6detail17trampoline_kernelINS0_14default_configENS1_21merge_config_selectorINS0_5tupleIJxxEEENS0_10empty_typeEEEZNS1_10merge_implIS3_NS0_12zip_iteratorINS5_IJN6thrust23THRUST_200600_302600_NS6detail15normal_iteratorINSC_10device_ptrIKxEEEESI_EEEEESK_NSA_INS5_IJNSE_INSF_IxEEEESM_EEEEEPS7_SP_SP_NSC_11hip_rocprim7__merge17predicate_wrapperIxxNSC_4lessIxEEEEEE10hipError_tPvRmT0_T1_T2_T3_T4_T5_mmT6_P12ihipStream_tbEUlT_E_NS1_11comp_targetILNS1_3genE5ELNS1_11target_archE942ELNS1_3gpuE9ELNS1_3repE0EEENS1_30default_config_static_selectorELNS0_4arch9wavefront6targetE0EEEvS10_.private_seg_size, 0
	.set _ZN7rocprim17ROCPRIM_400000_NS6detail17trampoline_kernelINS0_14default_configENS1_21merge_config_selectorINS0_5tupleIJxxEEENS0_10empty_typeEEEZNS1_10merge_implIS3_NS0_12zip_iteratorINS5_IJN6thrust23THRUST_200600_302600_NS6detail15normal_iteratorINSC_10device_ptrIKxEEEESI_EEEEESK_NSA_INS5_IJNSE_INSF_IxEEEESM_EEEEEPS7_SP_SP_NSC_11hip_rocprim7__merge17predicate_wrapperIxxNSC_4lessIxEEEEEE10hipError_tPvRmT0_T1_T2_T3_T4_T5_mmT6_P12ihipStream_tbEUlT_E_NS1_11comp_targetILNS1_3genE5ELNS1_11target_archE942ELNS1_3gpuE9ELNS1_3repE0EEENS1_30default_config_static_selectorELNS0_4arch9wavefront6targetE0EEEvS10_.uses_vcc, 0
	.set _ZN7rocprim17ROCPRIM_400000_NS6detail17trampoline_kernelINS0_14default_configENS1_21merge_config_selectorINS0_5tupleIJxxEEENS0_10empty_typeEEEZNS1_10merge_implIS3_NS0_12zip_iteratorINS5_IJN6thrust23THRUST_200600_302600_NS6detail15normal_iteratorINSC_10device_ptrIKxEEEESI_EEEEESK_NSA_INS5_IJNSE_INSF_IxEEEESM_EEEEEPS7_SP_SP_NSC_11hip_rocprim7__merge17predicate_wrapperIxxNSC_4lessIxEEEEEE10hipError_tPvRmT0_T1_T2_T3_T4_T5_mmT6_P12ihipStream_tbEUlT_E_NS1_11comp_targetILNS1_3genE5ELNS1_11target_archE942ELNS1_3gpuE9ELNS1_3repE0EEENS1_30default_config_static_selectorELNS0_4arch9wavefront6targetE0EEEvS10_.uses_flat_scratch, 0
	.set _ZN7rocprim17ROCPRIM_400000_NS6detail17trampoline_kernelINS0_14default_configENS1_21merge_config_selectorINS0_5tupleIJxxEEENS0_10empty_typeEEEZNS1_10merge_implIS3_NS0_12zip_iteratorINS5_IJN6thrust23THRUST_200600_302600_NS6detail15normal_iteratorINSC_10device_ptrIKxEEEESI_EEEEESK_NSA_INS5_IJNSE_INSF_IxEEEESM_EEEEEPS7_SP_SP_NSC_11hip_rocprim7__merge17predicate_wrapperIxxNSC_4lessIxEEEEEE10hipError_tPvRmT0_T1_T2_T3_T4_T5_mmT6_P12ihipStream_tbEUlT_E_NS1_11comp_targetILNS1_3genE5ELNS1_11target_archE942ELNS1_3gpuE9ELNS1_3repE0EEENS1_30default_config_static_selectorELNS0_4arch9wavefront6targetE0EEEvS10_.has_dyn_sized_stack, 0
	.set _ZN7rocprim17ROCPRIM_400000_NS6detail17trampoline_kernelINS0_14default_configENS1_21merge_config_selectorINS0_5tupleIJxxEEENS0_10empty_typeEEEZNS1_10merge_implIS3_NS0_12zip_iteratorINS5_IJN6thrust23THRUST_200600_302600_NS6detail15normal_iteratorINSC_10device_ptrIKxEEEESI_EEEEESK_NSA_INS5_IJNSE_INSF_IxEEEESM_EEEEEPS7_SP_SP_NSC_11hip_rocprim7__merge17predicate_wrapperIxxNSC_4lessIxEEEEEE10hipError_tPvRmT0_T1_T2_T3_T4_T5_mmT6_P12ihipStream_tbEUlT_E_NS1_11comp_targetILNS1_3genE5ELNS1_11target_archE942ELNS1_3gpuE9ELNS1_3repE0EEENS1_30default_config_static_selectorELNS0_4arch9wavefront6targetE0EEEvS10_.has_recursion, 0
	.set _ZN7rocprim17ROCPRIM_400000_NS6detail17trampoline_kernelINS0_14default_configENS1_21merge_config_selectorINS0_5tupleIJxxEEENS0_10empty_typeEEEZNS1_10merge_implIS3_NS0_12zip_iteratorINS5_IJN6thrust23THRUST_200600_302600_NS6detail15normal_iteratorINSC_10device_ptrIKxEEEESI_EEEEESK_NSA_INS5_IJNSE_INSF_IxEEEESM_EEEEEPS7_SP_SP_NSC_11hip_rocprim7__merge17predicate_wrapperIxxNSC_4lessIxEEEEEE10hipError_tPvRmT0_T1_T2_T3_T4_T5_mmT6_P12ihipStream_tbEUlT_E_NS1_11comp_targetILNS1_3genE5ELNS1_11target_archE942ELNS1_3gpuE9ELNS1_3repE0EEENS1_30default_config_static_selectorELNS0_4arch9wavefront6targetE0EEEvS10_.has_indirect_call, 0
	.section	.AMDGPU.csdata,"",@progbits
; Kernel info:
; codeLenInByte = 0
; TotalNumSgprs: 0
; NumVgprs: 0
; ScratchSize: 0
; MemoryBound: 0
; FloatMode: 240
; IeeeMode: 1
; LDSByteSize: 0 bytes/workgroup (compile time only)
; SGPRBlocks: 0
; VGPRBlocks: 0
; NumSGPRsForWavesPerEU: 1
; NumVGPRsForWavesPerEU: 1
; NamedBarCnt: 0
; Occupancy: 16
; WaveLimiterHint : 0
; COMPUTE_PGM_RSRC2:SCRATCH_EN: 0
; COMPUTE_PGM_RSRC2:USER_SGPR: 2
; COMPUTE_PGM_RSRC2:TRAP_HANDLER: 0
; COMPUTE_PGM_RSRC2:TGID_X_EN: 1
; COMPUTE_PGM_RSRC2:TGID_Y_EN: 0
; COMPUTE_PGM_RSRC2:TGID_Z_EN: 0
; COMPUTE_PGM_RSRC2:TIDIG_COMP_CNT: 0
	.section	.text._ZN7rocprim17ROCPRIM_400000_NS6detail17trampoline_kernelINS0_14default_configENS1_21merge_config_selectorINS0_5tupleIJxxEEENS0_10empty_typeEEEZNS1_10merge_implIS3_NS0_12zip_iteratorINS5_IJN6thrust23THRUST_200600_302600_NS6detail15normal_iteratorINSC_10device_ptrIKxEEEESI_EEEEESK_NSA_INS5_IJNSE_INSF_IxEEEESM_EEEEEPS7_SP_SP_NSC_11hip_rocprim7__merge17predicate_wrapperIxxNSC_4lessIxEEEEEE10hipError_tPvRmT0_T1_T2_T3_T4_T5_mmT6_P12ihipStream_tbEUlT_E_NS1_11comp_targetILNS1_3genE4ELNS1_11target_archE910ELNS1_3gpuE8ELNS1_3repE0EEENS1_30default_config_static_selectorELNS0_4arch9wavefront6targetE0EEEvS10_,"axG",@progbits,_ZN7rocprim17ROCPRIM_400000_NS6detail17trampoline_kernelINS0_14default_configENS1_21merge_config_selectorINS0_5tupleIJxxEEENS0_10empty_typeEEEZNS1_10merge_implIS3_NS0_12zip_iteratorINS5_IJN6thrust23THRUST_200600_302600_NS6detail15normal_iteratorINSC_10device_ptrIKxEEEESI_EEEEESK_NSA_INS5_IJNSE_INSF_IxEEEESM_EEEEEPS7_SP_SP_NSC_11hip_rocprim7__merge17predicate_wrapperIxxNSC_4lessIxEEEEEE10hipError_tPvRmT0_T1_T2_T3_T4_T5_mmT6_P12ihipStream_tbEUlT_E_NS1_11comp_targetILNS1_3genE4ELNS1_11target_archE910ELNS1_3gpuE8ELNS1_3repE0EEENS1_30default_config_static_selectorELNS0_4arch9wavefront6targetE0EEEvS10_,comdat
	.protected	_ZN7rocprim17ROCPRIM_400000_NS6detail17trampoline_kernelINS0_14default_configENS1_21merge_config_selectorINS0_5tupleIJxxEEENS0_10empty_typeEEEZNS1_10merge_implIS3_NS0_12zip_iteratorINS5_IJN6thrust23THRUST_200600_302600_NS6detail15normal_iteratorINSC_10device_ptrIKxEEEESI_EEEEESK_NSA_INS5_IJNSE_INSF_IxEEEESM_EEEEEPS7_SP_SP_NSC_11hip_rocprim7__merge17predicate_wrapperIxxNSC_4lessIxEEEEEE10hipError_tPvRmT0_T1_T2_T3_T4_T5_mmT6_P12ihipStream_tbEUlT_E_NS1_11comp_targetILNS1_3genE4ELNS1_11target_archE910ELNS1_3gpuE8ELNS1_3repE0EEENS1_30default_config_static_selectorELNS0_4arch9wavefront6targetE0EEEvS10_ ; -- Begin function _ZN7rocprim17ROCPRIM_400000_NS6detail17trampoline_kernelINS0_14default_configENS1_21merge_config_selectorINS0_5tupleIJxxEEENS0_10empty_typeEEEZNS1_10merge_implIS3_NS0_12zip_iteratorINS5_IJN6thrust23THRUST_200600_302600_NS6detail15normal_iteratorINSC_10device_ptrIKxEEEESI_EEEEESK_NSA_INS5_IJNSE_INSF_IxEEEESM_EEEEEPS7_SP_SP_NSC_11hip_rocprim7__merge17predicate_wrapperIxxNSC_4lessIxEEEEEE10hipError_tPvRmT0_T1_T2_T3_T4_T5_mmT6_P12ihipStream_tbEUlT_E_NS1_11comp_targetILNS1_3genE4ELNS1_11target_archE910ELNS1_3gpuE8ELNS1_3repE0EEENS1_30default_config_static_selectorELNS0_4arch9wavefront6targetE0EEEvS10_
	.globl	_ZN7rocprim17ROCPRIM_400000_NS6detail17trampoline_kernelINS0_14default_configENS1_21merge_config_selectorINS0_5tupleIJxxEEENS0_10empty_typeEEEZNS1_10merge_implIS3_NS0_12zip_iteratorINS5_IJN6thrust23THRUST_200600_302600_NS6detail15normal_iteratorINSC_10device_ptrIKxEEEESI_EEEEESK_NSA_INS5_IJNSE_INSF_IxEEEESM_EEEEEPS7_SP_SP_NSC_11hip_rocprim7__merge17predicate_wrapperIxxNSC_4lessIxEEEEEE10hipError_tPvRmT0_T1_T2_T3_T4_T5_mmT6_P12ihipStream_tbEUlT_E_NS1_11comp_targetILNS1_3genE4ELNS1_11target_archE910ELNS1_3gpuE8ELNS1_3repE0EEENS1_30default_config_static_selectorELNS0_4arch9wavefront6targetE0EEEvS10_
	.p2align	8
	.type	_ZN7rocprim17ROCPRIM_400000_NS6detail17trampoline_kernelINS0_14default_configENS1_21merge_config_selectorINS0_5tupleIJxxEEENS0_10empty_typeEEEZNS1_10merge_implIS3_NS0_12zip_iteratorINS5_IJN6thrust23THRUST_200600_302600_NS6detail15normal_iteratorINSC_10device_ptrIKxEEEESI_EEEEESK_NSA_INS5_IJNSE_INSF_IxEEEESM_EEEEEPS7_SP_SP_NSC_11hip_rocprim7__merge17predicate_wrapperIxxNSC_4lessIxEEEEEE10hipError_tPvRmT0_T1_T2_T3_T4_T5_mmT6_P12ihipStream_tbEUlT_E_NS1_11comp_targetILNS1_3genE4ELNS1_11target_archE910ELNS1_3gpuE8ELNS1_3repE0EEENS1_30default_config_static_selectorELNS0_4arch9wavefront6targetE0EEEvS10_,@function
_ZN7rocprim17ROCPRIM_400000_NS6detail17trampoline_kernelINS0_14default_configENS1_21merge_config_selectorINS0_5tupleIJxxEEENS0_10empty_typeEEEZNS1_10merge_implIS3_NS0_12zip_iteratorINS5_IJN6thrust23THRUST_200600_302600_NS6detail15normal_iteratorINSC_10device_ptrIKxEEEESI_EEEEESK_NSA_INS5_IJNSE_INSF_IxEEEESM_EEEEEPS7_SP_SP_NSC_11hip_rocprim7__merge17predicate_wrapperIxxNSC_4lessIxEEEEEE10hipError_tPvRmT0_T1_T2_T3_T4_T5_mmT6_P12ihipStream_tbEUlT_E_NS1_11comp_targetILNS1_3genE4ELNS1_11target_archE910ELNS1_3gpuE8ELNS1_3repE0EEENS1_30default_config_static_selectorELNS0_4arch9wavefront6targetE0EEEvS10_: ; @_ZN7rocprim17ROCPRIM_400000_NS6detail17trampoline_kernelINS0_14default_configENS1_21merge_config_selectorINS0_5tupleIJxxEEENS0_10empty_typeEEEZNS1_10merge_implIS3_NS0_12zip_iteratorINS5_IJN6thrust23THRUST_200600_302600_NS6detail15normal_iteratorINSC_10device_ptrIKxEEEESI_EEEEESK_NSA_INS5_IJNSE_INSF_IxEEEESM_EEEEEPS7_SP_SP_NSC_11hip_rocprim7__merge17predicate_wrapperIxxNSC_4lessIxEEEEEE10hipError_tPvRmT0_T1_T2_T3_T4_T5_mmT6_P12ihipStream_tbEUlT_E_NS1_11comp_targetILNS1_3genE4ELNS1_11target_archE910ELNS1_3gpuE8ELNS1_3repE0EEENS1_30default_config_static_selectorELNS0_4arch9wavefront6targetE0EEEvS10_
; %bb.0:
	.section	.rodata,"a",@progbits
	.p2align	6, 0x0
	.amdhsa_kernel _ZN7rocprim17ROCPRIM_400000_NS6detail17trampoline_kernelINS0_14default_configENS1_21merge_config_selectorINS0_5tupleIJxxEEENS0_10empty_typeEEEZNS1_10merge_implIS3_NS0_12zip_iteratorINS5_IJN6thrust23THRUST_200600_302600_NS6detail15normal_iteratorINSC_10device_ptrIKxEEEESI_EEEEESK_NSA_INS5_IJNSE_INSF_IxEEEESM_EEEEEPS7_SP_SP_NSC_11hip_rocprim7__merge17predicate_wrapperIxxNSC_4lessIxEEEEEE10hipError_tPvRmT0_T1_T2_T3_T4_T5_mmT6_P12ihipStream_tbEUlT_E_NS1_11comp_targetILNS1_3genE4ELNS1_11target_archE910ELNS1_3gpuE8ELNS1_3repE0EEENS1_30default_config_static_selectorELNS0_4arch9wavefront6targetE0EEEvS10_
		.amdhsa_group_segment_fixed_size 0
		.amdhsa_private_segment_fixed_size 0
		.amdhsa_kernarg_size 64
		.amdhsa_user_sgpr_count 2
		.amdhsa_user_sgpr_dispatch_ptr 0
		.amdhsa_user_sgpr_queue_ptr 0
		.amdhsa_user_sgpr_kernarg_segment_ptr 1
		.amdhsa_user_sgpr_dispatch_id 0
		.amdhsa_user_sgpr_kernarg_preload_length 0
		.amdhsa_user_sgpr_kernarg_preload_offset 0
		.amdhsa_user_sgpr_private_segment_size 0
		.amdhsa_wavefront_size32 1
		.amdhsa_uses_dynamic_stack 0
		.amdhsa_enable_private_segment 0
		.amdhsa_system_sgpr_workgroup_id_x 1
		.amdhsa_system_sgpr_workgroup_id_y 0
		.amdhsa_system_sgpr_workgroup_id_z 0
		.amdhsa_system_sgpr_workgroup_info 0
		.amdhsa_system_vgpr_workitem_id 0
		.amdhsa_next_free_vgpr 1
		.amdhsa_next_free_sgpr 1
		.amdhsa_named_barrier_count 0
		.amdhsa_reserve_vcc 0
		.amdhsa_float_round_mode_32 0
		.amdhsa_float_round_mode_16_64 0
		.amdhsa_float_denorm_mode_32 3
		.amdhsa_float_denorm_mode_16_64 3
		.amdhsa_fp16_overflow 0
		.amdhsa_memory_ordered 1
		.amdhsa_forward_progress 1
		.amdhsa_inst_pref_size 0
		.amdhsa_round_robin_scheduling 0
		.amdhsa_exception_fp_ieee_invalid_op 0
		.amdhsa_exception_fp_denorm_src 0
		.amdhsa_exception_fp_ieee_div_zero 0
		.amdhsa_exception_fp_ieee_overflow 0
		.amdhsa_exception_fp_ieee_underflow 0
		.amdhsa_exception_fp_ieee_inexact 0
		.amdhsa_exception_int_div_zero 0
	.end_amdhsa_kernel
	.section	.text._ZN7rocprim17ROCPRIM_400000_NS6detail17trampoline_kernelINS0_14default_configENS1_21merge_config_selectorINS0_5tupleIJxxEEENS0_10empty_typeEEEZNS1_10merge_implIS3_NS0_12zip_iteratorINS5_IJN6thrust23THRUST_200600_302600_NS6detail15normal_iteratorINSC_10device_ptrIKxEEEESI_EEEEESK_NSA_INS5_IJNSE_INSF_IxEEEESM_EEEEEPS7_SP_SP_NSC_11hip_rocprim7__merge17predicate_wrapperIxxNSC_4lessIxEEEEEE10hipError_tPvRmT0_T1_T2_T3_T4_T5_mmT6_P12ihipStream_tbEUlT_E_NS1_11comp_targetILNS1_3genE4ELNS1_11target_archE910ELNS1_3gpuE8ELNS1_3repE0EEENS1_30default_config_static_selectorELNS0_4arch9wavefront6targetE0EEEvS10_,"axG",@progbits,_ZN7rocprim17ROCPRIM_400000_NS6detail17trampoline_kernelINS0_14default_configENS1_21merge_config_selectorINS0_5tupleIJxxEEENS0_10empty_typeEEEZNS1_10merge_implIS3_NS0_12zip_iteratorINS5_IJN6thrust23THRUST_200600_302600_NS6detail15normal_iteratorINSC_10device_ptrIKxEEEESI_EEEEESK_NSA_INS5_IJNSE_INSF_IxEEEESM_EEEEEPS7_SP_SP_NSC_11hip_rocprim7__merge17predicate_wrapperIxxNSC_4lessIxEEEEEE10hipError_tPvRmT0_T1_T2_T3_T4_T5_mmT6_P12ihipStream_tbEUlT_E_NS1_11comp_targetILNS1_3genE4ELNS1_11target_archE910ELNS1_3gpuE8ELNS1_3repE0EEENS1_30default_config_static_selectorELNS0_4arch9wavefront6targetE0EEEvS10_,comdat
.Lfunc_end209:
	.size	_ZN7rocprim17ROCPRIM_400000_NS6detail17trampoline_kernelINS0_14default_configENS1_21merge_config_selectorINS0_5tupleIJxxEEENS0_10empty_typeEEEZNS1_10merge_implIS3_NS0_12zip_iteratorINS5_IJN6thrust23THRUST_200600_302600_NS6detail15normal_iteratorINSC_10device_ptrIKxEEEESI_EEEEESK_NSA_INS5_IJNSE_INSF_IxEEEESM_EEEEEPS7_SP_SP_NSC_11hip_rocprim7__merge17predicate_wrapperIxxNSC_4lessIxEEEEEE10hipError_tPvRmT0_T1_T2_T3_T4_T5_mmT6_P12ihipStream_tbEUlT_E_NS1_11comp_targetILNS1_3genE4ELNS1_11target_archE910ELNS1_3gpuE8ELNS1_3repE0EEENS1_30default_config_static_selectorELNS0_4arch9wavefront6targetE0EEEvS10_, .Lfunc_end209-_ZN7rocprim17ROCPRIM_400000_NS6detail17trampoline_kernelINS0_14default_configENS1_21merge_config_selectorINS0_5tupleIJxxEEENS0_10empty_typeEEEZNS1_10merge_implIS3_NS0_12zip_iteratorINS5_IJN6thrust23THRUST_200600_302600_NS6detail15normal_iteratorINSC_10device_ptrIKxEEEESI_EEEEESK_NSA_INS5_IJNSE_INSF_IxEEEESM_EEEEEPS7_SP_SP_NSC_11hip_rocprim7__merge17predicate_wrapperIxxNSC_4lessIxEEEEEE10hipError_tPvRmT0_T1_T2_T3_T4_T5_mmT6_P12ihipStream_tbEUlT_E_NS1_11comp_targetILNS1_3genE4ELNS1_11target_archE910ELNS1_3gpuE8ELNS1_3repE0EEENS1_30default_config_static_selectorELNS0_4arch9wavefront6targetE0EEEvS10_
                                        ; -- End function
	.set _ZN7rocprim17ROCPRIM_400000_NS6detail17trampoline_kernelINS0_14default_configENS1_21merge_config_selectorINS0_5tupleIJxxEEENS0_10empty_typeEEEZNS1_10merge_implIS3_NS0_12zip_iteratorINS5_IJN6thrust23THRUST_200600_302600_NS6detail15normal_iteratorINSC_10device_ptrIKxEEEESI_EEEEESK_NSA_INS5_IJNSE_INSF_IxEEEESM_EEEEEPS7_SP_SP_NSC_11hip_rocprim7__merge17predicate_wrapperIxxNSC_4lessIxEEEEEE10hipError_tPvRmT0_T1_T2_T3_T4_T5_mmT6_P12ihipStream_tbEUlT_E_NS1_11comp_targetILNS1_3genE4ELNS1_11target_archE910ELNS1_3gpuE8ELNS1_3repE0EEENS1_30default_config_static_selectorELNS0_4arch9wavefront6targetE0EEEvS10_.num_vgpr, 0
	.set _ZN7rocprim17ROCPRIM_400000_NS6detail17trampoline_kernelINS0_14default_configENS1_21merge_config_selectorINS0_5tupleIJxxEEENS0_10empty_typeEEEZNS1_10merge_implIS3_NS0_12zip_iteratorINS5_IJN6thrust23THRUST_200600_302600_NS6detail15normal_iteratorINSC_10device_ptrIKxEEEESI_EEEEESK_NSA_INS5_IJNSE_INSF_IxEEEESM_EEEEEPS7_SP_SP_NSC_11hip_rocprim7__merge17predicate_wrapperIxxNSC_4lessIxEEEEEE10hipError_tPvRmT0_T1_T2_T3_T4_T5_mmT6_P12ihipStream_tbEUlT_E_NS1_11comp_targetILNS1_3genE4ELNS1_11target_archE910ELNS1_3gpuE8ELNS1_3repE0EEENS1_30default_config_static_selectorELNS0_4arch9wavefront6targetE0EEEvS10_.num_agpr, 0
	.set _ZN7rocprim17ROCPRIM_400000_NS6detail17trampoline_kernelINS0_14default_configENS1_21merge_config_selectorINS0_5tupleIJxxEEENS0_10empty_typeEEEZNS1_10merge_implIS3_NS0_12zip_iteratorINS5_IJN6thrust23THRUST_200600_302600_NS6detail15normal_iteratorINSC_10device_ptrIKxEEEESI_EEEEESK_NSA_INS5_IJNSE_INSF_IxEEEESM_EEEEEPS7_SP_SP_NSC_11hip_rocprim7__merge17predicate_wrapperIxxNSC_4lessIxEEEEEE10hipError_tPvRmT0_T1_T2_T3_T4_T5_mmT6_P12ihipStream_tbEUlT_E_NS1_11comp_targetILNS1_3genE4ELNS1_11target_archE910ELNS1_3gpuE8ELNS1_3repE0EEENS1_30default_config_static_selectorELNS0_4arch9wavefront6targetE0EEEvS10_.numbered_sgpr, 0
	.set _ZN7rocprim17ROCPRIM_400000_NS6detail17trampoline_kernelINS0_14default_configENS1_21merge_config_selectorINS0_5tupleIJxxEEENS0_10empty_typeEEEZNS1_10merge_implIS3_NS0_12zip_iteratorINS5_IJN6thrust23THRUST_200600_302600_NS6detail15normal_iteratorINSC_10device_ptrIKxEEEESI_EEEEESK_NSA_INS5_IJNSE_INSF_IxEEEESM_EEEEEPS7_SP_SP_NSC_11hip_rocprim7__merge17predicate_wrapperIxxNSC_4lessIxEEEEEE10hipError_tPvRmT0_T1_T2_T3_T4_T5_mmT6_P12ihipStream_tbEUlT_E_NS1_11comp_targetILNS1_3genE4ELNS1_11target_archE910ELNS1_3gpuE8ELNS1_3repE0EEENS1_30default_config_static_selectorELNS0_4arch9wavefront6targetE0EEEvS10_.num_named_barrier, 0
	.set _ZN7rocprim17ROCPRIM_400000_NS6detail17trampoline_kernelINS0_14default_configENS1_21merge_config_selectorINS0_5tupleIJxxEEENS0_10empty_typeEEEZNS1_10merge_implIS3_NS0_12zip_iteratorINS5_IJN6thrust23THRUST_200600_302600_NS6detail15normal_iteratorINSC_10device_ptrIKxEEEESI_EEEEESK_NSA_INS5_IJNSE_INSF_IxEEEESM_EEEEEPS7_SP_SP_NSC_11hip_rocprim7__merge17predicate_wrapperIxxNSC_4lessIxEEEEEE10hipError_tPvRmT0_T1_T2_T3_T4_T5_mmT6_P12ihipStream_tbEUlT_E_NS1_11comp_targetILNS1_3genE4ELNS1_11target_archE910ELNS1_3gpuE8ELNS1_3repE0EEENS1_30default_config_static_selectorELNS0_4arch9wavefront6targetE0EEEvS10_.private_seg_size, 0
	.set _ZN7rocprim17ROCPRIM_400000_NS6detail17trampoline_kernelINS0_14default_configENS1_21merge_config_selectorINS0_5tupleIJxxEEENS0_10empty_typeEEEZNS1_10merge_implIS3_NS0_12zip_iteratorINS5_IJN6thrust23THRUST_200600_302600_NS6detail15normal_iteratorINSC_10device_ptrIKxEEEESI_EEEEESK_NSA_INS5_IJNSE_INSF_IxEEEESM_EEEEEPS7_SP_SP_NSC_11hip_rocprim7__merge17predicate_wrapperIxxNSC_4lessIxEEEEEE10hipError_tPvRmT0_T1_T2_T3_T4_T5_mmT6_P12ihipStream_tbEUlT_E_NS1_11comp_targetILNS1_3genE4ELNS1_11target_archE910ELNS1_3gpuE8ELNS1_3repE0EEENS1_30default_config_static_selectorELNS0_4arch9wavefront6targetE0EEEvS10_.uses_vcc, 0
	.set _ZN7rocprim17ROCPRIM_400000_NS6detail17trampoline_kernelINS0_14default_configENS1_21merge_config_selectorINS0_5tupleIJxxEEENS0_10empty_typeEEEZNS1_10merge_implIS3_NS0_12zip_iteratorINS5_IJN6thrust23THRUST_200600_302600_NS6detail15normal_iteratorINSC_10device_ptrIKxEEEESI_EEEEESK_NSA_INS5_IJNSE_INSF_IxEEEESM_EEEEEPS7_SP_SP_NSC_11hip_rocprim7__merge17predicate_wrapperIxxNSC_4lessIxEEEEEE10hipError_tPvRmT0_T1_T2_T3_T4_T5_mmT6_P12ihipStream_tbEUlT_E_NS1_11comp_targetILNS1_3genE4ELNS1_11target_archE910ELNS1_3gpuE8ELNS1_3repE0EEENS1_30default_config_static_selectorELNS0_4arch9wavefront6targetE0EEEvS10_.uses_flat_scratch, 0
	.set _ZN7rocprim17ROCPRIM_400000_NS6detail17trampoline_kernelINS0_14default_configENS1_21merge_config_selectorINS0_5tupleIJxxEEENS0_10empty_typeEEEZNS1_10merge_implIS3_NS0_12zip_iteratorINS5_IJN6thrust23THRUST_200600_302600_NS6detail15normal_iteratorINSC_10device_ptrIKxEEEESI_EEEEESK_NSA_INS5_IJNSE_INSF_IxEEEESM_EEEEEPS7_SP_SP_NSC_11hip_rocprim7__merge17predicate_wrapperIxxNSC_4lessIxEEEEEE10hipError_tPvRmT0_T1_T2_T3_T4_T5_mmT6_P12ihipStream_tbEUlT_E_NS1_11comp_targetILNS1_3genE4ELNS1_11target_archE910ELNS1_3gpuE8ELNS1_3repE0EEENS1_30default_config_static_selectorELNS0_4arch9wavefront6targetE0EEEvS10_.has_dyn_sized_stack, 0
	.set _ZN7rocprim17ROCPRIM_400000_NS6detail17trampoline_kernelINS0_14default_configENS1_21merge_config_selectorINS0_5tupleIJxxEEENS0_10empty_typeEEEZNS1_10merge_implIS3_NS0_12zip_iteratorINS5_IJN6thrust23THRUST_200600_302600_NS6detail15normal_iteratorINSC_10device_ptrIKxEEEESI_EEEEESK_NSA_INS5_IJNSE_INSF_IxEEEESM_EEEEEPS7_SP_SP_NSC_11hip_rocprim7__merge17predicate_wrapperIxxNSC_4lessIxEEEEEE10hipError_tPvRmT0_T1_T2_T3_T4_T5_mmT6_P12ihipStream_tbEUlT_E_NS1_11comp_targetILNS1_3genE4ELNS1_11target_archE910ELNS1_3gpuE8ELNS1_3repE0EEENS1_30default_config_static_selectorELNS0_4arch9wavefront6targetE0EEEvS10_.has_recursion, 0
	.set _ZN7rocprim17ROCPRIM_400000_NS6detail17trampoline_kernelINS0_14default_configENS1_21merge_config_selectorINS0_5tupleIJxxEEENS0_10empty_typeEEEZNS1_10merge_implIS3_NS0_12zip_iteratorINS5_IJN6thrust23THRUST_200600_302600_NS6detail15normal_iteratorINSC_10device_ptrIKxEEEESI_EEEEESK_NSA_INS5_IJNSE_INSF_IxEEEESM_EEEEEPS7_SP_SP_NSC_11hip_rocprim7__merge17predicate_wrapperIxxNSC_4lessIxEEEEEE10hipError_tPvRmT0_T1_T2_T3_T4_T5_mmT6_P12ihipStream_tbEUlT_E_NS1_11comp_targetILNS1_3genE4ELNS1_11target_archE910ELNS1_3gpuE8ELNS1_3repE0EEENS1_30default_config_static_selectorELNS0_4arch9wavefront6targetE0EEEvS10_.has_indirect_call, 0
	.section	.AMDGPU.csdata,"",@progbits
; Kernel info:
; codeLenInByte = 0
; TotalNumSgprs: 0
; NumVgprs: 0
; ScratchSize: 0
; MemoryBound: 0
; FloatMode: 240
; IeeeMode: 1
; LDSByteSize: 0 bytes/workgroup (compile time only)
; SGPRBlocks: 0
; VGPRBlocks: 0
; NumSGPRsForWavesPerEU: 1
; NumVGPRsForWavesPerEU: 1
; NamedBarCnt: 0
; Occupancy: 16
; WaveLimiterHint : 0
; COMPUTE_PGM_RSRC2:SCRATCH_EN: 0
; COMPUTE_PGM_RSRC2:USER_SGPR: 2
; COMPUTE_PGM_RSRC2:TRAP_HANDLER: 0
; COMPUTE_PGM_RSRC2:TGID_X_EN: 1
; COMPUTE_PGM_RSRC2:TGID_Y_EN: 0
; COMPUTE_PGM_RSRC2:TGID_Z_EN: 0
; COMPUTE_PGM_RSRC2:TIDIG_COMP_CNT: 0
	.section	.text._ZN7rocprim17ROCPRIM_400000_NS6detail17trampoline_kernelINS0_14default_configENS1_21merge_config_selectorINS0_5tupleIJxxEEENS0_10empty_typeEEEZNS1_10merge_implIS3_NS0_12zip_iteratorINS5_IJN6thrust23THRUST_200600_302600_NS6detail15normal_iteratorINSC_10device_ptrIKxEEEESI_EEEEESK_NSA_INS5_IJNSE_INSF_IxEEEESM_EEEEEPS7_SP_SP_NSC_11hip_rocprim7__merge17predicate_wrapperIxxNSC_4lessIxEEEEEE10hipError_tPvRmT0_T1_T2_T3_T4_T5_mmT6_P12ihipStream_tbEUlT_E_NS1_11comp_targetILNS1_3genE3ELNS1_11target_archE908ELNS1_3gpuE7ELNS1_3repE0EEENS1_30default_config_static_selectorELNS0_4arch9wavefront6targetE0EEEvS10_,"axG",@progbits,_ZN7rocprim17ROCPRIM_400000_NS6detail17trampoline_kernelINS0_14default_configENS1_21merge_config_selectorINS0_5tupleIJxxEEENS0_10empty_typeEEEZNS1_10merge_implIS3_NS0_12zip_iteratorINS5_IJN6thrust23THRUST_200600_302600_NS6detail15normal_iteratorINSC_10device_ptrIKxEEEESI_EEEEESK_NSA_INS5_IJNSE_INSF_IxEEEESM_EEEEEPS7_SP_SP_NSC_11hip_rocprim7__merge17predicate_wrapperIxxNSC_4lessIxEEEEEE10hipError_tPvRmT0_T1_T2_T3_T4_T5_mmT6_P12ihipStream_tbEUlT_E_NS1_11comp_targetILNS1_3genE3ELNS1_11target_archE908ELNS1_3gpuE7ELNS1_3repE0EEENS1_30default_config_static_selectorELNS0_4arch9wavefront6targetE0EEEvS10_,comdat
	.protected	_ZN7rocprim17ROCPRIM_400000_NS6detail17trampoline_kernelINS0_14default_configENS1_21merge_config_selectorINS0_5tupleIJxxEEENS0_10empty_typeEEEZNS1_10merge_implIS3_NS0_12zip_iteratorINS5_IJN6thrust23THRUST_200600_302600_NS6detail15normal_iteratorINSC_10device_ptrIKxEEEESI_EEEEESK_NSA_INS5_IJNSE_INSF_IxEEEESM_EEEEEPS7_SP_SP_NSC_11hip_rocprim7__merge17predicate_wrapperIxxNSC_4lessIxEEEEEE10hipError_tPvRmT0_T1_T2_T3_T4_T5_mmT6_P12ihipStream_tbEUlT_E_NS1_11comp_targetILNS1_3genE3ELNS1_11target_archE908ELNS1_3gpuE7ELNS1_3repE0EEENS1_30default_config_static_selectorELNS0_4arch9wavefront6targetE0EEEvS10_ ; -- Begin function _ZN7rocprim17ROCPRIM_400000_NS6detail17trampoline_kernelINS0_14default_configENS1_21merge_config_selectorINS0_5tupleIJxxEEENS0_10empty_typeEEEZNS1_10merge_implIS3_NS0_12zip_iteratorINS5_IJN6thrust23THRUST_200600_302600_NS6detail15normal_iteratorINSC_10device_ptrIKxEEEESI_EEEEESK_NSA_INS5_IJNSE_INSF_IxEEEESM_EEEEEPS7_SP_SP_NSC_11hip_rocprim7__merge17predicate_wrapperIxxNSC_4lessIxEEEEEE10hipError_tPvRmT0_T1_T2_T3_T4_T5_mmT6_P12ihipStream_tbEUlT_E_NS1_11comp_targetILNS1_3genE3ELNS1_11target_archE908ELNS1_3gpuE7ELNS1_3repE0EEENS1_30default_config_static_selectorELNS0_4arch9wavefront6targetE0EEEvS10_
	.globl	_ZN7rocprim17ROCPRIM_400000_NS6detail17trampoline_kernelINS0_14default_configENS1_21merge_config_selectorINS0_5tupleIJxxEEENS0_10empty_typeEEEZNS1_10merge_implIS3_NS0_12zip_iteratorINS5_IJN6thrust23THRUST_200600_302600_NS6detail15normal_iteratorINSC_10device_ptrIKxEEEESI_EEEEESK_NSA_INS5_IJNSE_INSF_IxEEEESM_EEEEEPS7_SP_SP_NSC_11hip_rocprim7__merge17predicate_wrapperIxxNSC_4lessIxEEEEEE10hipError_tPvRmT0_T1_T2_T3_T4_T5_mmT6_P12ihipStream_tbEUlT_E_NS1_11comp_targetILNS1_3genE3ELNS1_11target_archE908ELNS1_3gpuE7ELNS1_3repE0EEENS1_30default_config_static_selectorELNS0_4arch9wavefront6targetE0EEEvS10_
	.p2align	8
	.type	_ZN7rocprim17ROCPRIM_400000_NS6detail17trampoline_kernelINS0_14default_configENS1_21merge_config_selectorINS0_5tupleIJxxEEENS0_10empty_typeEEEZNS1_10merge_implIS3_NS0_12zip_iteratorINS5_IJN6thrust23THRUST_200600_302600_NS6detail15normal_iteratorINSC_10device_ptrIKxEEEESI_EEEEESK_NSA_INS5_IJNSE_INSF_IxEEEESM_EEEEEPS7_SP_SP_NSC_11hip_rocprim7__merge17predicate_wrapperIxxNSC_4lessIxEEEEEE10hipError_tPvRmT0_T1_T2_T3_T4_T5_mmT6_P12ihipStream_tbEUlT_E_NS1_11comp_targetILNS1_3genE3ELNS1_11target_archE908ELNS1_3gpuE7ELNS1_3repE0EEENS1_30default_config_static_selectorELNS0_4arch9wavefront6targetE0EEEvS10_,@function
_ZN7rocprim17ROCPRIM_400000_NS6detail17trampoline_kernelINS0_14default_configENS1_21merge_config_selectorINS0_5tupleIJxxEEENS0_10empty_typeEEEZNS1_10merge_implIS3_NS0_12zip_iteratorINS5_IJN6thrust23THRUST_200600_302600_NS6detail15normal_iteratorINSC_10device_ptrIKxEEEESI_EEEEESK_NSA_INS5_IJNSE_INSF_IxEEEESM_EEEEEPS7_SP_SP_NSC_11hip_rocprim7__merge17predicate_wrapperIxxNSC_4lessIxEEEEEE10hipError_tPvRmT0_T1_T2_T3_T4_T5_mmT6_P12ihipStream_tbEUlT_E_NS1_11comp_targetILNS1_3genE3ELNS1_11target_archE908ELNS1_3gpuE7ELNS1_3repE0EEENS1_30default_config_static_selectorELNS0_4arch9wavefront6targetE0EEEvS10_: ; @_ZN7rocprim17ROCPRIM_400000_NS6detail17trampoline_kernelINS0_14default_configENS1_21merge_config_selectorINS0_5tupleIJxxEEENS0_10empty_typeEEEZNS1_10merge_implIS3_NS0_12zip_iteratorINS5_IJN6thrust23THRUST_200600_302600_NS6detail15normal_iteratorINSC_10device_ptrIKxEEEESI_EEEEESK_NSA_INS5_IJNSE_INSF_IxEEEESM_EEEEEPS7_SP_SP_NSC_11hip_rocprim7__merge17predicate_wrapperIxxNSC_4lessIxEEEEEE10hipError_tPvRmT0_T1_T2_T3_T4_T5_mmT6_P12ihipStream_tbEUlT_E_NS1_11comp_targetILNS1_3genE3ELNS1_11target_archE908ELNS1_3gpuE7ELNS1_3repE0EEENS1_30default_config_static_selectorELNS0_4arch9wavefront6targetE0EEEvS10_
; %bb.0:
	.section	.rodata,"a",@progbits
	.p2align	6, 0x0
	.amdhsa_kernel _ZN7rocprim17ROCPRIM_400000_NS6detail17trampoline_kernelINS0_14default_configENS1_21merge_config_selectorINS0_5tupleIJxxEEENS0_10empty_typeEEEZNS1_10merge_implIS3_NS0_12zip_iteratorINS5_IJN6thrust23THRUST_200600_302600_NS6detail15normal_iteratorINSC_10device_ptrIKxEEEESI_EEEEESK_NSA_INS5_IJNSE_INSF_IxEEEESM_EEEEEPS7_SP_SP_NSC_11hip_rocprim7__merge17predicate_wrapperIxxNSC_4lessIxEEEEEE10hipError_tPvRmT0_T1_T2_T3_T4_T5_mmT6_P12ihipStream_tbEUlT_E_NS1_11comp_targetILNS1_3genE3ELNS1_11target_archE908ELNS1_3gpuE7ELNS1_3repE0EEENS1_30default_config_static_selectorELNS0_4arch9wavefront6targetE0EEEvS10_
		.amdhsa_group_segment_fixed_size 0
		.amdhsa_private_segment_fixed_size 0
		.amdhsa_kernarg_size 64
		.amdhsa_user_sgpr_count 2
		.amdhsa_user_sgpr_dispatch_ptr 0
		.amdhsa_user_sgpr_queue_ptr 0
		.amdhsa_user_sgpr_kernarg_segment_ptr 1
		.amdhsa_user_sgpr_dispatch_id 0
		.amdhsa_user_sgpr_kernarg_preload_length 0
		.amdhsa_user_sgpr_kernarg_preload_offset 0
		.amdhsa_user_sgpr_private_segment_size 0
		.amdhsa_wavefront_size32 1
		.amdhsa_uses_dynamic_stack 0
		.amdhsa_enable_private_segment 0
		.amdhsa_system_sgpr_workgroup_id_x 1
		.amdhsa_system_sgpr_workgroup_id_y 0
		.amdhsa_system_sgpr_workgroup_id_z 0
		.amdhsa_system_sgpr_workgroup_info 0
		.amdhsa_system_vgpr_workitem_id 0
		.amdhsa_next_free_vgpr 1
		.amdhsa_next_free_sgpr 1
		.amdhsa_named_barrier_count 0
		.amdhsa_reserve_vcc 0
		.amdhsa_float_round_mode_32 0
		.amdhsa_float_round_mode_16_64 0
		.amdhsa_float_denorm_mode_32 3
		.amdhsa_float_denorm_mode_16_64 3
		.amdhsa_fp16_overflow 0
		.amdhsa_memory_ordered 1
		.amdhsa_forward_progress 1
		.amdhsa_inst_pref_size 0
		.amdhsa_round_robin_scheduling 0
		.amdhsa_exception_fp_ieee_invalid_op 0
		.amdhsa_exception_fp_denorm_src 0
		.amdhsa_exception_fp_ieee_div_zero 0
		.amdhsa_exception_fp_ieee_overflow 0
		.amdhsa_exception_fp_ieee_underflow 0
		.amdhsa_exception_fp_ieee_inexact 0
		.amdhsa_exception_int_div_zero 0
	.end_amdhsa_kernel
	.section	.text._ZN7rocprim17ROCPRIM_400000_NS6detail17trampoline_kernelINS0_14default_configENS1_21merge_config_selectorINS0_5tupleIJxxEEENS0_10empty_typeEEEZNS1_10merge_implIS3_NS0_12zip_iteratorINS5_IJN6thrust23THRUST_200600_302600_NS6detail15normal_iteratorINSC_10device_ptrIKxEEEESI_EEEEESK_NSA_INS5_IJNSE_INSF_IxEEEESM_EEEEEPS7_SP_SP_NSC_11hip_rocprim7__merge17predicate_wrapperIxxNSC_4lessIxEEEEEE10hipError_tPvRmT0_T1_T2_T3_T4_T5_mmT6_P12ihipStream_tbEUlT_E_NS1_11comp_targetILNS1_3genE3ELNS1_11target_archE908ELNS1_3gpuE7ELNS1_3repE0EEENS1_30default_config_static_selectorELNS0_4arch9wavefront6targetE0EEEvS10_,"axG",@progbits,_ZN7rocprim17ROCPRIM_400000_NS6detail17trampoline_kernelINS0_14default_configENS1_21merge_config_selectorINS0_5tupleIJxxEEENS0_10empty_typeEEEZNS1_10merge_implIS3_NS0_12zip_iteratorINS5_IJN6thrust23THRUST_200600_302600_NS6detail15normal_iteratorINSC_10device_ptrIKxEEEESI_EEEEESK_NSA_INS5_IJNSE_INSF_IxEEEESM_EEEEEPS7_SP_SP_NSC_11hip_rocprim7__merge17predicate_wrapperIxxNSC_4lessIxEEEEEE10hipError_tPvRmT0_T1_T2_T3_T4_T5_mmT6_P12ihipStream_tbEUlT_E_NS1_11comp_targetILNS1_3genE3ELNS1_11target_archE908ELNS1_3gpuE7ELNS1_3repE0EEENS1_30default_config_static_selectorELNS0_4arch9wavefront6targetE0EEEvS10_,comdat
.Lfunc_end210:
	.size	_ZN7rocprim17ROCPRIM_400000_NS6detail17trampoline_kernelINS0_14default_configENS1_21merge_config_selectorINS0_5tupleIJxxEEENS0_10empty_typeEEEZNS1_10merge_implIS3_NS0_12zip_iteratorINS5_IJN6thrust23THRUST_200600_302600_NS6detail15normal_iteratorINSC_10device_ptrIKxEEEESI_EEEEESK_NSA_INS5_IJNSE_INSF_IxEEEESM_EEEEEPS7_SP_SP_NSC_11hip_rocprim7__merge17predicate_wrapperIxxNSC_4lessIxEEEEEE10hipError_tPvRmT0_T1_T2_T3_T4_T5_mmT6_P12ihipStream_tbEUlT_E_NS1_11comp_targetILNS1_3genE3ELNS1_11target_archE908ELNS1_3gpuE7ELNS1_3repE0EEENS1_30default_config_static_selectorELNS0_4arch9wavefront6targetE0EEEvS10_, .Lfunc_end210-_ZN7rocprim17ROCPRIM_400000_NS6detail17trampoline_kernelINS0_14default_configENS1_21merge_config_selectorINS0_5tupleIJxxEEENS0_10empty_typeEEEZNS1_10merge_implIS3_NS0_12zip_iteratorINS5_IJN6thrust23THRUST_200600_302600_NS6detail15normal_iteratorINSC_10device_ptrIKxEEEESI_EEEEESK_NSA_INS5_IJNSE_INSF_IxEEEESM_EEEEEPS7_SP_SP_NSC_11hip_rocprim7__merge17predicate_wrapperIxxNSC_4lessIxEEEEEE10hipError_tPvRmT0_T1_T2_T3_T4_T5_mmT6_P12ihipStream_tbEUlT_E_NS1_11comp_targetILNS1_3genE3ELNS1_11target_archE908ELNS1_3gpuE7ELNS1_3repE0EEENS1_30default_config_static_selectorELNS0_4arch9wavefront6targetE0EEEvS10_
                                        ; -- End function
	.set _ZN7rocprim17ROCPRIM_400000_NS6detail17trampoline_kernelINS0_14default_configENS1_21merge_config_selectorINS0_5tupleIJxxEEENS0_10empty_typeEEEZNS1_10merge_implIS3_NS0_12zip_iteratorINS5_IJN6thrust23THRUST_200600_302600_NS6detail15normal_iteratorINSC_10device_ptrIKxEEEESI_EEEEESK_NSA_INS5_IJNSE_INSF_IxEEEESM_EEEEEPS7_SP_SP_NSC_11hip_rocprim7__merge17predicate_wrapperIxxNSC_4lessIxEEEEEE10hipError_tPvRmT0_T1_T2_T3_T4_T5_mmT6_P12ihipStream_tbEUlT_E_NS1_11comp_targetILNS1_3genE3ELNS1_11target_archE908ELNS1_3gpuE7ELNS1_3repE0EEENS1_30default_config_static_selectorELNS0_4arch9wavefront6targetE0EEEvS10_.num_vgpr, 0
	.set _ZN7rocprim17ROCPRIM_400000_NS6detail17trampoline_kernelINS0_14default_configENS1_21merge_config_selectorINS0_5tupleIJxxEEENS0_10empty_typeEEEZNS1_10merge_implIS3_NS0_12zip_iteratorINS5_IJN6thrust23THRUST_200600_302600_NS6detail15normal_iteratorINSC_10device_ptrIKxEEEESI_EEEEESK_NSA_INS5_IJNSE_INSF_IxEEEESM_EEEEEPS7_SP_SP_NSC_11hip_rocprim7__merge17predicate_wrapperIxxNSC_4lessIxEEEEEE10hipError_tPvRmT0_T1_T2_T3_T4_T5_mmT6_P12ihipStream_tbEUlT_E_NS1_11comp_targetILNS1_3genE3ELNS1_11target_archE908ELNS1_3gpuE7ELNS1_3repE0EEENS1_30default_config_static_selectorELNS0_4arch9wavefront6targetE0EEEvS10_.num_agpr, 0
	.set _ZN7rocprim17ROCPRIM_400000_NS6detail17trampoline_kernelINS0_14default_configENS1_21merge_config_selectorINS0_5tupleIJxxEEENS0_10empty_typeEEEZNS1_10merge_implIS3_NS0_12zip_iteratorINS5_IJN6thrust23THRUST_200600_302600_NS6detail15normal_iteratorINSC_10device_ptrIKxEEEESI_EEEEESK_NSA_INS5_IJNSE_INSF_IxEEEESM_EEEEEPS7_SP_SP_NSC_11hip_rocprim7__merge17predicate_wrapperIxxNSC_4lessIxEEEEEE10hipError_tPvRmT0_T1_T2_T3_T4_T5_mmT6_P12ihipStream_tbEUlT_E_NS1_11comp_targetILNS1_3genE3ELNS1_11target_archE908ELNS1_3gpuE7ELNS1_3repE0EEENS1_30default_config_static_selectorELNS0_4arch9wavefront6targetE0EEEvS10_.numbered_sgpr, 0
	.set _ZN7rocprim17ROCPRIM_400000_NS6detail17trampoline_kernelINS0_14default_configENS1_21merge_config_selectorINS0_5tupleIJxxEEENS0_10empty_typeEEEZNS1_10merge_implIS3_NS0_12zip_iteratorINS5_IJN6thrust23THRUST_200600_302600_NS6detail15normal_iteratorINSC_10device_ptrIKxEEEESI_EEEEESK_NSA_INS5_IJNSE_INSF_IxEEEESM_EEEEEPS7_SP_SP_NSC_11hip_rocprim7__merge17predicate_wrapperIxxNSC_4lessIxEEEEEE10hipError_tPvRmT0_T1_T2_T3_T4_T5_mmT6_P12ihipStream_tbEUlT_E_NS1_11comp_targetILNS1_3genE3ELNS1_11target_archE908ELNS1_3gpuE7ELNS1_3repE0EEENS1_30default_config_static_selectorELNS0_4arch9wavefront6targetE0EEEvS10_.num_named_barrier, 0
	.set _ZN7rocprim17ROCPRIM_400000_NS6detail17trampoline_kernelINS0_14default_configENS1_21merge_config_selectorINS0_5tupleIJxxEEENS0_10empty_typeEEEZNS1_10merge_implIS3_NS0_12zip_iteratorINS5_IJN6thrust23THRUST_200600_302600_NS6detail15normal_iteratorINSC_10device_ptrIKxEEEESI_EEEEESK_NSA_INS5_IJNSE_INSF_IxEEEESM_EEEEEPS7_SP_SP_NSC_11hip_rocprim7__merge17predicate_wrapperIxxNSC_4lessIxEEEEEE10hipError_tPvRmT0_T1_T2_T3_T4_T5_mmT6_P12ihipStream_tbEUlT_E_NS1_11comp_targetILNS1_3genE3ELNS1_11target_archE908ELNS1_3gpuE7ELNS1_3repE0EEENS1_30default_config_static_selectorELNS0_4arch9wavefront6targetE0EEEvS10_.private_seg_size, 0
	.set _ZN7rocprim17ROCPRIM_400000_NS6detail17trampoline_kernelINS0_14default_configENS1_21merge_config_selectorINS0_5tupleIJxxEEENS0_10empty_typeEEEZNS1_10merge_implIS3_NS0_12zip_iteratorINS5_IJN6thrust23THRUST_200600_302600_NS6detail15normal_iteratorINSC_10device_ptrIKxEEEESI_EEEEESK_NSA_INS5_IJNSE_INSF_IxEEEESM_EEEEEPS7_SP_SP_NSC_11hip_rocprim7__merge17predicate_wrapperIxxNSC_4lessIxEEEEEE10hipError_tPvRmT0_T1_T2_T3_T4_T5_mmT6_P12ihipStream_tbEUlT_E_NS1_11comp_targetILNS1_3genE3ELNS1_11target_archE908ELNS1_3gpuE7ELNS1_3repE0EEENS1_30default_config_static_selectorELNS0_4arch9wavefront6targetE0EEEvS10_.uses_vcc, 0
	.set _ZN7rocprim17ROCPRIM_400000_NS6detail17trampoline_kernelINS0_14default_configENS1_21merge_config_selectorINS0_5tupleIJxxEEENS0_10empty_typeEEEZNS1_10merge_implIS3_NS0_12zip_iteratorINS5_IJN6thrust23THRUST_200600_302600_NS6detail15normal_iteratorINSC_10device_ptrIKxEEEESI_EEEEESK_NSA_INS5_IJNSE_INSF_IxEEEESM_EEEEEPS7_SP_SP_NSC_11hip_rocprim7__merge17predicate_wrapperIxxNSC_4lessIxEEEEEE10hipError_tPvRmT0_T1_T2_T3_T4_T5_mmT6_P12ihipStream_tbEUlT_E_NS1_11comp_targetILNS1_3genE3ELNS1_11target_archE908ELNS1_3gpuE7ELNS1_3repE0EEENS1_30default_config_static_selectorELNS0_4arch9wavefront6targetE0EEEvS10_.uses_flat_scratch, 0
	.set _ZN7rocprim17ROCPRIM_400000_NS6detail17trampoline_kernelINS0_14default_configENS1_21merge_config_selectorINS0_5tupleIJxxEEENS0_10empty_typeEEEZNS1_10merge_implIS3_NS0_12zip_iteratorINS5_IJN6thrust23THRUST_200600_302600_NS6detail15normal_iteratorINSC_10device_ptrIKxEEEESI_EEEEESK_NSA_INS5_IJNSE_INSF_IxEEEESM_EEEEEPS7_SP_SP_NSC_11hip_rocprim7__merge17predicate_wrapperIxxNSC_4lessIxEEEEEE10hipError_tPvRmT0_T1_T2_T3_T4_T5_mmT6_P12ihipStream_tbEUlT_E_NS1_11comp_targetILNS1_3genE3ELNS1_11target_archE908ELNS1_3gpuE7ELNS1_3repE0EEENS1_30default_config_static_selectorELNS0_4arch9wavefront6targetE0EEEvS10_.has_dyn_sized_stack, 0
	.set _ZN7rocprim17ROCPRIM_400000_NS6detail17trampoline_kernelINS0_14default_configENS1_21merge_config_selectorINS0_5tupleIJxxEEENS0_10empty_typeEEEZNS1_10merge_implIS3_NS0_12zip_iteratorINS5_IJN6thrust23THRUST_200600_302600_NS6detail15normal_iteratorINSC_10device_ptrIKxEEEESI_EEEEESK_NSA_INS5_IJNSE_INSF_IxEEEESM_EEEEEPS7_SP_SP_NSC_11hip_rocprim7__merge17predicate_wrapperIxxNSC_4lessIxEEEEEE10hipError_tPvRmT0_T1_T2_T3_T4_T5_mmT6_P12ihipStream_tbEUlT_E_NS1_11comp_targetILNS1_3genE3ELNS1_11target_archE908ELNS1_3gpuE7ELNS1_3repE0EEENS1_30default_config_static_selectorELNS0_4arch9wavefront6targetE0EEEvS10_.has_recursion, 0
	.set _ZN7rocprim17ROCPRIM_400000_NS6detail17trampoline_kernelINS0_14default_configENS1_21merge_config_selectorINS0_5tupleIJxxEEENS0_10empty_typeEEEZNS1_10merge_implIS3_NS0_12zip_iteratorINS5_IJN6thrust23THRUST_200600_302600_NS6detail15normal_iteratorINSC_10device_ptrIKxEEEESI_EEEEESK_NSA_INS5_IJNSE_INSF_IxEEEESM_EEEEEPS7_SP_SP_NSC_11hip_rocprim7__merge17predicate_wrapperIxxNSC_4lessIxEEEEEE10hipError_tPvRmT0_T1_T2_T3_T4_T5_mmT6_P12ihipStream_tbEUlT_E_NS1_11comp_targetILNS1_3genE3ELNS1_11target_archE908ELNS1_3gpuE7ELNS1_3repE0EEENS1_30default_config_static_selectorELNS0_4arch9wavefront6targetE0EEEvS10_.has_indirect_call, 0
	.section	.AMDGPU.csdata,"",@progbits
; Kernel info:
; codeLenInByte = 0
; TotalNumSgprs: 0
; NumVgprs: 0
; ScratchSize: 0
; MemoryBound: 0
; FloatMode: 240
; IeeeMode: 1
; LDSByteSize: 0 bytes/workgroup (compile time only)
; SGPRBlocks: 0
; VGPRBlocks: 0
; NumSGPRsForWavesPerEU: 1
; NumVGPRsForWavesPerEU: 1
; NamedBarCnt: 0
; Occupancy: 16
; WaveLimiterHint : 0
; COMPUTE_PGM_RSRC2:SCRATCH_EN: 0
; COMPUTE_PGM_RSRC2:USER_SGPR: 2
; COMPUTE_PGM_RSRC2:TRAP_HANDLER: 0
; COMPUTE_PGM_RSRC2:TGID_X_EN: 1
; COMPUTE_PGM_RSRC2:TGID_Y_EN: 0
; COMPUTE_PGM_RSRC2:TGID_Z_EN: 0
; COMPUTE_PGM_RSRC2:TIDIG_COMP_CNT: 0
	.section	.text._ZN7rocprim17ROCPRIM_400000_NS6detail17trampoline_kernelINS0_14default_configENS1_21merge_config_selectorINS0_5tupleIJxxEEENS0_10empty_typeEEEZNS1_10merge_implIS3_NS0_12zip_iteratorINS5_IJN6thrust23THRUST_200600_302600_NS6detail15normal_iteratorINSC_10device_ptrIKxEEEESI_EEEEESK_NSA_INS5_IJNSE_INSF_IxEEEESM_EEEEEPS7_SP_SP_NSC_11hip_rocprim7__merge17predicate_wrapperIxxNSC_4lessIxEEEEEE10hipError_tPvRmT0_T1_T2_T3_T4_T5_mmT6_P12ihipStream_tbEUlT_E_NS1_11comp_targetILNS1_3genE2ELNS1_11target_archE906ELNS1_3gpuE6ELNS1_3repE0EEENS1_30default_config_static_selectorELNS0_4arch9wavefront6targetE0EEEvS10_,"axG",@progbits,_ZN7rocprim17ROCPRIM_400000_NS6detail17trampoline_kernelINS0_14default_configENS1_21merge_config_selectorINS0_5tupleIJxxEEENS0_10empty_typeEEEZNS1_10merge_implIS3_NS0_12zip_iteratorINS5_IJN6thrust23THRUST_200600_302600_NS6detail15normal_iteratorINSC_10device_ptrIKxEEEESI_EEEEESK_NSA_INS5_IJNSE_INSF_IxEEEESM_EEEEEPS7_SP_SP_NSC_11hip_rocprim7__merge17predicate_wrapperIxxNSC_4lessIxEEEEEE10hipError_tPvRmT0_T1_T2_T3_T4_T5_mmT6_P12ihipStream_tbEUlT_E_NS1_11comp_targetILNS1_3genE2ELNS1_11target_archE906ELNS1_3gpuE6ELNS1_3repE0EEENS1_30default_config_static_selectorELNS0_4arch9wavefront6targetE0EEEvS10_,comdat
	.protected	_ZN7rocprim17ROCPRIM_400000_NS6detail17trampoline_kernelINS0_14default_configENS1_21merge_config_selectorINS0_5tupleIJxxEEENS0_10empty_typeEEEZNS1_10merge_implIS3_NS0_12zip_iteratorINS5_IJN6thrust23THRUST_200600_302600_NS6detail15normal_iteratorINSC_10device_ptrIKxEEEESI_EEEEESK_NSA_INS5_IJNSE_INSF_IxEEEESM_EEEEEPS7_SP_SP_NSC_11hip_rocprim7__merge17predicate_wrapperIxxNSC_4lessIxEEEEEE10hipError_tPvRmT0_T1_T2_T3_T4_T5_mmT6_P12ihipStream_tbEUlT_E_NS1_11comp_targetILNS1_3genE2ELNS1_11target_archE906ELNS1_3gpuE6ELNS1_3repE0EEENS1_30default_config_static_selectorELNS0_4arch9wavefront6targetE0EEEvS10_ ; -- Begin function _ZN7rocprim17ROCPRIM_400000_NS6detail17trampoline_kernelINS0_14default_configENS1_21merge_config_selectorINS0_5tupleIJxxEEENS0_10empty_typeEEEZNS1_10merge_implIS3_NS0_12zip_iteratorINS5_IJN6thrust23THRUST_200600_302600_NS6detail15normal_iteratorINSC_10device_ptrIKxEEEESI_EEEEESK_NSA_INS5_IJNSE_INSF_IxEEEESM_EEEEEPS7_SP_SP_NSC_11hip_rocprim7__merge17predicate_wrapperIxxNSC_4lessIxEEEEEE10hipError_tPvRmT0_T1_T2_T3_T4_T5_mmT6_P12ihipStream_tbEUlT_E_NS1_11comp_targetILNS1_3genE2ELNS1_11target_archE906ELNS1_3gpuE6ELNS1_3repE0EEENS1_30default_config_static_selectorELNS0_4arch9wavefront6targetE0EEEvS10_
	.globl	_ZN7rocprim17ROCPRIM_400000_NS6detail17trampoline_kernelINS0_14default_configENS1_21merge_config_selectorINS0_5tupleIJxxEEENS0_10empty_typeEEEZNS1_10merge_implIS3_NS0_12zip_iteratorINS5_IJN6thrust23THRUST_200600_302600_NS6detail15normal_iteratorINSC_10device_ptrIKxEEEESI_EEEEESK_NSA_INS5_IJNSE_INSF_IxEEEESM_EEEEEPS7_SP_SP_NSC_11hip_rocprim7__merge17predicate_wrapperIxxNSC_4lessIxEEEEEE10hipError_tPvRmT0_T1_T2_T3_T4_T5_mmT6_P12ihipStream_tbEUlT_E_NS1_11comp_targetILNS1_3genE2ELNS1_11target_archE906ELNS1_3gpuE6ELNS1_3repE0EEENS1_30default_config_static_selectorELNS0_4arch9wavefront6targetE0EEEvS10_
	.p2align	8
	.type	_ZN7rocprim17ROCPRIM_400000_NS6detail17trampoline_kernelINS0_14default_configENS1_21merge_config_selectorINS0_5tupleIJxxEEENS0_10empty_typeEEEZNS1_10merge_implIS3_NS0_12zip_iteratorINS5_IJN6thrust23THRUST_200600_302600_NS6detail15normal_iteratorINSC_10device_ptrIKxEEEESI_EEEEESK_NSA_INS5_IJNSE_INSF_IxEEEESM_EEEEEPS7_SP_SP_NSC_11hip_rocprim7__merge17predicate_wrapperIxxNSC_4lessIxEEEEEE10hipError_tPvRmT0_T1_T2_T3_T4_T5_mmT6_P12ihipStream_tbEUlT_E_NS1_11comp_targetILNS1_3genE2ELNS1_11target_archE906ELNS1_3gpuE6ELNS1_3repE0EEENS1_30default_config_static_selectorELNS0_4arch9wavefront6targetE0EEEvS10_,@function
_ZN7rocprim17ROCPRIM_400000_NS6detail17trampoline_kernelINS0_14default_configENS1_21merge_config_selectorINS0_5tupleIJxxEEENS0_10empty_typeEEEZNS1_10merge_implIS3_NS0_12zip_iteratorINS5_IJN6thrust23THRUST_200600_302600_NS6detail15normal_iteratorINSC_10device_ptrIKxEEEESI_EEEEESK_NSA_INS5_IJNSE_INSF_IxEEEESM_EEEEEPS7_SP_SP_NSC_11hip_rocprim7__merge17predicate_wrapperIxxNSC_4lessIxEEEEEE10hipError_tPvRmT0_T1_T2_T3_T4_T5_mmT6_P12ihipStream_tbEUlT_E_NS1_11comp_targetILNS1_3genE2ELNS1_11target_archE906ELNS1_3gpuE6ELNS1_3repE0EEENS1_30default_config_static_selectorELNS0_4arch9wavefront6targetE0EEEvS10_: ; @_ZN7rocprim17ROCPRIM_400000_NS6detail17trampoline_kernelINS0_14default_configENS1_21merge_config_selectorINS0_5tupleIJxxEEENS0_10empty_typeEEEZNS1_10merge_implIS3_NS0_12zip_iteratorINS5_IJN6thrust23THRUST_200600_302600_NS6detail15normal_iteratorINSC_10device_ptrIKxEEEESI_EEEEESK_NSA_INS5_IJNSE_INSF_IxEEEESM_EEEEEPS7_SP_SP_NSC_11hip_rocprim7__merge17predicate_wrapperIxxNSC_4lessIxEEEEEE10hipError_tPvRmT0_T1_T2_T3_T4_T5_mmT6_P12ihipStream_tbEUlT_E_NS1_11comp_targetILNS1_3genE2ELNS1_11target_archE906ELNS1_3gpuE6ELNS1_3repE0EEENS1_30default_config_static_selectorELNS0_4arch9wavefront6targetE0EEEvS10_
; %bb.0:
	.section	.rodata,"a",@progbits
	.p2align	6, 0x0
	.amdhsa_kernel _ZN7rocprim17ROCPRIM_400000_NS6detail17trampoline_kernelINS0_14default_configENS1_21merge_config_selectorINS0_5tupleIJxxEEENS0_10empty_typeEEEZNS1_10merge_implIS3_NS0_12zip_iteratorINS5_IJN6thrust23THRUST_200600_302600_NS6detail15normal_iteratorINSC_10device_ptrIKxEEEESI_EEEEESK_NSA_INS5_IJNSE_INSF_IxEEEESM_EEEEEPS7_SP_SP_NSC_11hip_rocprim7__merge17predicate_wrapperIxxNSC_4lessIxEEEEEE10hipError_tPvRmT0_T1_T2_T3_T4_T5_mmT6_P12ihipStream_tbEUlT_E_NS1_11comp_targetILNS1_3genE2ELNS1_11target_archE906ELNS1_3gpuE6ELNS1_3repE0EEENS1_30default_config_static_selectorELNS0_4arch9wavefront6targetE0EEEvS10_
		.amdhsa_group_segment_fixed_size 0
		.amdhsa_private_segment_fixed_size 0
		.amdhsa_kernarg_size 64
		.amdhsa_user_sgpr_count 2
		.amdhsa_user_sgpr_dispatch_ptr 0
		.amdhsa_user_sgpr_queue_ptr 0
		.amdhsa_user_sgpr_kernarg_segment_ptr 1
		.amdhsa_user_sgpr_dispatch_id 0
		.amdhsa_user_sgpr_kernarg_preload_length 0
		.amdhsa_user_sgpr_kernarg_preload_offset 0
		.amdhsa_user_sgpr_private_segment_size 0
		.amdhsa_wavefront_size32 1
		.amdhsa_uses_dynamic_stack 0
		.amdhsa_enable_private_segment 0
		.amdhsa_system_sgpr_workgroup_id_x 1
		.amdhsa_system_sgpr_workgroup_id_y 0
		.amdhsa_system_sgpr_workgroup_id_z 0
		.amdhsa_system_sgpr_workgroup_info 0
		.amdhsa_system_vgpr_workitem_id 0
		.amdhsa_next_free_vgpr 1
		.amdhsa_next_free_sgpr 1
		.amdhsa_named_barrier_count 0
		.amdhsa_reserve_vcc 0
		.amdhsa_float_round_mode_32 0
		.amdhsa_float_round_mode_16_64 0
		.amdhsa_float_denorm_mode_32 3
		.amdhsa_float_denorm_mode_16_64 3
		.amdhsa_fp16_overflow 0
		.amdhsa_memory_ordered 1
		.amdhsa_forward_progress 1
		.amdhsa_inst_pref_size 0
		.amdhsa_round_robin_scheduling 0
		.amdhsa_exception_fp_ieee_invalid_op 0
		.amdhsa_exception_fp_denorm_src 0
		.amdhsa_exception_fp_ieee_div_zero 0
		.amdhsa_exception_fp_ieee_overflow 0
		.amdhsa_exception_fp_ieee_underflow 0
		.amdhsa_exception_fp_ieee_inexact 0
		.amdhsa_exception_int_div_zero 0
	.end_amdhsa_kernel
	.section	.text._ZN7rocprim17ROCPRIM_400000_NS6detail17trampoline_kernelINS0_14default_configENS1_21merge_config_selectorINS0_5tupleIJxxEEENS0_10empty_typeEEEZNS1_10merge_implIS3_NS0_12zip_iteratorINS5_IJN6thrust23THRUST_200600_302600_NS6detail15normal_iteratorINSC_10device_ptrIKxEEEESI_EEEEESK_NSA_INS5_IJNSE_INSF_IxEEEESM_EEEEEPS7_SP_SP_NSC_11hip_rocprim7__merge17predicate_wrapperIxxNSC_4lessIxEEEEEE10hipError_tPvRmT0_T1_T2_T3_T4_T5_mmT6_P12ihipStream_tbEUlT_E_NS1_11comp_targetILNS1_3genE2ELNS1_11target_archE906ELNS1_3gpuE6ELNS1_3repE0EEENS1_30default_config_static_selectorELNS0_4arch9wavefront6targetE0EEEvS10_,"axG",@progbits,_ZN7rocprim17ROCPRIM_400000_NS6detail17trampoline_kernelINS0_14default_configENS1_21merge_config_selectorINS0_5tupleIJxxEEENS0_10empty_typeEEEZNS1_10merge_implIS3_NS0_12zip_iteratorINS5_IJN6thrust23THRUST_200600_302600_NS6detail15normal_iteratorINSC_10device_ptrIKxEEEESI_EEEEESK_NSA_INS5_IJNSE_INSF_IxEEEESM_EEEEEPS7_SP_SP_NSC_11hip_rocprim7__merge17predicate_wrapperIxxNSC_4lessIxEEEEEE10hipError_tPvRmT0_T1_T2_T3_T4_T5_mmT6_P12ihipStream_tbEUlT_E_NS1_11comp_targetILNS1_3genE2ELNS1_11target_archE906ELNS1_3gpuE6ELNS1_3repE0EEENS1_30default_config_static_selectorELNS0_4arch9wavefront6targetE0EEEvS10_,comdat
.Lfunc_end211:
	.size	_ZN7rocprim17ROCPRIM_400000_NS6detail17trampoline_kernelINS0_14default_configENS1_21merge_config_selectorINS0_5tupleIJxxEEENS0_10empty_typeEEEZNS1_10merge_implIS3_NS0_12zip_iteratorINS5_IJN6thrust23THRUST_200600_302600_NS6detail15normal_iteratorINSC_10device_ptrIKxEEEESI_EEEEESK_NSA_INS5_IJNSE_INSF_IxEEEESM_EEEEEPS7_SP_SP_NSC_11hip_rocprim7__merge17predicate_wrapperIxxNSC_4lessIxEEEEEE10hipError_tPvRmT0_T1_T2_T3_T4_T5_mmT6_P12ihipStream_tbEUlT_E_NS1_11comp_targetILNS1_3genE2ELNS1_11target_archE906ELNS1_3gpuE6ELNS1_3repE0EEENS1_30default_config_static_selectorELNS0_4arch9wavefront6targetE0EEEvS10_, .Lfunc_end211-_ZN7rocprim17ROCPRIM_400000_NS6detail17trampoline_kernelINS0_14default_configENS1_21merge_config_selectorINS0_5tupleIJxxEEENS0_10empty_typeEEEZNS1_10merge_implIS3_NS0_12zip_iteratorINS5_IJN6thrust23THRUST_200600_302600_NS6detail15normal_iteratorINSC_10device_ptrIKxEEEESI_EEEEESK_NSA_INS5_IJNSE_INSF_IxEEEESM_EEEEEPS7_SP_SP_NSC_11hip_rocprim7__merge17predicate_wrapperIxxNSC_4lessIxEEEEEE10hipError_tPvRmT0_T1_T2_T3_T4_T5_mmT6_P12ihipStream_tbEUlT_E_NS1_11comp_targetILNS1_3genE2ELNS1_11target_archE906ELNS1_3gpuE6ELNS1_3repE0EEENS1_30default_config_static_selectorELNS0_4arch9wavefront6targetE0EEEvS10_
                                        ; -- End function
	.set _ZN7rocprim17ROCPRIM_400000_NS6detail17trampoline_kernelINS0_14default_configENS1_21merge_config_selectorINS0_5tupleIJxxEEENS0_10empty_typeEEEZNS1_10merge_implIS3_NS0_12zip_iteratorINS5_IJN6thrust23THRUST_200600_302600_NS6detail15normal_iteratorINSC_10device_ptrIKxEEEESI_EEEEESK_NSA_INS5_IJNSE_INSF_IxEEEESM_EEEEEPS7_SP_SP_NSC_11hip_rocprim7__merge17predicate_wrapperIxxNSC_4lessIxEEEEEE10hipError_tPvRmT0_T1_T2_T3_T4_T5_mmT6_P12ihipStream_tbEUlT_E_NS1_11comp_targetILNS1_3genE2ELNS1_11target_archE906ELNS1_3gpuE6ELNS1_3repE0EEENS1_30default_config_static_selectorELNS0_4arch9wavefront6targetE0EEEvS10_.num_vgpr, 0
	.set _ZN7rocprim17ROCPRIM_400000_NS6detail17trampoline_kernelINS0_14default_configENS1_21merge_config_selectorINS0_5tupleIJxxEEENS0_10empty_typeEEEZNS1_10merge_implIS3_NS0_12zip_iteratorINS5_IJN6thrust23THRUST_200600_302600_NS6detail15normal_iteratorINSC_10device_ptrIKxEEEESI_EEEEESK_NSA_INS5_IJNSE_INSF_IxEEEESM_EEEEEPS7_SP_SP_NSC_11hip_rocprim7__merge17predicate_wrapperIxxNSC_4lessIxEEEEEE10hipError_tPvRmT0_T1_T2_T3_T4_T5_mmT6_P12ihipStream_tbEUlT_E_NS1_11comp_targetILNS1_3genE2ELNS1_11target_archE906ELNS1_3gpuE6ELNS1_3repE0EEENS1_30default_config_static_selectorELNS0_4arch9wavefront6targetE0EEEvS10_.num_agpr, 0
	.set _ZN7rocprim17ROCPRIM_400000_NS6detail17trampoline_kernelINS0_14default_configENS1_21merge_config_selectorINS0_5tupleIJxxEEENS0_10empty_typeEEEZNS1_10merge_implIS3_NS0_12zip_iteratorINS5_IJN6thrust23THRUST_200600_302600_NS6detail15normal_iteratorINSC_10device_ptrIKxEEEESI_EEEEESK_NSA_INS5_IJNSE_INSF_IxEEEESM_EEEEEPS7_SP_SP_NSC_11hip_rocprim7__merge17predicate_wrapperIxxNSC_4lessIxEEEEEE10hipError_tPvRmT0_T1_T2_T3_T4_T5_mmT6_P12ihipStream_tbEUlT_E_NS1_11comp_targetILNS1_3genE2ELNS1_11target_archE906ELNS1_3gpuE6ELNS1_3repE0EEENS1_30default_config_static_selectorELNS0_4arch9wavefront6targetE0EEEvS10_.numbered_sgpr, 0
	.set _ZN7rocprim17ROCPRIM_400000_NS6detail17trampoline_kernelINS0_14default_configENS1_21merge_config_selectorINS0_5tupleIJxxEEENS0_10empty_typeEEEZNS1_10merge_implIS3_NS0_12zip_iteratorINS5_IJN6thrust23THRUST_200600_302600_NS6detail15normal_iteratorINSC_10device_ptrIKxEEEESI_EEEEESK_NSA_INS5_IJNSE_INSF_IxEEEESM_EEEEEPS7_SP_SP_NSC_11hip_rocprim7__merge17predicate_wrapperIxxNSC_4lessIxEEEEEE10hipError_tPvRmT0_T1_T2_T3_T4_T5_mmT6_P12ihipStream_tbEUlT_E_NS1_11comp_targetILNS1_3genE2ELNS1_11target_archE906ELNS1_3gpuE6ELNS1_3repE0EEENS1_30default_config_static_selectorELNS0_4arch9wavefront6targetE0EEEvS10_.num_named_barrier, 0
	.set _ZN7rocprim17ROCPRIM_400000_NS6detail17trampoline_kernelINS0_14default_configENS1_21merge_config_selectorINS0_5tupleIJxxEEENS0_10empty_typeEEEZNS1_10merge_implIS3_NS0_12zip_iteratorINS5_IJN6thrust23THRUST_200600_302600_NS6detail15normal_iteratorINSC_10device_ptrIKxEEEESI_EEEEESK_NSA_INS5_IJNSE_INSF_IxEEEESM_EEEEEPS7_SP_SP_NSC_11hip_rocprim7__merge17predicate_wrapperIxxNSC_4lessIxEEEEEE10hipError_tPvRmT0_T1_T2_T3_T4_T5_mmT6_P12ihipStream_tbEUlT_E_NS1_11comp_targetILNS1_3genE2ELNS1_11target_archE906ELNS1_3gpuE6ELNS1_3repE0EEENS1_30default_config_static_selectorELNS0_4arch9wavefront6targetE0EEEvS10_.private_seg_size, 0
	.set _ZN7rocprim17ROCPRIM_400000_NS6detail17trampoline_kernelINS0_14default_configENS1_21merge_config_selectorINS0_5tupleIJxxEEENS0_10empty_typeEEEZNS1_10merge_implIS3_NS0_12zip_iteratorINS5_IJN6thrust23THRUST_200600_302600_NS6detail15normal_iteratorINSC_10device_ptrIKxEEEESI_EEEEESK_NSA_INS5_IJNSE_INSF_IxEEEESM_EEEEEPS7_SP_SP_NSC_11hip_rocprim7__merge17predicate_wrapperIxxNSC_4lessIxEEEEEE10hipError_tPvRmT0_T1_T2_T3_T4_T5_mmT6_P12ihipStream_tbEUlT_E_NS1_11comp_targetILNS1_3genE2ELNS1_11target_archE906ELNS1_3gpuE6ELNS1_3repE0EEENS1_30default_config_static_selectorELNS0_4arch9wavefront6targetE0EEEvS10_.uses_vcc, 0
	.set _ZN7rocprim17ROCPRIM_400000_NS6detail17trampoline_kernelINS0_14default_configENS1_21merge_config_selectorINS0_5tupleIJxxEEENS0_10empty_typeEEEZNS1_10merge_implIS3_NS0_12zip_iteratorINS5_IJN6thrust23THRUST_200600_302600_NS6detail15normal_iteratorINSC_10device_ptrIKxEEEESI_EEEEESK_NSA_INS5_IJNSE_INSF_IxEEEESM_EEEEEPS7_SP_SP_NSC_11hip_rocprim7__merge17predicate_wrapperIxxNSC_4lessIxEEEEEE10hipError_tPvRmT0_T1_T2_T3_T4_T5_mmT6_P12ihipStream_tbEUlT_E_NS1_11comp_targetILNS1_3genE2ELNS1_11target_archE906ELNS1_3gpuE6ELNS1_3repE0EEENS1_30default_config_static_selectorELNS0_4arch9wavefront6targetE0EEEvS10_.uses_flat_scratch, 0
	.set _ZN7rocprim17ROCPRIM_400000_NS6detail17trampoline_kernelINS0_14default_configENS1_21merge_config_selectorINS0_5tupleIJxxEEENS0_10empty_typeEEEZNS1_10merge_implIS3_NS0_12zip_iteratorINS5_IJN6thrust23THRUST_200600_302600_NS6detail15normal_iteratorINSC_10device_ptrIKxEEEESI_EEEEESK_NSA_INS5_IJNSE_INSF_IxEEEESM_EEEEEPS7_SP_SP_NSC_11hip_rocprim7__merge17predicate_wrapperIxxNSC_4lessIxEEEEEE10hipError_tPvRmT0_T1_T2_T3_T4_T5_mmT6_P12ihipStream_tbEUlT_E_NS1_11comp_targetILNS1_3genE2ELNS1_11target_archE906ELNS1_3gpuE6ELNS1_3repE0EEENS1_30default_config_static_selectorELNS0_4arch9wavefront6targetE0EEEvS10_.has_dyn_sized_stack, 0
	.set _ZN7rocprim17ROCPRIM_400000_NS6detail17trampoline_kernelINS0_14default_configENS1_21merge_config_selectorINS0_5tupleIJxxEEENS0_10empty_typeEEEZNS1_10merge_implIS3_NS0_12zip_iteratorINS5_IJN6thrust23THRUST_200600_302600_NS6detail15normal_iteratorINSC_10device_ptrIKxEEEESI_EEEEESK_NSA_INS5_IJNSE_INSF_IxEEEESM_EEEEEPS7_SP_SP_NSC_11hip_rocprim7__merge17predicate_wrapperIxxNSC_4lessIxEEEEEE10hipError_tPvRmT0_T1_T2_T3_T4_T5_mmT6_P12ihipStream_tbEUlT_E_NS1_11comp_targetILNS1_3genE2ELNS1_11target_archE906ELNS1_3gpuE6ELNS1_3repE0EEENS1_30default_config_static_selectorELNS0_4arch9wavefront6targetE0EEEvS10_.has_recursion, 0
	.set _ZN7rocprim17ROCPRIM_400000_NS6detail17trampoline_kernelINS0_14default_configENS1_21merge_config_selectorINS0_5tupleIJxxEEENS0_10empty_typeEEEZNS1_10merge_implIS3_NS0_12zip_iteratorINS5_IJN6thrust23THRUST_200600_302600_NS6detail15normal_iteratorINSC_10device_ptrIKxEEEESI_EEEEESK_NSA_INS5_IJNSE_INSF_IxEEEESM_EEEEEPS7_SP_SP_NSC_11hip_rocprim7__merge17predicate_wrapperIxxNSC_4lessIxEEEEEE10hipError_tPvRmT0_T1_T2_T3_T4_T5_mmT6_P12ihipStream_tbEUlT_E_NS1_11comp_targetILNS1_3genE2ELNS1_11target_archE906ELNS1_3gpuE6ELNS1_3repE0EEENS1_30default_config_static_selectorELNS0_4arch9wavefront6targetE0EEEvS10_.has_indirect_call, 0
	.section	.AMDGPU.csdata,"",@progbits
; Kernel info:
; codeLenInByte = 0
; TotalNumSgprs: 0
; NumVgprs: 0
; ScratchSize: 0
; MemoryBound: 0
; FloatMode: 240
; IeeeMode: 1
; LDSByteSize: 0 bytes/workgroup (compile time only)
; SGPRBlocks: 0
; VGPRBlocks: 0
; NumSGPRsForWavesPerEU: 1
; NumVGPRsForWavesPerEU: 1
; NamedBarCnt: 0
; Occupancy: 16
; WaveLimiterHint : 0
; COMPUTE_PGM_RSRC2:SCRATCH_EN: 0
; COMPUTE_PGM_RSRC2:USER_SGPR: 2
; COMPUTE_PGM_RSRC2:TRAP_HANDLER: 0
; COMPUTE_PGM_RSRC2:TGID_X_EN: 1
; COMPUTE_PGM_RSRC2:TGID_Y_EN: 0
; COMPUTE_PGM_RSRC2:TGID_Z_EN: 0
; COMPUTE_PGM_RSRC2:TIDIG_COMP_CNT: 0
	.section	.text._ZN7rocprim17ROCPRIM_400000_NS6detail17trampoline_kernelINS0_14default_configENS1_21merge_config_selectorINS0_5tupleIJxxEEENS0_10empty_typeEEEZNS1_10merge_implIS3_NS0_12zip_iteratorINS5_IJN6thrust23THRUST_200600_302600_NS6detail15normal_iteratorINSC_10device_ptrIKxEEEESI_EEEEESK_NSA_INS5_IJNSE_INSF_IxEEEESM_EEEEEPS7_SP_SP_NSC_11hip_rocprim7__merge17predicate_wrapperIxxNSC_4lessIxEEEEEE10hipError_tPvRmT0_T1_T2_T3_T4_T5_mmT6_P12ihipStream_tbEUlT_E_NS1_11comp_targetILNS1_3genE10ELNS1_11target_archE1201ELNS1_3gpuE5ELNS1_3repE0EEENS1_30default_config_static_selectorELNS0_4arch9wavefront6targetE0EEEvS10_,"axG",@progbits,_ZN7rocprim17ROCPRIM_400000_NS6detail17trampoline_kernelINS0_14default_configENS1_21merge_config_selectorINS0_5tupleIJxxEEENS0_10empty_typeEEEZNS1_10merge_implIS3_NS0_12zip_iteratorINS5_IJN6thrust23THRUST_200600_302600_NS6detail15normal_iteratorINSC_10device_ptrIKxEEEESI_EEEEESK_NSA_INS5_IJNSE_INSF_IxEEEESM_EEEEEPS7_SP_SP_NSC_11hip_rocprim7__merge17predicate_wrapperIxxNSC_4lessIxEEEEEE10hipError_tPvRmT0_T1_T2_T3_T4_T5_mmT6_P12ihipStream_tbEUlT_E_NS1_11comp_targetILNS1_3genE10ELNS1_11target_archE1201ELNS1_3gpuE5ELNS1_3repE0EEENS1_30default_config_static_selectorELNS0_4arch9wavefront6targetE0EEEvS10_,comdat
	.protected	_ZN7rocprim17ROCPRIM_400000_NS6detail17trampoline_kernelINS0_14default_configENS1_21merge_config_selectorINS0_5tupleIJxxEEENS0_10empty_typeEEEZNS1_10merge_implIS3_NS0_12zip_iteratorINS5_IJN6thrust23THRUST_200600_302600_NS6detail15normal_iteratorINSC_10device_ptrIKxEEEESI_EEEEESK_NSA_INS5_IJNSE_INSF_IxEEEESM_EEEEEPS7_SP_SP_NSC_11hip_rocprim7__merge17predicate_wrapperIxxNSC_4lessIxEEEEEE10hipError_tPvRmT0_T1_T2_T3_T4_T5_mmT6_P12ihipStream_tbEUlT_E_NS1_11comp_targetILNS1_3genE10ELNS1_11target_archE1201ELNS1_3gpuE5ELNS1_3repE0EEENS1_30default_config_static_selectorELNS0_4arch9wavefront6targetE0EEEvS10_ ; -- Begin function _ZN7rocprim17ROCPRIM_400000_NS6detail17trampoline_kernelINS0_14default_configENS1_21merge_config_selectorINS0_5tupleIJxxEEENS0_10empty_typeEEEZNS1_10merge_implIS3_NS0_12zip_iteratorINS5_IJN6thrust23THRUST_200600_302600_NS6detail15normal_iteratorINSC_10device_ptrIKxEEEESI_EEEEESK_NSA_INS5_IJNSE_INSF_IxEEEESM_EEEEEPS7_SP_SP_NSC_11hip_rocprim7__merge17predicate_wrapperIxxNSC_4lessIxEEEEEE10hipError_tPvRmT0_T1_T2_T3_T4_T5_mmT6_P12ihipStream_tbEUlT_E_NS1_11comp_targetILNS1_3genE10ELNS1_11target_archE1201ELNS1_3gpuE5ELNS1_3repE0EEENS1_30default_config_static_selectorELNS0_4arch9wavefront6targetE0EEEvS10_
	.globl	_ZN7rocprim17ROCPRIM_400000_NS6detail17trampoline_kernelINS0_14default_configENS1_21merge_config_selectorINS0_5tupleIJxxEEENS0_10empty_typeEEEZNS1_10merge_implIS3_NS0_12zip_iteratorINS5_IJN6thrust23THRUST_200600_302600_NS6detail15normal_iteratorINSC_10device_ptrIKxEEEESI_EEEEESK_NSA_INS5_IJNSE_INSF_IxEEEESM_EEEEEPS7_SP_SP_NSC_11hip_rocprim7__merge17predicate_wrapperIxxNSC_4lessIxEEEEEE10hipError_tPvRmT0_T1_T2_T3_T4_T5_mmT6_P12ihipStream_tbEUlT_E_NS1_11comp_targetILNS1_3genE10ELNS1_11target_archE1201ELNS1_3gpuE5ELNS1_3repE0EEENS1_30default_config_static_selectorELNS0_4arch9wavefront6targetE0EEEvS10_
	.p2align	8
	.type	_ZN7rocprim17ROCPRIM_400000_NS6detail17trampoline_kernelINS0_14default_configENS1_21merge_config_selectorINS0_5tupleIJxxEEENS0_10empty_typeEEEZNS1_10merge_implIS3_NS0_12zip_iteratorINS5_IJN6thrust23THRUST_200600_302600_NS6detail15normal_iteratorINSC_10device_ptrIKxEEEESI_EEEEESK_NSA_INS5_IJNSE_INSF_IxEEEESM_EEEEEPS7_SP_SP_NSC_11hip_rocprim7__merge17predicate_wrapperIxxNSC_4lessIxEEEEEE10hipError_tPvRmT0_T1_T2_T3_T4_T5_mmT6_P12ihipStream_tbEUlT_E_NS1_11comp_targetILNS1_3genE10ELNS1_11target_archE1201ELNS1_3gpuE5ELNS1_3repE0EEENS1_30default_config_static_selectorELNS0_4arch9wavefront6targetE0EEEvS10_,@function
_ZN7rocprim17ROCPRIM_400000_NS6detail17trampoline_kernelINS0_14default_configENS1_21merge_config_selectorINS0_5tupleIJxxEEENS0_10empty_typeEEEZNS1_10merge_implIS3_NS0_12zip_iteratorINS5_IJN6thrust23THRUST_200600_302600_NS6detail15normal_iteratorINSC_10device_ptrIKxEEEESI_EEEEESK_NSA_INS5_IJNSE_INSF_IxEEEESM_EEEEEPS7_SP_SP_NSC_11hip_rocprim7__merge17predicate_wrapperIxxNSC_4lessIxEEEEEE10hipError_tPvRmT0_T1_T2_T3_T4_T5_mmT6_P12ihipStream_tbEUlT_E_NS1_11comp_targetILNS1_3genE10ELNS1_11target_archE1201ELNS1_3gpuE5ELNS1_3repE0EEENS1_30default_config_static_selectorELNS0_4arch9wavefront6targetE0EEEvS10_: ; @_ZN7rocprim17ROCPRIM_400000_NS6detail17trampoline_kernelINS0_14default_configENS1_21merge_config_selectorINS0_5tupleIJxxEEENS0_10empty_typeEEEZNS1_10merge_implIS3_NS0_12zip_iteratorINS5_IJN6thrust23THRUST_200600_302600_NS6detail15normal_iteratorINSC_10device_ptrIKxEEEESI_EEEEESK_NSA_INS5_IJNSE_INSF_IxEEEESM_EEEEEPS7_SP_SP_NSC_11hip_rocprim7__merge17predicate_wrapperIxxNSC_4lessIxEEEEEE10hipError_tPvRmT0_T1_T2_T3_T4_T5_mmT6_P12ihipStream_tbEUlT_E_NS1_11comp_targetILNS1_3genE10ELNS1_11target_archE1201ELNS1_3gpuE5ELNS1_3repE0EEENS1_30default_config_static_selectorELNS0_4arch9wavefront6targetE0EEEvS10_
; %bb.0:
	.section	.rodata,"a",@progbits
	.p2align	6, 0x0
	.amdhsa_kernel _ZN7rocprim17ROCPRIM_400000_NS6detail17trampoline_kernelINS0_14default_configENS1_21merge_config_selectorINS0_5tupleIJxxEEENS0_10empty_typeEEEZNS1_10merge_implIS3_NS0_12zip_iteratorINS5_IJN6thrust23THRUST_200600_302600_NS6detail15normal_iteratorINSC_10device_ptrIKxEEEESI_EEEEESK_NSA_INS5_IJNSE_INSF_IxEEEESM_EEEEEPS7_SP_SP_NSC_11hip_rocprim7__merge17predicate_wrapperIxxNSC_4lessIxEEEEEE10hipError_tPvRmT0_T1_T2_T3_T4_T5_mmT6_P12ihipStream_tbEUlT_E_NS1_11comp_targetILNS1_3genE10ELNS1_11target_archE1201ELNS1_3gpuE5ELNS1_3repE0EEENS1_30default_config_static_selectorELNS0_4arch9wavefront6targetE0EEEvS10_
		.amdhsa_group_segment_fixed_size 0
		.amdhsa_private_segment_fixed_size 0
		.amdhsa_kernarg_size 64
		.amdhsa_user_sgpr_count 2
		.amdhsa_user_sgpr_dispatch_ptr 0
		.amdhsa_user_sgpr_queue_ptr 0
		.amdhsa_user_sgpr_kernarg_segment_ptr 1
		.amdhsa_user_sgpr_dispatch_id 0
		.amdhsa_user_sgpr_kernarg_preload_length 0
		.amdhsa_user_sgpr_kernarg_preload_offset 0
		.amdhsa_user_sgpr_private_segment_size 0
		.amdhsa_wavefront_size32 1
		.amdhsa_uses_dynamic_stack 0
		.amdhsa_enable_private_segment 0
		.amdhsa_system_sgpr_workgroup_id_x 1
		.amdhsa_system_sgpr_workgroup_id_y 0
		.amdhsa_system_sgpr_workgroup_id_z 0
		.amdhsa_system_sgpr_workgroup_info 0
		.amdhsa_system_vgpr_workitem_id 0
		.amdhsa_next_free_vgpr 1
		.amdhsa_next_free_sgpr 1
		.amdhsa_named_barrier_count 0
		.amdhsa_reserve_vcc 0
		.amdhsa_float_round_mode_32 0
		.amdhsa_float_round_mode_16_64 0
		.amdhsa_float_denorm_mode_32 3
		.amdhsa_float_denorm_mode_16_64 3
		.amdhsa_fp16_overflow 0
		.amdhsa_memory_ordered 1
		.amdhsa_forward_progress 1
		.amdhsa_inst_pref_size 0
		.amdhsa_round_robin_scheduling 0
		.amdhsa_exception_fp_ieee_invalid_op 0
		.amdhsa_exception_fp_denorm_src 0
		.amdhsa_exception_fp_ieee_div_zero 0
		.amdhsa_exception_fp_ieee_overflow 0
		.amdhsa_exception_fp_ieee_underflow 0
		.amdhsa_exception_fp_ieee_inexact 0
		.amdhsa_exception_int_div_zero 0
	.end_amdhsa_kernel
	.section	.text._ZN7rocprim17ROCPRIM_400000_NS6detail17trampoline_kernelINS0_14default_configENS1_21merge_config_selectorINS0_5tupleIJxxEEENS0_10empty_typeEEEZNS1_10merge_implIS3_NS0_12zip_iteratorINS5_IJN6thrust23THRUST_200600_302600_NS6detail15normal_iteratorINSC_10device_ptrIKxEEEESI_EEEEESK_NSA_INS5_IJNSE_INSF_IxEEEESM_EEEEEPS7_SP_SP_NSC_11hip_rocprim7__merge17predicate_wrapperIxxNSC_4lessIxEEEEEE10hipError_tPvRmT0_T1_T2_T3_T4_T5_mmT6_P12ihipStream_tbEUlT_E_NS1_11comp_targetILNS1_3genE10ELNS1_11target_archE1201ELNS1_3gpuE5ELNS1_3repE0EEENS1_30default_config_static_selectorELNS0_4arch9wavefront6targetE0EEEvS10_,"axG",@progbits,_ZN7rocprim17ROCPRIM_400000_NS6detail17trampoline_kernelINS0_14default_configENS1_21merge_config_selectorINS0_5tupleIJxxEEENS0_10empty_typeEEEZNS1_10merge_implIS3_NS0_12zip_iteratorINS5_IJN6thrust23THRUST_200600_302600_NS6detail15normal_iteratorINSC_10device_ptrIKxEEEESI_EEEEESK_NSA_INS5_IJNSE_INSF_IxEEEESM_EEEEEPS7_SP_SP_NSC_11hip_rocprim7__merge17predicate_wrapperIxxNSC_4lessIxEEEEEE10hipError_tPvRmT0_T1_T2_T3_T4_T5_mmT6_P12ihipStream_tbEUlT_E_NS1_11comp_targetILNS1_3genE10ELNS1_11target_archE1201ELNS1_3gpuE5ELNS1_3repE0EEENS1_30default_config_static_selectorELNS0_4arch9wavefront6targetE0EEEvS10_,comdat
.Lfunc_end212:
	.size	_ZN7rocprim17ROCPRIM_400000_NS6detail17trampoline_kernelINS0_14default_configENS1_21merge_config_selectorINS0_5tupleIJxxEEENS0_10empty_typeEEEZNS1_10merge_implIS3_NS0_12zip_iteratorINS5_IJN6thrust23THRUST_200600_302600_NS6detail15normal_iteratorINSC_10device_ptrIKxEEEESI_EEEEESK_NSA_INS5_IJNSE_INSF_IxEEEESM_EEEEEPS7_SP_SP_NSC_11hip_rocprim7__merge17predicate_wrapperIxxNSC_4lessIxEEEEEE10hipError_tPvRmT0_T1_T2_T3_T4_T5_mmT6_P12ihipStream_tbEUlT_E_NS1_11comp_targetILNS1_3genE10ELNS1_11target_archE1201ELNS1_3gpuE5ELNS1_3repE0EEENS1_30default_config_static_selectorELNS0_4arch9wavefront6targetE0EEEvS10_, .Lfunc_end212-_ZN7rocprim17ROCPRIM_400000_NS6detail17trampoline_kernelINS0_14default_configENS1_21merge_config_selectorINS0_5tupleIJxxEEENS0_10empty_typeEEEZNS1_10merge_implIS3_NS0_12zip_iteratorINS5_IJN6thrust23THRUST_200600_302600_NS6detail15normal_iteratorINSC_10device_ptrIKxEEEESI_EEEEESK_NSA_INS5_IJNSE_INSF_IxEEEESM_EEEEEPS7_SP_SP_NSC_11hip_rocprim7__merge17predicate_wrapperIxxNSC_4lessIxEEEEEE10hipError_tPvRmT0_T1_T2_T3_T4_T5_mmT6_P12ihipStream_tbEUlT_E_NS1_11comp_targetILNS1_3genE10ELNS1_11target_archE1201ELNS1_3gpuE5ELNS1_3repE0EEENS1_30default_config_static_selectorELNS0_4arch9wavefront6targetE0EEEvS10_
                                        ; -- End function
	.set _ZN7rocprim17ROCPRIM_400000_NS6detail17trampoline_kernelINS0_14default_configENS1_21merge_config_selectorINS0_5tupleIJxxEEENS0_10empty_typeEEEZNS1_10merge_implIS3_NS0_12zip_iteratorINS5_IJN6thrust23THRUST_200600_302600_NS6detail15normal_iteratorINSC_10device_ptrIKxEEEESI_EEEEESK_NSA_INS5_IJNSE_INSF_IxEEEESM_EEEEEPS7_SP_SP_NSC_11hip_rocprim7__merge17predicate_wrapperIxxNSC_4lessIxEEEEEE10hipError_tPvRmT0_T1_T2_T3_T4_T5_mmT6_P12ihipStream_tbEUlT_E_NS1_11comp_targetILNS1_3genE10ELNS1_11target_archE1201ELNS1_3gpuE5ELNS1_3repE0EEENS1_30default_config_static_selectorELNS0_4arch9wavefront6targetE0EEEvS10_.num_vgpr, 0
	.set _ZN7rocprim17ROCPRIM_400000_NS6detail17trampoline_kernelINS0_14default_configENS1_21merge_config_selectorINS0_5tupleIJxxEEENS0_10empty_typeEEEZNS1_10merge_implIS3_NS0_12zip_iteratorINS5_IJN6thrust23THRUST_200600_302600_NS6detail15normal_iteratorINSC_10device_ptrIKxEEEESI_EEEEESK_NSA_INS5_IJNSE_INSF_IxEEEESM_EEEEEPS7_SP_SP_NSC_11hip_rocprim7__merge17predicate_wrapperIxxNSC_4lessIxEEEEEE10hipError_tPvRmT0_T1_T2_T3_T4_T5_mmT6_P12ihipStream_tbEUlT_E_NS1_11comp_targetILNS1_3genE10ELNS1_11target_archE1201ELNS1_3gpuE5ELNS1_3repE0EEENS1_30default_config_static_selectorELNS0_4arch9wavefront6targetE0EEEvS10_.num_agpr, 0
	.set _ZN7rocprim17ROCPRIM_400000_NS6detail17trampoline_kernelINS0_14default_configENS1_21merge_config_selectorINS0_5tupleIJxxEEENS0_10empty_typeEEEZNS1_10merge_implIS3_NS0_12zip_iteratorINS5_IJN6thrust23THRUST_200600_302600_NS6detail15normal_iteratorINSC_10device_ptrIKxEEEESI_EEEEESK_NSA_INS5_IJNSE_INSF_IxEEEESM_EEEEEPS7_SP_SP_NSC_11hip_rocprim7__merge17predicate_wrapperIxxNSC_4lessIxEEEEEE10hipError_tPvRmT0_T1_T2_T3_T4_T5_mmT6_P12ihipStream_tbEUlT_E_NS1_11comp_targetILNS1_3genE10ELNS1_11target_archE1201ELNS1_3gpuE5ELNS1_3repE0EEENS1_30default_config_static_selectorELNS0_4arch9wavefront6targetE0EEEvS10_.numbered_sgpr, 0
	.set _ZN7rocprim17ROCPRIM_400000_NS6detail17trampoline_kernelINS0_14default_configENS1_21merge_config_selectorINS0_5tupleIJxxEEENS0_10empty_typeEEEZNS1_10merge_implIS3_NS0_12zip_iteratorINS5_IJN6thrust23THRUST_200600_302600_NS6detail15normal_iteratorINSC_10device_ptrIKxEEEESI_EEEEESK_NSA_INS5_IJNSE_INSF_IxEEEESM_EEEEEPS7_SP_SP_NSC_11hip_rocprim7__merge17predicate_wrapperIxxNSC_4lessIxEEEEEE10hipError_tPvRmT0_T1_T2_T3_T4_T5_mmT6_P12ihipStream_tbEUlT_E_NS1_11comp_targetILNS1_3genE10ELNS1_11target_archE1201ELNS1_3gpuE5ELNS1_3repE0EEENS1_30default_config_static_selectorELNS0_4arch9wavefront6targetE0EEEvS10_.num_named_barrier, 0
	.set _ZN7rocprim17ROCPRIM_400000_NS6detail17trampoline_kernelINS0_14default_configENS1_21merge_config_selectorINS0_5tupleIJxxEEENS0_10empty_typeEEEZNS1_10merge_implIS3_NS0_12zip_iteratorINS5_IJN6thrust23THRUST_200600_302600_NS6detail15normal_iteratorINSC_10device_ptrIKxEEEESI_EEEEESK_NSA_INS5_IJNSE_INSF_IxEEEESM_EEEEEPS7_SP_SP_NSC_11hip_rocprim7__merge17predicate_wrapperIxxNSC_4lessIxEEEEEE10hipError_tPvRmT0_T1_T2_T3_T4_T5_mmT6_P12ihipStream_tbEUlT_E_NS1_11comp_targetILNS1_3genE10ELNS1_11target_archE1201ELNS1_3gpuE5ELNS1_3repE0EEENS1_30default_config_static_selectorELNS0_4arch9wavefront6targetE0EEEvS10_.private_seg_size, 0
	.set _ZN7rocprim17ROCPRIM_400000_NS6detail17trampoline_kernelINS0_14default_configENS1_21merge_config_selectorINS0_5tupleIJxxEEENS0_10empty_typeEEEZNS1_10merge_implIS3_NS0_12zip_iteratorINS5_IJN6thrust23THRUST_200600_302600_NS6detail15normal_iteratorINSC_10device_ptrIKxEEEESI_EEEEESK_NSA_INS5_IJNSE_INSF_IxEEEESM_EEEEEPS7_SP_SP_NSC_11hip_rocprim7__merge17predicate_wrapperIxxNSC_4lessIxEEEEEE10hipError_tPvRmT0_T1_T2_T3_T4_T5_mmT6_P12ihipStream_tbEUlT_E_NS1_11comp_targetILNS1_3genE10ELNS1_11target_archE1201ELNS1_3gpuE5ELNS1_3repE0EEENS1_30default_config_static_selectorELNS0_4arch9wavefront6targetE0EEEvS10_.uses_vcc, 0
	.set _ZN7rocprim17ROCPRIM_400000_NS6detail17trampoline_kernelINS0_14default_configENS1_21merge_config_selectorINS0_5tupleIJxxEEENS0_10empty_typeEEEZNS1_10merge_implIS3_NS0_12zip_iteratorINS5_IJN6thrust23THRUST_200600_302600_NS6detail15normal_iteratorINSC_10device_ptrIKxEEEESI_EEEEESK_NSA_INS5_IJNSE_INSF_IxEEEESM_EEEEEPS7_SP_SP_NSC_11hip_rocprim7__merge17predicate_wrapperIxxNSC_4lessIxEEEEEE10hipError_tPvRmT0_T1_T2_T3_T4_T5_mmT6_P12ihipStream_tbEUlT_E_NS1_11comp_targetILNS1_3genE10ELNS1_11target_archE1201ELNS1_3gpuE5ELNS1_3repE0EEENS1_30default_config_static_selectorELNS0_4arch9wavefront6targetE0EEEvS10_.uses_flat_scratch, 0
	.set _ZN7rocprim17ROCPRIM_400000_NS6detail17trampoline_kernelINS0_14default_configENS1_21merge_config_selectorINS0_5tupleIJxxEEENS0_10empty_typeEEEZNS1_10merge_implIS3_NS0_12zip_iteratorINS5_IJN6thrust23THRUST_200600_302600_NS6detail15normal_iteratorINSC_10device_ptrIKxEEEESI_EEEEESK_NSA_INS5_IJNSE_INSF_IxEEEESM_EEEEEPS7_SP_SP_NSC_11hip_rocprim7__merge17predicate_wrapperIxxNSC_4lessIxEEEEEE10hipError_tPvRmT0_T1_T2_T3_T4_T5_mmT6_P12ihipStream_tbEUlT_E_NS1_11comp_targetILNS1_3genE10ELNS1_11target_archE1201ELNS1_3gpuE5ELNS1_3repE0EEENS1_30default_config_static_selectorELNS0_4arch9wavefront6targetE0EEEvS10_.has_dyn_sized_stack, 0
	.set _ZN7rocprim17ROCPRIM_400000_NS6detail17trampoline_kernelINS0_14default_configENS1_21merge_config_selectorINS0_5tupleIJxxEEENS0_10empty_typeEEEZNS1_10merge_implIS3_NS0_12zip_iteratorINS5_IJN6thrust23THRUST_200600_302600_NS6detail15normal_iteratorINSC_10device_ptrIKxEEEESI_EEEEESK_NSA_INS5_IJNSE_INSF_IxEEEESM_EEEEEPS7_SP_SP_NSC_11hip_rocprim7__merge17predicate_wrapperIxxNSC_4lessIxEEEEEE10hipError_tPvRmT0_T1_T2_T3_T4_T5_mmT6_P12ihipStream_tbEUlT_E_NS1_11comp_targetILNS1_3genE10ELNS1_11target_archE1201ELNS1_3gpuE5ELNS1_3repE0EEENS1_30default_config_static_selectorELNS0_4arch9wavefront6targetE0EEEvS10_.has_recursion, 0
	.set _ZN7rocprim17ROCPRIM_400000_NS6detail17trampoline_kernelINS0_14default_configENS1_21merge_config_selectorINS0_5tupleIJxxEEENS0_10empty_typeEEEZNS1_10merge_implIS3_NS0_12zip_iteratorINS5_IJN6thrust23THRUST_200600_302600_NS6detail15normal_iteratorINSC_10device_ptrIKxEEEESI_EEEEESK_NSA_INS5_IJNSE_INSF_IxEEEESM_EEEEEPS7_SP_SP_NSC_11hip_rocprim7__merge17predicate_wrapperIxxNSC_4lessIxEEEEEE10hipError_tPvRmT0_T1_T2_T3_T4_T5_mmT6_P12ihipStream_tbEUlT_E_NS1_11comp_targetILNS1_3genE10ELNS1_11target_archE1201ELNS1_3gpuE5ELNS1_3repE0EEENS1_30default_config_static_selectorELNS0_4arch9wavefront6targetE0EEEvS10_.has_indirect_call, 0
	.section	.AMDGPU.csdata,"",@progbits
; Kernel info:
; codeLenInByte = 0
; TotalNumSgprs: 0
; NumVgprs: 0
; ScratchSize: 0
; MemoryBound: 0
; FloatMode: 240
; IeeeMode: 1
; LDSByteSize: 0 bytes/workgroup (compile time only)
; SGPRBlocks: 0
; VGPRBlocks: 0
; NumSGPRsForWavesPerEU: 1
; NumVGPRsForWavesPerEU: 1
; NamedBarCnt: 0
; Occupancy: 16
; WaveLimiterHint : 0
; COMPUTE_PGM_RSRC2:SCRATCH_EN: 0
; COMPUTE_PGM_RSRC2:USER_SGPR: 2
; COMPUTE_PGM_RSRC2:TRAP_HANDLER: 0
; COMPUTE_PGM_RSRC2:TGID_X_EN: 1
; COMPUTE_PGM_RSRC2:TGID_Y_EN: 0
; COMPUTE_PGM_RSRC2:TGID_Z_EN: 0
; COMPUTE_PGM_RSRC2:TIDIG_COMP_CNT: 0
	.section	.text._ZN7rocprim17ROCPRIM_400000_NS6detail17trampoline_kernelINS0_14default_configENS1_21merge_config_selectorINS0_5tupleIJxxEEENS0_10empty_typeEEEZNS1_10merge_implIS3_NS0_12zip_iteratorINS5_IJN6thrust23THRUST_200600_302600_NS6detail15normal_iteratorINSC_10device_ptrIKxEEEESI_EEEEESK_NSA_INS5_IJNSE_INSF_IxEEEESM_EEEEEPS7_SP_SP_NSC_11hip_rocprim7__merge17predicate_wrapperIxxNSC_4lessIxEEEEEE10hipError_tPvRmT0_T1_T2_T3_T4_T5_mmT6_P12ihipStream_tbEUlT_E_NS1_11comp_targetILNS1_3genE10ELNS1_11target_archE1200ELNS1_3gpuE4ELNS1_3repE0EEENS1_30default_config_static_selectorELNS0_4arch9wavefront6targetE0EEEvS10_,"axG",@progbits,_ZN7rocprim17ROCPRIM_400000_NS6detail17trampoline_kernelINS0_14default_configENS1_21merge_config_selectorINS0_5tupleIJxxEEENS0_10empty_typeEEEZNS1_10merge_implIS3_NS0_12zip_iteratorINS5_IJN6thrust23THRUST_200600_302600_NS6detail15normal_iteratorINSC_10device_ptrIKxEEEESI_EEEEESK_NSA_INS5_IJNSE_INSF_IxEEEESM_EEEEEPS7_SP_SP_NSC_11hip_rocprim7__merge17predicate_wrapperIxxNSC_4lessIxEEEEEE10hipError_tPvRmT0_T1_T2_T3_T4_T5_mmT6_P12ihipStream_tbEUlT_E_NS1_11comp_targetILNS1_3genE10ELNS1_11target_archE1200ELNS1_3gpuE4ELNS1_3repE0EEENS1_30default_config_static_selectorELNS0_4arch9wavefront6targetE0EEEvS10_,comdat
	.protected	_ZN7rocprim17ROCPRIM_400000_NS6detail17trampoline_kernelINS0_14default_configENS1_21merge_config_selectorINS0_5tupleIJxxEEENS0_10empty_typeEEEZNS1_10merge_implIS3_NS0_12zip_iteratorINS5_IJN6thrust23THRUST_200600_302600_NS6detail15normal_iteratorINSC_10device_ptrIKxEEEESI_EEEEESK_NSA_INS5_IJNSE_INSF_IxEEEESM_EEEEEPS7_SP_SP_NSC_11hip_rocprim7__merge17predicate_wrapperIxxNSC_4lessIxEEEEEE10hipError_tPvRmT0_T1_T2_T3_T4_T5_mmT6_P12ihipStream_tbEUlT_E_NS1_11comp_targetILNS1_3genE10ELNS1_11target_archE1200ELNS1_3gpuE4ELNS1_3repE0EEENS1_30default_config_static_selectorELNS0_4arch9wavefront6targetE0EEEvS10_ ; -- Begin function _ZN7rocprim17ROCPRIM_400000_NS6detail17trampoline_kernelINS0_14default_configENS1_21merge_config_selectorINS0_5tupleIJxxEEENS0_10empty_typeEEEZNS1_10merge_implIS3_NS0_12zip_iteratorINS5_IJN6thrust23THRUST_200600_302600_NS6detail15normal_iteratorINSC_10device_ptrIKxEEEESI_EEEEESK_NSA_INS5_IJNSE_INSF_IxEEEESM_EEEEEPS7_SP_SP_NSC_11hip_rocprim7__merge17predicate_wrapperIxxNSC_4lessIxEEEEEE10hipError_tPvRmT0_T1_T2_T3_T4_T5_mmT6_P12ihipStream_tbEUlT_E_NS1_11comp_targetILNS1_3genE10ELNS1_11target_archE1200ELNS1_3gpuE4ELNS1_3repE0EEENS1_30default_config_static_selectorELNS0_4arch9wavefront6targetE0EEEvS10_
	.globl	_ZN7rocprim17ROCPRIM_400000_NS6detail17trampoline_kernelINS0_14default_configENS1_21merge_config_selectorINS0_5tupleIJxxEEENS0_10empty_typeEEEZNS1_10merge_implIS3_NS0_12zip_iteratorINS5_IJN6thrust23THRUST_200600_302600_NS6detail15normal_iteratorINSC_10device_ptrIKxEEEESI_EEEEESK_NSA_INS5_IJNSE_INSF_IxEEEESM_EEEEEPS7_SP_SP_NSC_11hip_rocprim7__merge17predicate_wrapperIxxNSC_4lessIxEEEEEE10hipError_tPvRmT0_T1_T2_T3_T4_T5_mmT6_P12ihipStream_tbEUlT_E_NS1_11comp_targetILNS1_3genE10ELNS1_11target_archE1200ELNS1_3gpuE4ELNS1_3repE0EEENS1_30default_config_static_selectorELNS0_4arch9wavefront6targetE0EEEvS10_
	.p2align	8
	.type	_ZN7rocprim17ROCPRIM_400000_NS6detail17trampoline_kernelINS0_14default_configENS1_21merge_config_selectorINS0_5tupleIJxxEEENS0_10empty_typeEEEZNS1_10merge_implIS3_NS0_12zip_iteratorINS5_IJN6thrust23THRUST_200600_302600_NS6detail15normal_iteratorINSC_10device_ptrIKxEEEESI_EEEEESK_NSA_INS5_IJNSE_INSF_IxEEEESM_EEEEEPS7_SP_SP_NSC_11hip_rocprim7__merge17predicate_wrapperIxxNSC_4lessIxEEEEEE10hipError_tPvRmT0_T1_T2_T3_T4_T5_mmT6_P12ihipStream_tbEUlT_E_NS1_11comp_targetILNS1_3genE10ELNS1_11target_archE1200ELNS1_3gpuE4ELNS1_3repE0EEENS1_30default_config_static_selectorELNS0_4arch9wavefront6targetE0EEEvS10_,@function
_ZN7rocprim17ROCPRIM_400000_NS6detail17trampoline_kernelINS0_14default_configENS1_21merge_config_selectorINS0_5tupleIJxxEEENS0_10empty_typeEEEZNS1_10merge_implIS3_NS0_12zip_iteratorINS5_IJN6thrust23THRUST_200600_302600_NS6detail15normal_iteratorINSC_10device_ptrIKxEEEESI_EEEEESK_NSA_INS5_IJNSE_INSF_IxEEEESM_EEEEEPS7_SP_SP_NSC_11hip_rocprim7__merge17predicate_wrapperIxxNSC_4lessIxEEEEEE10hipError_tPvRmT0_T1_T2_T3_T4_T5_mmT6_P12ihipStream_tbEUlT_E_NS1_11comp_targetILNS1_3genE10ELNS1_11target_archE1200ELNS1_3gpuE4ELNS1_3repE0EEENS1_30default_config_static_selectorELNS0_4arch9wavefront6targetE0EEEvS10_: ; @_ZN7rocprim17ROCPRIM_400000_NS6detail17trampoline_kernelINS0_14default_configENS1_21merge_config_selectorINS0_5tupleIJxxEEENS0_10empty_typeEEEZNS1_10merge_implIS3_NS0_12zip_iteratorINS5_IJN6thrust23THRUST_200600_302600_NS6detail15normal_iteratorINSC_10device_ptrIKxEEEESI_EEEEESK_NSA_INS5_IJNSE_INSF_IxEEEESM_EEEEEPS7_SP_SP_NSC_11hip_rocprim7__merge17predicate_wrapperIxxNSC_4lessIxEEEEEE10hipError_tPvRmT0_T1_T2_T3_T4_T5_mmT6_P12ihipStream_tbEUlT_E_NS1_11comp_targetILNS1_3genE10ELNS1_11target_archE1200ELNS1_3gpuE4ELNS1_3repE0EEENS1_30default_config_static_selectorELNS0_4arch9wavefront6targetE0EEEvS10_
; %bb.0:
	.section	.rodata,"a",@progbits
	.p2align	6, 0x0
	.amdhsa_kernel _ZN7rocprim17ROCPRIM_400000_NS6detail17trampoline_kernelINS0_14default_configENS1_21merge_config_selectorINS0_5tupleIJxxEEENS0_10empty_typeEEEZNS1_10merge_implIS3_NS0_12zip_iteratorINS5_IJN6thrust23THRUST_200600_302600_NS6detail15normal_iteratorINSC_10device_ptrIKxEEEESI_EEEEESK_NSA_INS5_IJNSE_INSF_IxEEEESM_EEEEEPS7_SP_SP_NSC_11hip_rocprim7__merge17predicate_wrapperIxxNSC_4lessIxEEEEEE10hipError_tPvRmT0_T1_T2_T3_T4_T5_mmT6_P12ihipStream_tbEUlT_E_NS1_11comp_targetILNS1_3genE10ELNS1_11target_archE1200ELNS1_3gpuE4ELNS1_3repE0EEENS1_30default_config_static_selectorELNS0_4arch9wavefront6targetE0EEEvS10_
		.amdhsa_group_segment_fixed_size 0
		.amdhsa_private_segment_fixed_size 0
		.amdhsa_kernarg_size 64
		.amdhsa_user_sgpr_count 2
		.amdhsa_user_sgpr_dispatch_ptr 0
		.amdhsa_user_sgpr_queue_ptr 0
		.amdhsa_user_sgpr_kernarg_segment_ptr 1
		.amdhsa_user_sgpr_dispatch_id 0
		.amdhsa_user_sgpr_kernarg_preload_length 0
		.amdhsa_user_sgpr_kernarg_preload_offset 0
		.amdhsa_user_sgpr_private_segment_size 0
		.amdhsa_wavefront_size32 1
		.amdhsa_uses_dynamic_stack 0
		.amdhsa_enable_private_segment 0
		.amdhsa_system_sgpr_workgroup_id_x 1
		.amdhsa_system_sgpr_workgroup_id_y 0
		.amdhsa_system_sgpr_workgroup_id_z 0
		.amdhsa_system_sgpr_workgroup_info 0
		.amdhsa_system_vgpr_workitem_id 0
		.amdhsa_next_free_vgpr 1
		.amdhsa_next_free_sgpr 1
		.amdhsa_named_barrier_count 0
		.amdhsa_reserve_vcc 0
		.amdhsa_float_round_mode_32 0
		.amdhsa_float_round_mode_16_64 0
		.amdhsa_float_denorm_mode_32 3
		.amdhsa_float_denorm_mode_16_64 3
		.amdhsa_fp16_overflow 0
		.amdhsa_memory_ordered 1
		.amdhsa_forward_progress 1
		.amdhsa_inst_pref_size 0
		.amdhsa_round_robin_scheduling 0
		.amdhsa_exception_fp_ieee_invalid_op 0
		.amdhsa_exception_fp_denorm_src 0
		.amdhsa_exception_fp_ieee_div_zero 0
		.amdhsa_exception_fp_ieee_overflow 0
		.amdhsa_exception_fp_ieee_underflow 0
		.amdhsa_exception_fp_ieee_inexact 0
		.amdhsa_exception_int_div_zero 0
	.end_amdhsa_kernel
	.section	.text._ZN7rocprim17ROCPRIM_400000_NS6detail17trampoline_kernelINS0_14default_configENS1_21merge_config_selectorINS0_5tupleIJxxEEENS0_10empty_typeEEEZNS1_10merge_implIS3_NS0_12zip_iteratorINS5_IJN6thrust23THRUST_200600_302600_NS6detail15normal_iteratorINSC_10device_ptrIKxEEEESI_EEEEESK_NSA_INS5_IJNSE_INSF_IxEEEESM_EEEEEPS7_SP_SP_NSC_11hip_rocprim7__merge17predicate_wrapperIxxNSC_4lessIxEEEEEE10hipError_tPvRmT0_T1_T2_T3_T4_T5_mmT6_P12ihipStream_tbEUlT_E_NS1_11comp_targetILNS1_3genE10ELNS1_11target_archE1200ELNS1_3gpuE4ELNS1_3repE0EEENS1_30default_config_static_selectorELNS0_4arch9wavefront6targetE0EEEvS10_,"axG",@progbits,_ZN7rocprim17ROCPRIM_400000_NS6detail17trampoline_kernelINS0_14default_configENS1_21merge_config_selectorINS0_5tupleIJxxEEENS0_10empty_typeEEEZNS1_10merge_implIS3_NS0_12zip_iteratorINS5_IJN6thrust23THRUST_200600_302600_NS6detail15normal_iteratorINSC_10device_ptrIKxEEEESI_EEEEESK_NSA_INS5_IJNSE_INSF_IxEEEESM_EEEEEPS7_SP_SP_NSC_11hip_rocprim7__merge17predicate_wrapperIxxNSC_4lessIxEEEEEE10hipError_tPvRmT0_T1_T2_T3_T4_T5_mmT6_P12ihipStream_tbEUlT_E_NS1_11comp_targetILNS1_3genE10ELNS1_11target_archE1200ELNS1_3gpuE4ELNS1_3repE0EEENS1_30default_config_static_selectorELNS0_4arch9wavefront6targetE0EEEvS10_,comdat
.Lfunc_end213:
	.size	_ZN7rocprim17ROCPRIM_400000_NS6detail17trampoline_kernelINS0_14default_configENS1_21merge_config_selectorINS0_5tupleIJxxEEENS0_10empty_typeEEEZNS1_10merge_implIS3_NS0_12zip_iteratorINS5_IJN6thrust23THRUST_200600_302600_NS6detail15normal_iteratorINSC_10device_ptrIKxEEEESI_EEEEESK_NSA_INS5_IJNSE_INSF_IxEEEESM_EEEEEPS7_SP_SP_NSC_11hip_rocprim7__merge17predicate_wrapperIxxNSC_4lessIxEEEEEE10hipError_tPvRmT0_T1_T2_T3_T4_T5_mmT6_P12ihipStream_tbEUlT_E_NS1_11comp_targetILNS1_3genE10ELNS1_11target_archE1200ELNS1_3gpuE4ELNS1_3repE0EEENS1_30default_config_static_selectorELNS0_4arch9wavefront6targetE0EEEvS10_, .Lfunc_end213-_ZN7rocprim17ROCPRIM_400000_NS6detail17trampoline_kernelINS0_14default_configENS1_21merge_config_selectorINS0_5tupleIJxxEEENS0_10empty_typeEEEZNS1_10merge_implIS3_NS0_12zip_iteratorINS5_IJN6thrust23THRUST_200600_302600_NS6detail15normal_iteratorINSC_10device_ptrIKxEEEESI_EEEEESK_NSA_INS5_IJNSE_INSF_IxEEEESM_EEEEEPS7_SP_SP_NSC_11hip_rocprim7__merge17predicate_wrapperIxxNSC_4lessIxEEEEEE10hipError_tPvRmT0_T1_T2_T3_T4_T5_mmT6_P12ihipStream_tbEUlT_E_NS1_11comp_targetILNS1_3genE10ELNS1_11target_archE1200ELNS1_3gpuE4ELNS1_3repE0EEENS1_30default_config_static_selectorELNS0_4arch9wavefront6targetE0EEEvS10_
                                        ; -- End function
	.set _ZN7rocprim17ROCPRIM_400000_NS6detail17trampoline_kernelINS0_14default_configENS1_21merge_config_selectorINS0_5tupleIJxxEEENS0_10empty_typeEEEZNS1_10merge_implIS3_NS0_12zip_iteratorINS5_IJN6thrust23THRUST_200600_302600_NS6detail15normal_iteratorINSC_10device_ptrIKxEEEESI_EEEEESK_NSA_INS5_IJNSE_INSF_IxEEEESM_EEEEEPS7_SP_SP_NSC_11hip_rocprim7__merge17predicate_wrapperIxxNSC_4lessIxEEEEEE10hipError_tPvRmT0_T1_T2_T3_T4_T5_mmT6_P12ihipStream_tbEUlT_E_NS1_11comp_targetILNS1_3genE10ELNS1_11target_archE1200ELNS1_3gpuE4ELNS1_3repE0EEENS1_30default_config_static_selectorELNS0_4arch9wavefront6targetE0EEEvS10_.num_vgpr, 0
	.set _ZN7rocprim17ROCPRIM_400000_NS6detail17trampoline_kernelINS0_14default_configENS1_21merge_config_selectorINS0_5tupleIJxxEEENS0_10empty_typeEEEZNS1_10merge_implIS3_NS0_12zip_iteratorINS5_IJN6thrust23THRUST_200600_302600_NS6detail15normal_iteratorINSC_10device_ptrIKxEEEESI_EEEEESK_NSA_INS5_IJNSE_INSF_IxEEEESM_EEEEEPS7_SP_SP_NSC_11hip_rocprim7__merge17predicate_wrapperIxxNSC_4lessIxEEEEEE10hipError_tPvRmT0_T1_T2_T3_T4_T5_mmT6_P12ihipStream_tbEUlT_E_NS1_11comp_targetILNS1_3genE10ELNS1_11target_archE1200ELNS1_3gpuE4ELNS1_3repE0EEENS1_30default_config_static_selectorELNS0_4arch9wavefront6targetE0EEEvS10_.num_agpr, 0
	.set _ZN7rocprim17ROCPRIM_400000_NS6detail17trampoline_kernelINS0_14default_configENS1_21merge_config_selectorINS0_5tupleIJxxEEENS0_10empty_typeEEEZNS1_10merge_implIS3_NS0_12zip_iteratorINS5_IJN6thrust23THRUST_200600_302600_NS6detail15normal_iteratorINSC_10device_ptrIKxEEEESI_EEEEESK_NSA_INS5_IJNSE_INSF_IxEEEESM_EEEEEPS7_SP_SP_NSC_11hip_rocprim7__merge17predicate_wrapperIxxNSC_4lessIxEEEEEE10hipError_tPvRmT0_T1_T2_T3_T4_T5_mmT6_P12ihipStream_tbEUlT_E_NS1_11comp_targetILNS1_3genE10ELNS1_11target_archE1200ELNS1_3gpuE4ELNS1_3repE0EEENS1_30default_config_static_selectorELNS0_4arch9wavefront6targetE0EEEvS10_.numbered_sgpr, 0
	.set _ZN7rocprim17ROCPRIM_400000_NS6detail17trampoline_kernelINS0_14default_configENS1_21merge_config_selectorINS0_5tupleIJxxEEENS0_10empty_typeEEEZNS1_10merge_implIS3_NS0_12zip_iteratorINS5_IJN6thrust23THRUST_200600_302600_NS6detail15normal_iteratorINSC_10device_ptrIKxEEEESI_EEEEESK_NSA_INS5_IJNSE_INSF_IxEEEESM_EEEEEPS7_SP_SP_NSC_11hip_rocprim7__merge17predicate_wrapperIxxNSC_4lessIxEEEEEE10hipError_tPvRmT0_T1_T2_T3_T4_T5_mmT6_P12ihipStream_tbEUlT_E_NS1_11comp_targetILNS1_3genE10ELNS1_11target_archE1200ELNS1_3gpuE4ELNS1_3repE0EEENS1_30default_config_static_selectorELNS0_4arch9wavefront6targetE0EEEvS10_.num_named_barrier, 0
	.set _ZN7rocprim17ROCPRIM_400000_NS6detail17trampoline_kernelINS0_14default_configENS1_21merge_config_selectorINS0_5tupleIJxxEEENS0_10empty_typeEEEZNS1_10merge_implIS3_NS0_12zip_iteratorINS5_IJN6thrust23THRUST_200600_302600_NS6detail15normal_iteratorINSC_10device_ptrIKxEEEESI_EEEEESK_NSA_INS5_IJNSE_INSF_IxEEEESM_EEEEEPS7_SP_SP_NSC_11hip_rocprim7__merge17predicate_wrapperIxxNSC_4lessIxEEEEEE10hipError_tPvRmT0_T1_T2_T3_T4_T5_mmT6_P12ihipStream_tbEUlT_E_NS1_11comp_targetILNS1_3genE10ELNS1_11target_archE1200ELNS1_3gpuE4ELNS1_3repE0EEENS1_30default_config_static_selectorELNS0_4arch9wavefront6targetE0EEEvS10_.private_seg_size, 0
	.set _ZN7rocprim17ROCPRIM_400000_NS6detail17trampoline_kernelINS0_14default_configENS1_21merge_config_selectorINS0_5tupleIJxxEEENS0_10empty_typeEEEZNS1_10merge_implIS3_NS0_12zip_iteratorINS5_IJN6thrust23THRUST_200600_302600_NS6detail15normal_iteratorINSC_10device_ptrIKxEEEESI_EEEEESK_NSA_INS5_IJNSE_INSF_IxEEEESM_EEEEEPS7_SP_SP_NSC_11hip_rocprim7__merge17predicate_wrapperIxxNSC_4lessIxEEEEEE10hipError_tPvRmT0_T1_T2_T3_T4_T5_mmT6_P12ihipStream_tbEUlT_E_NS1_11comp_targetILNS1_3genE10ELNS1_11target_archE1200ELNS1_3gpuE4ELNS1_3repE0EEENS1_30default_config_static_selectorELNS0_4arch9wavefront6targetE0EEEvS10_.uses_vcc, 0
	.set _ZN7rocprim17ROCPRIM_400000_NS6detail17trampoline_kernelINS0_14default_configENS1_21merge_config_selectorINS0_5tupleIJxxEEENS0_10empty_typeEEEZNS1_10merge_implIS3_NS0_12zip_iteratorINS5_IJN6thrust23THRUST_200600_302600_NS6detail15normal_iteratorINSC_10device_ptrIKxEEEESI_EEEEESK_NSA_INS5_IJNSE_INSF_IxEEEESM_EEEEEPS7_SP_SP_NSC_11hip_rocprim7__merge17predicate_wrapperIxxNSC_4lessIxEEEEEE10hipError_tPvRmT0_T1_T2_T3_T4_T5_mmT6_P12ihipStream_tbEUlT_E_NS1_11comp_targetILNS1_3genE10ELNS1_11target_archE1200ELNS1_3gpuE4ELNS1_3repE0EEENS1_30default_config_static_selectorELNS0_4arch9wavefront6targetE0EEEvS10_.uses_flat_scratch, 0
	.set _ZN7rocprim17ROCPRIM_400000_NS6detail17trampoline_kernelINS0_14default_configENS1_21merge_config_selectorINS0_5tupleIJxxEEENS0_10empty_typeEEEZNS1_10merge_implIS3_NS0_12zip_iteratorINS5_IJN6thrust23THRUST_200600_302600_NS6detail15normal_iteratorINSC_10device_ptrIKxEEEESI_EEEEESK_NSA_INS5_IJNSE_INSF_IxEEEESM_EEEEEPS7_SP_SP_NSC_11hip_rocprim7__merge17predicate_wrapperIxxNSC_4lessIxEEEEEE10hipError_tPvRmT0_T1_T2_T3_T4_T5_mmT6_P12ihipStream_tbEUlT_E_NS1_11comp_targetILNS1_3genE10ELNS1_11target_archE1200ELNS1_3gpuE4ELNS1_3repE0EEENS1_30default_config_static_selectorELNS0_4arch9wavefront6targetE0EEEvS10_.has_dyn_sized_stack, 0
	.set _ZN7rocprim17ROCPRIM_400000_NS6detail17trampoline_kernelINS0_14default_configENS1_21merge_config_selectorINS0_5tupleIJxxEEENS0_10empty_typeEEEZNS1_10merge_implIS3_NS0_12zip_iteratorINS5_IJN6thrust23THRUST_200600_302600_NS6detail15normal_iteratorINSC_10device_ptrIKxEEEESI_EEEEESK_NSA_INS5_IJNSE_INSF_IxEEEESM_EEEEEPS7_SP_SP_NSC_11hip_rocprim7__merge17predicate_wrapperIxxNSC_4lessIxEEEEEE10hipError_tPvRmT0_T1_T2_T3_T4_T5_mmT6_P12ihipStream_tbEUlT_E_NS1_11comp_targetILNS1_3genE10ELNS1_11target_archE1200ELNS1_3gpuE4ELNS1_3repE0EEENS1_30default_config_static_selectorELNS0_4arch9wavefront6targetE0EEEvS10_.has_recursion, 0
	.set _ZN7rocprim17ROCPRIM_400000_NS6detail17trampoline_kernelINS0_14default_configENS1_21merge_config_selectorINS0_5tupleIJxxEEENS0_10empty_typeEEEZNS1_10merge_implIS3_NS0_12zip_iteratorINS5_IJN6thrust23THRUST_200600_302600_NS6detail15normal_iteratorINSC_10device_ptrIKxEEEESI_EEEEESK_NSA_INS5_IJNSE_INSF_IxEEEESM_EEEEEPS7_SP_SP_NSC_11hip_rocprim7__merge17predicate_wrapperIxxNSC_4lessIxEEEEEE10hipError_tPvRmT0_T1_T2_T3_T4_T5_mmT6_P12ihipStream_tbEUlT_E_NS1_11comp_targetILNS1_3genE10ELNS1_11target_archE1200ELNS1_3gpuE4ELNS1_3repE0EEENS1_30default_config_static_selectorELNS0_4arch9wavefront6targetE0EEEvS10_.has_indirect_call, 0
	.section	.AMDGPU.csdata,"",@progbits
; Kernel info:
; codeLenInByte = 0
; TotalNumSgprs: 0
; NumVgprs: 0
; ScratchSize: 0
; MemoryBound: 0
; FloatMode: 240
; IeeeMode: 1
; LDSByteSize: 0 bytes/workgroup (compile time only)
; SGPRBlocks: 0
; VGPRBlocks: 0
; NumSGPRsForWavesPerEU: 1
; NumVGPRsForWavesPerEU: 1
; NamedBarCnt: 0
; Occupancy: 16
; WaveLimiterHint : 0
; COMPUTE_PGM_RSRC2:SCRATCH_EN: 0
; COMPUTE_PGM_RSRC2:USER_SGPR: 2
; COMPUTE_PGM_RSRC2:TRAP_HANDLER: 0
; COMPUTE_PGM_RSRC2:TGID_X_EN: 1
; COMPUTE_PGM_RSRC2:TGID_Y_EN: 0
; COMPUTE_PGM_RSRC2:TGID_Z_EN: 0
; COMPUTE_PGM_RSRC2:TIDIG_COMP_CNT: 0
	.section	.text._ZN7rocprim17ROCPRIM_400000_NS6detail17trampoline_kernelINS0_14default_configENS1_21merge_config_selectorINS0_5tupleIJxxEEENS0_10empty_typeEEEZNS1_10merge_implIS3_NS0_12zip_iteratorINS5_IJN6thrust23THRUST_200600_302600_NS6detail15normal_iteratorINSC_10device_ptrIKxEEEESI_EEEEESK_NSA_INS5_IJNSE_INSF_IxEEEESM_EEEEEPS7_SP_SP_NSC_11hip_rocprim7__merge17predicate_wrapperIxxNSC_4lessIxEEEEEE10hipError_tPvRmT0_T1_T2_T3_T4_T5_mmT6_P12ihipStream_tbEUlT_E_NS1_11comp_targetILNS1_3genE9ELNS1_11target_archE1100ELNS1_3gpuE3ELNS1_3repE0EEENS1_30default_config_static_selectorELNS0_4arch9wavefront6targetE0EEEvS10_,"axG",@progbits,_ZN7rocprim17ROCPRIM_400000_NS6detail17trampoline_kernelINS0_14default_configENS1_21merge_config_selectorINS0_5tupleIJxxEEENS0_10empty_typeEEEZNS1_10merge_implIS3_NS0_12zip_iteratorINS5_IJN6thrust23THRUST_200600_302600_NS6detail15normal_iteratorINSC_10device_ptrIKxEEEESI_EEEEESK_NSA_INS5_IJNSE_INSF_IxEEEESM_EEEEEPS7_SP_SP_NSC_11hip_rocprim7__merge17predicate_wrapperIxxNSC_4lessIxEEEEEE10hipError_tPvRmT0_T1_T2_T3_T4_T5_mmT6_P12ihipStream_tbEUlT_E_NS1_11comp_targetILNS1_3genE9ELNS1_11target_archE1100ELNS1_3gpuE3ELNS1_3repE0EEENS1_30default_config_static_selectorELNS0_4arch9wavefront6targetE0EEEvS10_,comdat
	.protected	_ZN7rocprim17ROCPRIM_400000_NS6detail17trampoline_kernelINS0_14default_configENS1_21merge_config_selectorINS0_5tupleIJxxEEENS0_10empty_typeEEEZNS1_10merge_implIS3_NS0_12zip_iteratorINS5_IJN6thrust23THRUST_200600_302600_NS6detail15normal_iteratorINSC_10device_ptrIKxEEEESI_EEEEESK_NSA_INS5_IJNSE_INSF_IxEEEESM_EEEEEPS7_SP_SP_NSC_11hip_rocprim7__merge17predicate_wrapperIxxNSC_4lessIxEEEEEE10hipError_tPvRmT0_T1_T2_T3_T4_T5_mmT6_P12ihipStream_tbEUlT_E_NS1_11comp_targetILNS1_3genE9ELNS1_11target_archE1100ELNS1_3gpuE3ELNS1_3repE0EEENS1_30default_config_static_selectorELNS0_4arch9wavefront6targetE0EEEvS10_ ; -- Begin function _ZN7rocprim17ROCPRIM_400000_NS6detail17trampoline_kernelINS0_14default_configENS1_21merge_config_selectorINS0_5tupleIJxxEEENS0_10empty_typeEEEZNS1_10merge_implIS3_NS0_12zip_iteratorINS5_IJN6thrust23THRUST_200600_302600_NS6detail15normal_iteratorINSC_10device_ptrIKxEEEESI_EEEEESK_NSA_INS5_IJNSE_INSF_IxEEEESM_EEEEEPS7_SP_SP_NSC_11hip_rocprim7__merge17predicate_wrapperIxxNSC_4lessIxEEEEEE10hipError_tPvRmT0_T1_T2_T3_T4_T5_mmT6_P12ihipStream_tbEUlT_E_NS1_11comp_targetILNS1_3genE9ELNS1_11target_archE1100ELNS1_3gpuE3ELNS1_3repE0EEENS1_30default_config_static_selectorELNS0_4arch9wavefront6targetE0EEEvS10_
	.globl	_ZN7rocprim17ROCPRIM_400000_NS6detail17trampoline_kernelINS0_14default_configENS1_21merge_config_selectorINS0_5tupleIJxxEEENS0_10empty_typeEEEZNS1_10merge_implIS3_NS0_12zip_iteratorINS5_IJN6thrust23THRUST_200600_302600_NS6detail15normal_iteratorINSC_10device_ptrIKxEEEESI_EEEEESK_NSA_INS5_IJNSE_INSF_IxEEEESM_EEEEEPS7_SP_SP_NSC_11hip_rocprim7__merge17predicate_wrapperIxxNSC_4lessIxEEEEEE10hipError_tPvRmT0_T1_T2_T3_T4_T5_mmT6_P12ihipStream_tbEUlT_E_NS1_11comp_targetILNS1_3genE9ELNS1_11target_archE1100ELNS1_3gpuE3ELNS1_3repE0EEENS1_30default_config_static_selectorELNS0_4arch9wavefront6targetE0EEEvS10_
	.p2align	8
	.type	_ZN7rocprim17ROCPRIM_400000_NS6detail17trampoline_kernelINS0_14default_configENS1_21merge_config_selectorINS0_5tupleIJxxEEENS0_10empty_typeEEEZNS1_10merge_implIS3_NS0_12zip_iteratorINS5_IJN6thrust23THRUST_200600_302600_NS6detail15normal_iteratorINSC_10device_ptrIKxEEEESI_EEEEESK_NSA_INS5_IJNSE_INSF_IxEEEESM_EEEEEPS7_SP_SP_NSC_11hip_rocprim7__merge17predicate_wrapperIxxNSC_4lessIxEEEEEE10hipError_tPvRmT0_T1_T2_T3_T4_T5_mmT6_P12ihipStream_tbEUlT_E_NS1_11comp_targetILNS1_3genE9ELNS1_11target_archE1100ELNS1_3gpuE3ELNS1_3repE0EEENS1_30default_config_static_selectorELNS0_4arch9wavefront6targetE0EEEvS10_,@function
_ZN7rocprim17ROCPRIM_400000_NS6detail17trampoline_kernelINS0_14default_configENS1_21merge_config_selectorINS0_5tupleIJxxEEENS0_10empty_typeEEEZNS1_10merge_implIS3_NS0_12zip_iteratorINS5_IJN6thrust23THRUST_200600_302600_NS6detail15normal_iteratorINSC_10device_ptrIKxEEEESI_EEEEESK_NSA_INS5_IJNSE_INSF_IxEEEESM_EEEEEPS7_SP_SP_NSC_11hip_rocprim7__merge17predicate_wrapperIxxNSC_4lessIxEEEEEE10hipError_tPvRmT0_T1_T2_T3_T4_T5_mmT6_P12ihipStream_tbEUlT_E_NS1_11comp_targetILNS1_3genE9ELNS1_11target_archE1100ELNS1_3gpuE3ELNS1_3repE0EEENS1_30default_config_static_selectorELNS0_4arch9wavefront6targetE0EEEvS10_: ; @_ZN7rocprim17ROCPRIM_400000_NS6detail17trampoline_kernelINS0_14default_configENS1_21merge_config_selectorINS0_5tupleIJxxEEENS0_10empty_typeEEEZNS1_10merge_implIS3_NS0_12zip_iteratorINS5_IJN6thrust23THRUST_200600_302600_NS6detail15normal_iteratorINSC_10device_ptrIKxEEEESI_EEEEESK_NSA_INS5_IJNSE_INSF_IxEEEESM_EEEEEPS7_SP_SP_NSC_11hip_rocprim7__merge17predicate_wrapperIxxNSC_4lessIxEEEEEE10hipError_tPvRmT0_T1_T2_T3_T4_T5_mmT6_P12ihipStream_tbEUlT_E_NS1_11comp_targetILNS1_3genE9ELNS1_11target_archE1100ELNS1_3gpuE3ELNS1_3repE0EEENS1_30default_config_static_selectorELNS0_4arch9wavefront6targetE0EEEvS10_
; %bb.0:
	.section	.rodata,"a",@progbits
	.p2align	6, 0x0
	.amdhsa_kernel _ZN7rocprim17ROCPRIM_400000_NS6detail17trampoline_kernelINS0_14default_configENS1_21merge_config_selectorINS0_5tupleIJxxEEENS0_10empty_typeEEEZNS1_10merge_implIS3_NS0_12zip_iteratorINS5_IJN6thrust23THRUST_200600_302600_NS6detail15normal_iteratorINSC_10device_ptrIKxEEEESI_EEEEESK_NSA_INS5_IJNSE_INSF_IxEEEESM_EEEEEPS7_SP_SP_NSC_11hip_rocprim7__merge17predicate_wrapperIxxNSC_4lessIxEEEEEE10hipError_tPvRmT0_T1_T2_T3_T4_T5_mmT6_P12ihipStream_tbEUlT_E_NS1_11comp_targetILNS1_3genE9ELNS1_11target_archE1100ELNS1_3gpuE3ELNS1_3repE0EEENS1_30default_config_static_selectorELNS0_4arch9wavefront6targetE0EEEvS10_
		.amdhsa_group_segment_fixed_size 0
		.amdhsa_private_segment_fixed_size 0
		.amdhsa_kernarg_size 64
		.amdhsa_user_sgpr_count 2
		.amdhsa_user_sgpr_dispatch_ptr 0
		.amdhsa_user_sgpr_queue_ptr 0
		.amdhsa_user_sgpr_kernarg_segment_ptr 1
		.amdhsa_user_sgpr_dispatch_id 0
		.amdhsa_user_sgpr_kernarg_preload_length 0
		.amdhsa_user_sgpr_kernarg_preload_offset 0
		.amdhsa_user_sgpr_private_segment_size 0
		.amdhsa_wavefront_size32 1
		.amdhsa_uses_dynamic_stack 0
		.amdhsa_enable_private_segment 0
		.amdhsa_system_sgpr_workgroup_id_x 1
		.amdhsa_system_sgpr_workgroup_id_y 0
		.amdhsa_system_sgpr_workgroup_id_z 0
		.amdhsa_system_sgpr_workgroup_info 0
		.amdhsa_system_vgpr_workitem_id 0
		.amdhsa_next_free_vgpr 1
		.amdhsa_next_free_sgpr 1
		.amdhsa_named_barrier_count 0
		.amdhsa_reserve_vcc 0
		.amdhsa_float_round_mode_32 0
		.amdhsa_float_round_mode_16_64 0
		.amdhsa_float_denorm_mode_32 3
		.amdhsa_float_denorm_mode_16_64 3
		.amdhsa_fp16_overflow 0
		.amdhsa_memory_ordered 1
		.amdhsa_forward_progress 1
		.amdhsa_inst_pref_size 0
		.amdhsa_round_robin_scheduling 0
		.amdhsa_exception_fp_ieee_invalid_op 0
		.amdhsa_exception_fp_denorm_src 0
		.amdhsa_exception_fp_ieee_div_zero 0
		.amdhsa_exception_fp_ieee_overflow 0
		.amdhsa_exception_fp_ieee_underflow 0
		.amdhsa_exception_fp_ieee_inexact 0
		.amdhsa_exception_int_div_zero 0
	.end_amdhsa_kernel
	.section	.text._ZN7rocprim17ROCPRIM_400000_NS6detail17trampoline_kernelINS0_14default_configENS1_21merge_config_selectorINS0_5tupleIJxxEEENS0_10empty_typeEEEZNS1_10merge_implIS3_NS0_12zip_iteratorINS5_IJN6thrust23THRUST_200600_302600_NS6detail15normal_iteratorINSC_10device_ptrIKxEEEESI_EEEEESK_NSA_INS5_IJNSE_INSF_IxEEEESM_EEEEEPS7_SP_SP_NSC_11hip_rocprim7__merge17predicate_wrapperIxxNSC_4lessIxEEEEEE10hipError_tPvRmT0_T1_T2_T3_T4_T5_mmT6_P12ihipStream_tbEUlT_E_NS1_11comp_targetILNS1_3genE9ELNS1_11target_archE1100ELNS1_3gpuE3ELNS1_3repE0EEENS1_30default_config_static_selectorELNS0_4arch9wavefront6targetE0EEEvS10_,"axG",@progbits,_ZN7rocprim17ROCPRIM_400000_NS6detail17trampoline_kernelINS0_14default_configENS1_21merge_config_selectorINS0_5tupleIJxxEEENS0_10empty_typeEEEZNS1_10merge_implIS3_NS0_12zip_iteratorINS5_IJN6thrust23THRUST_200600_302600_NS6detail15normal_iteratorINSC_10device_ptrIKxEEEESI_EEEEESK_NSA_INS5_IJNSE_INSF_IxEEEESM_EEEEEPS7_SP_SP_NSC_11hip_rocprim7__merge17predicate_wrapperIxxNSC_4lessIxEEEEEE10hipError_tPvRmT0_T1_T2_T3_T4_T5_mmT6_P12ihipStream_tbEUlT_E_NS1_11comp_targetILNS1_3genE9ELNS1_11target_archE1100ELNS1_3gpuE3ELNS1_3repE0EEENS1_30default_config_static_selectorELNS0_4arch9wavefront6targetE0EEEvS10_,comdat
.Lfunc_end214:
	.size	_ZN7rocprim17ROCPRIM_400000_NS6detail17trampoline_kernelINS0_14default_configENS1_21merge_config_selectorINS0_5tupleIJxxEEENS0_10empty_typeEEEZNS1_10merge_implIS3_NS0_12zip_iteratorINS5_IJN6thrust23THRUST_200600_302600_NS6detail15normal_iteratorINSC_10device_ptrIKxEEEESI_EEEEESK_NSA_INS5_IJNSE_INSF_IxEEEESM_EEEEEPS7_SP_SP_NSC_11hip_rocprim7__merge17predicate_wrapperIxxNSC_4lessIxEEEEEE10hipError_tPvRmT0_T1_T2_T3_T4_T5_mmT6_P12ihipStream_tbEUlT_E_NS1_11comp_targetILNS1_3genE9ELNS1_11target_archE1100ELNS1_3gpuE3ELNS1_3repE0EEENS1_30default_config_static_selectorELNS0_4arch9wavefront6targetE0EEEvS10_, .Lfunc_end214-_ZN7rocprim17ROCPRIM_400000_NS6detail17trampoline_kernelINS0_14default_configENS1_21merge_config_selectorINS0_5tupleIJxxEEENS0_10empty_typeEEEZNS1_10merge_implIS3_NS0_12zip_iteratorINS5_IJN6thrust23THRUST_200600_302600_NS6detail15normal_iteratorINSC_10device_ptrIKxEEEESI_EEEEESK_NSA_INS5_IJNSE_INSF_IxEEEESM_EEEEEPS7_SP_SP_NSC_11hip_rocprim7__merge17predicate_wrapperIxxNSC_4lessIxEEEEEE10hipError_tPvRmT0_T1_T2_T3_T4_T5_mmT6_P12ihipStream_tbEUlT_E_NS1_11comp_targetILNS1_3genE9ELNS1_11target_archE1100ELNS1_3gpuE3ELNS1_3repE0EEENS1_30default_config_static_selectorELNS0_4arch9wavefront6targetE0EEEvS10_
                                        ; -- End function
	.set _ZN7rocprim17ROCPRIM_400000_NS6detail17trampoline_kernelINS0_14default_configENS1_21merge_config_selectorINS0_5tupleIJxxEEENS0_10empty_typeEEEZNS1_10merge_implIS3_NS0_12zip_iteratorINS5_IJN6thrust23THRUST_200600_302600_NS6detail15normal_iteratorINSC_10device_ptrIKxEEEESI_EEEEESK_NSA_INS5_IJNSE_INSF_IxEEEESM_EEEEEPS7_SP_SP_NSC_11hip_rocprim7__merge17predicate_wrapperIxxNSC_4lessIxEEEEEE10hipError_tPvRmT0_T1_T2_T3_T4_T5_mmT6_P12ihipStream_tbEUlT_E_NS1_11comp_targetILNS1_3genE9ELNS1_11target_archE1100ELNS1_3gpuE3ELNS1_3repE0EEENS1_30default_config_static_selectorELNS0_4arch9wavefront6targetE0EEEvS10_.num_vgpr, 0
	.set _ZN7rocprim17ROCPRIM_400000_NS6detail17trampoline_kernelINS0_14default_configENS1_21merge_config_selectorINS0_5tupleIJxxEEENS0_10empty_typeEEEZNS1_10merge_implIS3_NS0_12zip_iteratorINS5_IJN6thrust23THRUST_200600_302600_NS6detail15normal_iteratorINSC_10device_ptrIKxEEEESI_EEEEESK_NSA_INS5_IJNSE_INSF_IxEEEESM_EEEEEPS7_SP_SP_NSC_11hip_rocprim7__merge17predicate_wrapperIxxNSC_4lessIxEEEEEE10hipError_tPvRmT0_T1_T2_T3_T4_T5_mmT6_P12ihipStream_tbEUlT_E_NS1_11comp_targetILNS1_3genE9ELNS1_11target_archE1100ELNS1_3gpuE3ELNS1_3repE0EEENS1_30default_config_static_selectorELNS0_4arch9wavefront6targetE0EEEvS10_.num_agpr, 0
	.set _ZN7rocprim17ROCPRIM_400000_NS6detail17trampoline_kernelINS0_14default_configENS1_21merge_config_selectorINS0_5tupleIJxxEEENS0_10empty_typeEEEZNS1_10merge_implIS3_NS0_12zip_iteratorINS5_IJN6thrust23THRUST_200600_302600_NS6detail15normal_iteratorINSC_10device_ptrIKxEEEESI_EEEEESK_NSA_INS5_IJNSE_INSF_IxEEEESM_EEEEEPS7_SP_SP_NSC_11hip_rocprim7__merge17predicate_wrapperIxxNSC_4lessIxEEEEEE10hipError_tPvRmT0_T1_T2_T3_T4_T5_mmT6_P12ihipStream_tbEUlT_E_NS1_11comp_targetILNS1_3genE9ELNS1_11target_archE1100ELNS1_3gpuE3ELNS1_3repE0EEENS1_30default_config_static_selectorELNS0_4arch9wavefront6targetE0EEEvS10_.numbered_sgpr, 0
	.set _ZN7rocprim17ROCPRIM_400000_NS6detail17trampoline_kernelINS0_14default_configENS1_21merge_config_selectorINS0_5tupleIJxxEEENS0_10empty_typeEEEZNS1_10merge_implIS3_NS0_12zip_iteratorINS5_IJN6thrust23THRUST_200600_302600_NS6detail15normal_iteratorINSC_10device_ptrIKxEEEESI_EEEEESK_NSA_INS5_IJNSE_INSF_IxEEEESM_EEEEEPS7_SP_SP_NSC_11hip_rocprim7__merge17predicate_wrapperIxxNSC_4lessIxEEEEEE10hipError_tPvRmT0_T1_T2_T3_T4_T5_mmT6_P12ihipStream_tbEUlT_E_NS1_11comp_targetILNS1_3genE9ELNS1_11target_archE1100ELNS1_3gpuE3ELNS1_3repE0EEENS1_30default_config_static_selectorELNS0_4arch9wavefront6targetE0EEEvS10_.num_named_barrier, 0
	.set _ZN7rocprim17ROCPRIM_400000_NS6detail17trampoline_kernelINS0_14default_configENS1_21merge_config_selectorINS0_5tupleIJxxEEENS0_10empty_typeEEEZNS1_10merge_implIS3_NS0_12zip_iteratorINS5_IJN6thrust23THRUST_200600_302600_NS6detail15normal_iteratorINSC_10device_ptrIKxEEEESI_EEEEESK_NSA_INS5_IJNSE_INSF_IxEEEESM_EEEEEPS7_SP_SP_NSC_11hip_rocprim7__merge17predicate_wrapperIxxNSC_4lessIxEEEEEE10hipError_tPvRmT0_T1_T2_T3_T4_T5_mmT6_P12ihipStream_tbEUlT_E_NS1_11comp_targetILNS1_3genE9ELNS1_11target_archE1100ELNS1_3gpuE3ELNS1_3repE0EEENS1_30default_config_static_selectorELNS0_4arch9wavefront6targetE0EEEvS10_.private_seg_size, 0
	.set _ZN7rocprim17ROCPRIM_400000_NS6detail17trampoline_kernelINS0_14default_configENS1_21merge_config_selectorINS0_5tupleIJxxEEENS0_10empty_typeEEEZNS1_10merge_implIS3_NS0_12zip_iteratorINS5_IJN6thrust23THRUST_200600_302600_NS6detail15normal_iteratorINSC_10device_ptrIKxEEEESI_EEEEESK_NSA_INS5_IJNSE_INSF_IxEEEESM_EEEEEPS7_SP_SP_NSC_11hip_rocprim7__merge17predicate_wrapperIxxNSC_4lessIxEEEEEE10hipError_tPvRmT0_T1_T2_T3_T4_T5_mmT6_P12ihipStream_tbEUlT_E_NS1_11comp_targetILNS1_3genE9ELNS1_11target_archE1100ELNS1_3gpuE3ELNS1_3repE0EEENS1_30default_config_static_selectorELNS0_4arch9wavefront6targetE0EEEvS10_.uses_vcc, 0
	.set _ZN7rocprim17ROCPRIM_400000_NS6detail17trampoline_kernelINS0_14default_configENS1_21merge_config_selectorINS0_5tupleIJxxEEENS0_10empty_typeEEEZNS1_10merge_implIS3_NS0_12zip_iteratorINS5_IJN6thrust23THRUST_200600_302600_NS6detail15normal_iteratorINSC_10device_ptrIKxEEEESI_EEEEESK_NSA_INS5_IJNSE_INSF_IxEEEESM_EEEEEPS7_SP_SP_NSC_11hip_rocprim7__merge17predicate_wrapperIxxNSC_4lessIxEEEEEE10hipError_tPvRmT0_T1_T2_T3_T4_T5_mmT6_P12ihipStream_tbEUlT_E_NS1_11comp_targetILNS1_3genE9ELNS1_11target_archE1100ELNS1_3gpuE3ELNS1_3repE0EEENS1_30default_config_static_selectorELNS0_4arch9wavefront6targetE0EEEvS10_.uses_flat_scratch, 0
	.set _ZN7rocprim17ROCPRIM_400000_NS6detail17trampoline_kernelINS0_14default_configENS1_21merge_config_selectorINS0_5tupleIJxxEEENS0_10empty_typeEEEZNS1_10merge_implIS3_NS0_12zip_iteratorINS5_IJN6thrust23THRUST_200600_302600_NS6detail15normal_iteratorINSC_10device_ptrIKxEEEESI_EEEEESK_NSA_INS5_IJNSE_INSF_IxEEEESM_EEEEEPS7_SP_SP_NSC_11hip_rocprim7__merge17predicate_wrapperIxxNSC_4lessIxEEEEEE10hipError_tPvRmT0_T1_T2_T3_T4_T5_mmT6_P12ihipStream_tbEUlT_E_NS1_11comp_targetILNS1_3genE9ELNS1_11target_archE1100ELNS1_3gpuE3ELNS1_3repE0EEENS1_30default_config_static_selectorELNS0_4arch9wavefront6targetE0EEEvS10_.has_dyn_sized_stack, 0
	.set _ZN7rocprim17ROCPRIM_400000_NS6detail17trampoline_kernelINS0_14default_configENS1_21merge_config_selectorINS0_5tupleIJxxEEENS0_10empty_typeEEEZNS1_10merge_implIS3_NS0_12zip_iteratorINS5_IJN6thrust23THRUST_200600_302600_NS6detail15normal_iteratorINSC_10device_ptrIKxEEEESI_EEEEESK_NSA_INS5_IJNSE_INSF_IxEEEESM_EEEEEPS7_SP_SP_NSC_11hip_rocprim7__merge17predicate_wrapperIxxNSC_4lessIxEEEEEE10hipError_tPvRmT0_T1_T2_T3_T4_T5_mmT6_P12ihipStream_tbEUlT_E_NS1_11comp_targetILNS1_3genE9ELNS1_11target_archE1100ELNS1_3gpuE3ELNS1_3repE0EEENS1_30default_config_static_selectorELNS0_4arch9wavefront6targetE0EEEvS10_.has_recursion, 0
	.set _ZN7rocprim17ROCPRIM_400000_NS6detail17trampoline_kernelINS0_14default_configENS1_21merge_config_selectorINS0_5tupleIJxxEEENS0_10empty_typeEEEZNS1_10merge_implIS3_NS0_12zip_iteratorINS5_IJN6thrust23THRUST_200600_302600_NS6detail15normal_iteratorINSC_10device_ptrIKxEEEESI_EEEEESK_NSA_INS5_IJNSE_INSF_IxEEEESM_EEEEEPS7_SP_SP_NSC_11hip_rocprim7__merge17predicate_wrapperIxxNSC_4lessIxEEEEEE10hipError_tPvRmT0_T1_T2_T3_T4_T5_mmT6_P12ihipStream_tbEUlT_E_NS1_11comp_targetILNS1_3genE9ELNS1_11target_archE1100ELNS1_3gpuE3ELNS1_3repE0EEENS1_30default_config_static_selectorELNS0_4arch9wavefront6targetE0EEEvS10_.has_indirect_call, 0
	.section	.AMDGPU.csdata,"",@progbits
; Kernel info:
; codeLenInByte = 0
; TotalNumSgprs: 0
; NumVgprs: 0
; ScratchSize: 0
; MemoryBound: 0
; FloatMode: 240
; IeeeMode: 1
; LDSByteSize: 0 bytes/workgroup (compile time only)
; SGPRBlocks: 0
; VGPRBlocks: 0
; NumSGPRsForWavesPerEU: 1
; NumVGPRsForWavesPerEU: 1
; NamedBarCnt: 0
; Occupancy: 16
; WaveLimiterHint : 0
; COMPUTE_PGM_RSRC2:SCRATCH_EN: 0
; COMPUTE_PGM_RSRC2:USER_SGPR: 2
; COMPUTE_PGM_RSRC2:TRAP_HANDLER: 0
; COMPUTE_PGM_RSRC2:TGID_X_EN: 1
; COMPUTE_PGM_RSRC2:TGID_Y_EN: 0
; COMPUTE_PGM_RSRC2:TGID_Z_EN: 0
; COMPUTE_PGM_RSRC2:TIDIG_COMP_CNT: 0
	.section	.text._ZN7rocprim17ROCPRIM_400000_NS6detail17trampoline_kernelINS0_14default_configENS1_21merge_config_selectorINS0_5tupleIJxxEEENS0_10empty_typeEEEZNS1_10merge_implIS3_NS0_12zip_iteratorINS5_IJN6thrust23THRUST_200600_302600_NS6detail15normal_iteratorINSC_10device_ptrIKxEEEESI_EEEEESK_NSA_INS5_IJNSE_INSF_IxEEEESM_EEEEEPS7_SP_SP_NSC_11hip_rocprim7__merge17predicate_wrapperIxxNSC_4lessIxEEEEEE10hipError_tPvRmT0_T1_T2_T3_T4_T5_mmT6_P12ihipStream_tbEUlT_E_NS1_11comp_targetILNS1_3genE8ELNS1_11target_archE1030ELNS1_3gpuE2ELNS1_3repE0EEENS1_30default_config_static_selectorELNS0_4arch9wavefront6targetE0EEEvS10_,"axG",@progbits,_ZN7rocprim17ROCPRIM_400000_NS6detail17trampoline_kernelINS0_14default_configENS1_21merge_config_selectorINS0_5tupleIJxxEEENS0_10empty_typeEEEZNS1_10merge_implIS3_NS0_12zip_iteratorINS5_IJN6thrust23THRUST_200600_302600_NS6detail15normal_iteratorINSC_10device_ptrIKxEEEESI_EEEEESK_NSA_INS5_IJNSE_INSF_IxEEEESM_EEEEEPS7_SP_SP_NSC_11hip_rocprim7__merge17predicate_wrapperIxxNSC_4lessIxEEEEEE10hipError_tPvRmT0_T1_T2_T3_T4_T5_mmT6_P12ihipStream_tbEUlT_E_NS1_11comp_targetILNS1_3genE8ELNS1_11target_archE1030ELNS1_3gpuE2ELNS1_3repE0EEENS1_30default_config_static_selectorELNS0_4arch9wavefront6targetE0EEEvS10_,comdat
	.protected	_ZN7rocprim17ROCPRIM_400000_NS6detail17trampoline_kernelINS0_14default_configENS1_21merge_config_selectorINS0_5tupleIJxxEEENS0_10empty_typeEEEZNS1_10merge_implIS3_NS0_12zip_iteratorINS5_IJN6thrust23THRUST_200600_302600_NS6detail15normal_iteratorINSC_10device_ptrIKxEEEESI_EEEEESK_NSA_INS5_IJNSE_INSF_IxEEEESM_EEEEEPS7_SP_SP_NSC_11hip_rocprim7__merge17predicate_wrapperIxxNSC_4lessIxEEEEEE10hipError_tPvRmT0_T1_T2_T3_T4_T5_mmT6_P12ihipStream_tbEUlT_E_NS1_11comp_targetILNS1_3genE8ELNS1_11target_archE1030ELNS1_3gpuE2ELNS1_3repE0EEENS1_30default_config_static_selectorELNS0_4arch9wavefront6targetE0EEEvS10_ ; -- Begin function _ZN7rocprim17ROCPRIM_400000_NS6detail17trampoline_kernelINS0_14default_configENS1_21merge_config_selectorINS0_5tupleIJxxEEENS0_10empty_typeEEEZNS1_10merge_implIS3_NS0_12zip_iteratorINS5_IJN6thrust23THRUST_200600_302600_NS6detail15normal_iteratorINSC_10device_ptrIKxEEEESI_EEEEESK_NSA_INS5_IJNSE_INSF_IxEEEESM_EEEEEPS7_SP_SP_NSC_11hip_rocprim7__merge17predicate_wrapperIxxNSC_4lessIxEEEEEE10hipError_tPvRmT0_T1_T2_T3_T4_T5_mmT6_P12ihipStream_tbEUlT_E_NS1_11comp_targetILNS1_3genE8ELNS1_11target_archE1030ELNS1_3gpuE2ELNS1_3repE0EEENS1_30default_config_static_selectorELNS0_4arch9wavefront6targetE0EEEvS10_
	.globl	_ZN7rocprim17ROCPRIM_400000_NS6detail17trampoline_kernelINS0_14default_configENS1_21merge_config_selectorINS0_5tupleIJxxEEENS0_10empty_typeEEEZNS1_10merge_implIS3_NS0_12zip_iteratorINS5_IJN6thrust23THRUST_200600_302600_NS6detail15normal_iteratorINSC_10device_ptrIKxEEEESI_EEEEESK_NSA_INS5_IJNSE_INSF_IxEEEESM_EEEEEPS7_SP_SP_NSC_11hip_rocprim7__merge17predicate_wrapperIxxNSC_4lessIxEEEEEE10hipError_tPvRmT0_T1_T2_T3_T4_T5_mmT6_P12ihipStream_tbEUlT_E_NS1_11comp_targetILNS1_3genE8ELNS1_11target_archE1030ELNS1_3gpuE2ELNS1_3repE0EEENS1_30default_config_static_selectorELNS0_4arch9wavefront6targetE0EEEvS10_
	.p2align	8
	.type	_ZN7rocprim17ROCPRIM_400000_NS6detail17trampoline_kernelINS0_14default_configENS1_21merge_config_selectorINS0_5tupleIJxxEEENS0_10empty_typeEEEZNS1_10merge_implIS3_NS0_12zip_iteratorINS5_IJN6thrust23THRUST_200600_302600_NS6detail15normal_iteratorINSC_10device_ptrIKxEEEESI_EEEEESK_NSA_INS5_IJNSE_INSF_IxEEEESM_EEEEEPS7_SP_SP_NSC_11hip_rocprim7__merge17predicate_wrapperIxxNSC_4lessIxEEEEEE10hipError_tPvRmT0_T1_T2_T3_T4_T5_mmT6_P12ihipStream_tbEUlT_E_NS1_11comp_targetILNS1_3genE8ELNS1_11target_archE1030ELNS1_3gpuE2ELNS1_3repE0EEENS1_30default_config_static_selectorELNS0_4arch9wavefront6targetE0EEEvS10_,@function
_ZN7rocprim17ROCPRIM_400000_NS6detail17trampoline_kernelINS0_14default_configENS1_21merge_config_selectorINS0_5tupleIJxxEEENS0_10empty_typeEEEZNS1_10merge_implIS3_NS0_12zip_iteratorINS5_IJN6thrust23THRUST_200600_302600_NS6detail15normal_iteratorINSC_10device_ptrIKxEEEESI_EEEEESK_NSA_INS5_IJNSE_INSF_IxEEEESM_EEEEEPS7_SP_SP_NSC_11hip_rocprim7__merge17predicate_wrapperIxxNSC_4lessIxEEEEEE10hipError_tPvRmT0_T1_T2_T3_T4_T5_mmT6_P12ihipStream_tbEUlT_E_NS1_11comp_targetILNS1_3genE8ELNS1_11target_archE1030ELNS1_3gpuE2ELNS1_3repE0EEENS1_30default_config_static_selectorELNS0_4arch9wavefront6targetE0EEEvS10_: ; @_ZN7rocprim17ROCPRIM_400000_NS6detail17trampoline_kernelINS0_14default_configENS1_21merge_config_selectorINS0_5tupleIJxxEEENS0_10empty_typeEEEZNS1_10merge_implIS3_NS0_12zip_iteratorINS5_IJN6thrust23THRUST_200600_302600_NS6detail15normal_iteratorINSC_10device_ptrIKxEEEESI_EEEEESK_NSA_INS5_IJNSE_INSF_IxEEEESM_EEEEEPS7_SP_SP_NSC_11hip_rocprim7__merge17predicate_wrapperIxxNSC_4lessIxEEEEEE10hipError_tPvRmT0_T1_T2_T3_T4_T5_mmT6_P12ihipStream_tbEUlT_E_NS1_11comp_targetILNS1_3genE8ELNS1_11target_archE1030ELNS1_3gpuE2ELNS1_3repE0EEENS1_30default_config_static_selectorELNS0_4arch9wavefront6targetE0EEEvS10_
; %bb.0:
	.section	.rodata,"a",@progbits
	.p2align	6, 0x0
	.amdhsa_kernel _ZN7rocprim17ROCPRIM_400000_NS6detail17trampoline_kernelINS0_14default_configENS1_21merge_config_selectorINS0_5tupleIJxxEEENS0_10empty_typeEEEZNS1_10merge_implIS3_NS0_12zip_iteratorINS5_IJN6thrust23THRUST_200600_302600_NS6detail15normal_iteratorINSC_10device_ptrIKxEEEESI_EEEEESK_NSA_INS5_IJNSE_INSF_IxEEEESM_EEEEEPS7_SP_SP_NSC_11hip_rocprim7__merge17predicate_wrapperIxxNSC_4lessIxEEEEEE10hipError_tPvRmT0_T1_T2_T3_T4_T5_mmT6_P12ihipStream_tbEUlT_E_NS1_11comp_targetILNS1_3genE8ELNS1_11target_archE1030ELNS1_3gpuE2ELNS1_3repE0EEENS1_30default_config_static_selectorELNS0_4arch9wavefront6targetE0EEEvS10_
		.amdhsa_group_segment_fixed_size 0
		.amdhsa_private_segment_fixed_size 0
		.amdhsa_kernarg_size 64
		.amdhsa_user_sgpr_count 2
		.amdhsa_user_sgpr_dispatch_ptr 0
		.amdhsa_user_sgpr_queue_ptr 0
		.amdhsa_user_sgpr_kernarg_segment_ptr 1
		.amdhsa_user_sgpr_dispatch_id 0
		.amdhsa_user_sgpr_kernarg_preload_length 0
		.amdhsa_user_sgpr_kernarg_preload_offset 0
		.amdhsa_user_sgpr_private_segment_size 0
		.amdhsa_wavefront_size32 1
		.amdhsa_uses_dynamic_stack 0
		.amdhsa_enable_private_segment 0
		.amdhsa_system_sgpr_workgroup_id_x 1
		.amdhsa_system_sgpr_workgroup_id_y 0
		.amdhsa_system_sgpr_workgroup_id_z 0
		.amdhsa_system_sgpr_workgroup_info 0
		.amdhsa_system_vgpr_workitem_id 0
		.amdhsa_next_free_vgpr 1
		.amdhsa_next_free_sgpr 1
		.amdhsa_named_barrier_count 0
		.amdhsa_reserve_vcc 0
		.amdhsa_float_round_mode_32 0
		.amdhsa_float_round_mode_16_64 0
		.amdhsa_float_denorm_mode_32 3
		.amdhsa_float_denorm_mode_16_64 3
		.amdhsa_fp16_overflow 0
		.amdhsa_memory_ordered 1
		.amdhsa_forward_progress 1
		.amdhsa_inst_pref_size 0
		.amdhsa_round_robin_scheduling 0
		.amdhsa_exception_fp_ieee_invalid_op 0
		.amdhsa_exception_fp_denorm_src 0
		.amdhsa_exception_fp_ieee_div_zero 0
		.amdhsa_exception_fp_ieee_overflow 0
		.amdhsa_exception_fp_ieee_underflow 0
		.amdhsa_exception_fp_ieee_inexact 0
		.amdhsa_exception_int_div_zero 0
	.end_amdhsa_kernel
	.section	.text._ZN7rocprim17ROCPRIM_400000_NS6detail17trampoline_kernelINS0_14default_configENS1_21merge_config_selectorINS0_5tupleIJxxEEENS0_10empty_typeEEEZNS1_10merge_implIS3_NS0_12zip_iteratorINS5_IJN6thrust23THRUST_200600_302600_NS6detail15normal_iteratorINSC_10device_ptrIKxEEEESI_EEEEESK_NSA_INS5_IJNSE_INSF_IxEEEESM_EEEEEPS7_SP_SP_NSC_11hip_rocprim7__merge17predicate_wrapperIxxNSC_4lessIxEEEEEE10hipError_tPvRmT0_T1_T2_T3_T4_T5_mmT6_P12ihipStream_tbEUlT_E_NS1_11comp_targetILNS1_3genE8ELNS1_11target_archE1030ELNS1_3gpuE2ELNS1_3repE0EEENS1_30default_config_static_selectorELNS0_4arch9wavefront6targetE0EEEvS10_,"axG",@progbits,_ZN7rocprim17ROCPRIM_400000_NS6detail17trampoline_kernelINS0_14default_configENS1_21merge_config_selectorINS0_5tupleIJxxEEENS0_10empty_typeEEEZNS1_10merge_implIS3_NS0_12zip_iteratorINS5_IJN6thrust23THRUST_200600_302600_NS6detail15normal_iteratorINSC_10device_ptrIKxEEEESI_EEEEESK_NSA_INS5_IJNSE_INSF_IxEEEESM_EEEEEPS7_SP_SP_NSC_11hip_rocprim7__merge17predicate_wrapperIxxNSC_4lessIxEEEEEE10hipError_tPvRmT0_T1_T2_T3_T4_T5_mmT6_P12ihipStream_tbEUlT_E_NS1_11comp_targetILNS1_3genE8ELNS1_11target_archE1030ELNS1_3gpuE2ELNS1_3repE0EEENS1_30default_config_static_selectorELNS0_4arch9wavefront6targetE0EEEvS10_,comdat
.Lfunc_end215:
	.size	_ZN7rocprim17ROCPRIM_400000_NS6detail17trampoline_kernelINS0_14default_configENS1_21merge_config_selectorINS0_5tupleIJxxEEENS0_10empty_typeEEEZNS1_10merge_implIS3_NS0_12zip_iteratorINS5_IJN6thrust23THRUST_200600_302600_NS6detail15normal_iteratorINSC_10device_ptrIKxEEEESI_EEEEESK_NSA_INS5_IJNSE_INSF_IxEEEESM_EEEEEPS7_SP_SP_NSC_11hip_rocprim7__merge17predicate_wrapperIxxNSC_4lessIxEEEEEE10hipError_tPvRmT0_T1_T2_T3_T4_T5_mmT6_P12ihipStream_tbEUlT_E_NS1_11comp_targetILNS1_3genE8ELNS1_11target_archE1030ELNS1_3gpuE2ELNS1_3repE0EEENS1_30default_config_static_selectorELNS0_4arch9wavefront6targetE0EEEvS10_, .Lfunc_end215-_ZN7rocprim17ROCPRIM_400000_NS6detail17trampoline_kernelINS0_14default_configENS1_21merge_config_selectorINS0_5tupleIJxxEEENS0_10empty_typeEEEZNS1_10merge_implIS3_NS0_12zip_iteratorINS5_IJN6thrust23THRUST_200600_302600_NS6detail15normal_iteratorINSC_10device_ptrIKxEEEESI_EEEEESK_NSA_INS5_IJNSE_INSF_IxEEEESM_EEEEEPS7_SP_SP_NSC_11hip_rocprim7__merge17predicate_wrapperIxxNSC_4lessIxEEEEEE10hipError_tPvRmT0_T1_T2_T3_T4_T5_mmT6_P12ihipStream_tbEUlT_E_NS1_11comp_targetILNS1_3genE8ELNS1_11target_archE1030ELNS1_3gpuE2ELNS1_3repE0EEENS1_30default_config_static_selectorELNS0_4arch9wavefront6targetE0EEEvS10_
                                        ; -- End function
	.set _ZN7rocprim17ROCPRIM_400000_NS6detail17trampoline_kernelINS0_14default_configENS1_21merge_config_selectorINS0_5tupleIJxxEEENS0_10empty_typeEEEZNS1_10merge_implIS3_NS0_12zip_iteratorINS5_IJN6thrust23THRUST_200600_302600_NS6detail15normal_iteratorINSC_10device_ptrIKxEEEESI_EEEEESK_NSA_INS5_IJNSE_INSF_IxEEEESM_EEEEEPS7_SP_SP_NSC_11hip_rocprim7__merge17predicate_wrapperIxxNSC_4lessIxEEEEEE10hipError_tPvRmT0_T1_T2_T3_T4_T5_mmT6_P12ihipStream_tbEUlT_E_NS1_11comp_targetILNS1_3genE8ELNS1_11target_archE1030ELNS1_3gpuE2ELNS1_3repE0EEENS1_30default_config_static_selectorELNS0_4arch9wavefront6targetE0EEEvS10_.num_vgpr, 0
	.set _ZN7rocprim17ROCPRIM_400000_NS6detail17trampoline_kernelINS0_14default_configENS1_21merge_config_selectorINS0_5tupleIJxxEEENS0_10empty_typeEEEZNS1_10merge_implIS3_NS0_12zip_iteratorINS5_IJN6thrust23THRUST_200600_302600_NS6detail15normal_iteratorINSC_10device_ptrIKxEEEESI_EEEEESK_NSA_INS5_IJNSE_INSF_IxEEEESM_EEEEEPS7_SP_SP_NSC_11hip_rocprim7__merge17predicate_wrapperIxxNSC_4lessIxEEEEEE10hipError_tPvRmT0_T1_T2_T3_T4_T5_mmT6_P12ihipStream_tbEUlT_E_NS1_11comp_targetILNS1_3genE8ELNS1_11target_archE1030ELNS1_3gpuE2ELNS1_3repE0EEENS1_30default_config_static_selectorELNS0_4arch9wavefront6targetE0EEEvS10_.num_agpr, 0
	.set _ZN7rocprim17ROCPRIM_400000_NS6detail17trampoline_kernelINS0_14default_configENS1_21merge_config_selectorINS0_5tupleIJxxEEENS0_10empty_typeEEEZNS1_10merge_implIS3_NS0_12zip_iteratorINS5_IJN6thrust23THRUST_200600_302600_NS6detail15normal_iteratorINSC_10device_ptrIKxEEEESI_EEEEESK_NSA_INS5_IJNSE_INSF_IxEEEESM_EEEEEPS7_SP_SP_NSC_11hip_rocprim7__merge17predicate_wrapperIxxNSC_4lessIxEEEEEE10hipError_tPvRmT0_T1_T2_T3_T4_T5_mmT6_P12ihipStream_tbEUlT_E_NS1_11comp_targetILNS1_3genE8ELNS1_11target_archE1030ELNS1_3gpuE2ELNS1_3repE0EEENS1_30default_config_static_selectorELNS0_4arch9wavefront6targetE0EEEvS10_.numbered_sgpr, 0
	.set _ZN7rocprim17ROCPRIM_400000_NS6detail17trampoline_kernelINS0_14default_configENS1_21merge_config_selectorINS0_5tupleIJxxEEENS0_10empty_typeEEEZNS1_10merge_implIS3_NS0_12zip_iteratorINS5_IJN6thrust23THRUST_200600_302600_NS6detail15normal_iteratorINSC_10device_ptrIKxEEEESI_EEEEESK_NSA_INS5_IJNSE_INSF_IxEEEESM_EEEEEPS7_SP_SP_NSC_11hip_rocprim7__merge17predicate_wrapperIxxNSC_4lessIxEEEEEE10hipError_tPvRmT0_T1_T2_T3_T4_T5_mmT6_P12ihipStream_tbEUlT_E_NS1_11comp_targetILNS1_3genE8ELNS1_11target_archE1030ELNS1_3gpuE2ELNS1_3repE0EEENS1_30default_config_static_selectorELNS0_4arch9wavefront6targetE0EEEvS10_.num_named_barrier, 0
	.set _ZN7rocprim17ROCPRIM_400000_NS6detail17trampoline_kernelINS0_14default_configENS1_21merge_config_selectorINS0_5tupleIJxxEEENS0_10empty_typeEEEZNS1_10merge_implIS3_NS0_12zip_iteratorINS5_IJN6thrust23THRUST_200600_302600_NS6detail15normal_iteratorINSC_10device_ptrIKxEEEESI_EEEEESK_NSA_INS5_IJNSE_INSF_IxEEEESM_EEEEEPS7_SP_SP_NSC_11hip_rocprim7__merge17predicate_wrapperIxxNSC_4lessIxEEEEEE10hipError_tPvRmT0_T1_T2_T3_T4_T5_mmT6_P12ihipStream_tbEUlT_E_NS1_11comp_targetILNS1_3genE8ELNS1_11target_archE1030ELNS1_3gpuE2ELNS1_3repE0EEENS1_30default_config_static_selectorELNS0_4arch9wavefront6targetE0EEEvS10_.private_seg_size, 0
	.set _ZN7rocprim17ROCPRIM_400000_NS6detail17trampoline_kernelINS0_14default_configENS1_21merge_config_selectorINS0_5tupleIJxxEEENS0_10empty_typeEEEZNS1_10merge_implIS3_NS0_12zip_iteratorINS5_IJN6thrust23THRUST_200600_302600_NS6detail15normal_iteratorINSC_10device_ptrIKxEEEESI_EEEEESK_NSA_INS5_IJNSE_INSF_IxEEEESM_EEEEEPS7_SP_SP_NSC_11hip_rocprim7__merge17predicate_wrapperIxxNSC_4lessIxEEEEEE10hipError_tPvRmT0_T1_T2_T3_T4_T5_mmT6_P12ihipStream_tbEUlT_E_NS1_11comp_targetILNS1_3genE8ELNS1_11target_archE1030ELNS1_3gpuE2ELNS1_3repE0EEENS1_30default_config_static_selectorELNS0_4arch9wavefront6targetE0EEEvS10_.uses_vcc, 0
	.set _ZN7rocprim17ROCPRIM_400000_NS6detail17trampoline_kernelINS0_14default_configENS1_21merge_config_selectorINS0_5tupleIJxxEEENS0_10empty_typeEEEZNS1_10merge_implIS3_NS0_12zip_iteratorINS5_IJN6thrust23THRUST_200600_302600_NS6detail15normal_iteratorINSC_10device_ptrIKxEEEESI_EEEEESK_NSA_INS5_IJNSE_INSF_IxEEEESM_EEEEEPS7_SP_SP_NSC_11hip_rocprim7__merge17predicate_wrapperIxxNSC_4lessIxEEEEEE10hipError_tPvRmT0_T1_T2_T3_T4_T5_mmT6_P12ihipStream_tbEUlT_E_NS1_11comp_targetILNS1_3genE8ELNS1_11target_archE1030ELNS1_3gpuE2ELNS1_3repE0EEENS1_30default_config_static_selectorELNS0_4arch9wavefront6targetE0EEEvS10_.uses_flat_scratch, 0
	.set _ZN7rocprim17ROCPRIM_400000_NS6detail17trampoline_kernelINS0_14default_configENS1_21merge_config_selectorINS0_5tupleIJxxEEENS0_10empty_typeEEEZNS1_10merge_implIS3_NS0_12zip_iteratorINS5_IJN6thrust23THRUST_200600_302600_NS6detail15normal_iteratorINSC_10device_ptrIKxEEEESI_EEEEESK_NSA_INS5_IJNSE_INSF_IxEEEESM_EEEEEPS7_SP_SP_NSC_11hip_rocprim7__merge17predicate_wrapperIxxNSC_4lessIxEEEEEE10hipError_tPvRmT0_T1_T2_T3_T4_T5_mmT6_P12ihipStream_tbEUlT_E_NS1_11comp_targetILNS1_3genE8ELNS1_11target_archE1030ELNS1_3gpuE2ELNS1_3repE0EEENS1_30default_config_static_selectorELNS0_4arch9wavefront6targetE0EEEvS10_.has_dyn_sized_stack, 0
	.set _ZN7rocprim17ROCPRIM_400000_NS6detail17trampoline_kernelINS0_14default_configENS1_21merge_config_selectorINS0_5tupleIJxxEEENS0_10empty_typeEEEZNS1_10merge_implIS3_NS0_12zip_iteratorINS5_IJN6thrust23THRUST_200600_302600_NS6detail15normal_iteratorINSC_10device_ptrIKxEEEESI_EEEEESK_NSA_INS5_IJNSE_INSF_IxEEEESM_EEEEEPS7_SP_SP_NSC_11hip_rocprim7__merge17predicate_wrapperIxxNSC_4lessIxEEEEEE10hipError_tPvRmT0_T1_T2_T3_T4_T5_mmT6_P12ihipStream_tbEUlT_E_NS1_11comp_targetILNS1_3genE8ELNS1_11target_archE1030ELNS1_3gpuE2ELNS1_3repE0EEENS1_30default_config_static_selectorELNS0_4arch9wavefront6targetE0EEEvS10_.has_recursion, 0
	.set _ZN7rocprim17ROCPRIM_400000_NS6detail17trampoline_kernelINS0_14default_configENS1_21merge_config_selectorINS0_5tupleIJxxEEENS0_10empty_typeEEEZNS1_10merge_implIS3_NS0_12zip_iteratorINS5_IJN6thrust23THRUST_200600_302600_NS6detail15normal_iteratorINSC_10device_ptrIKxEEEESI_EEEEESK_NSA_INS5_IJNSE_INSF_IxEEEESM_EEEEEPS7_SP_SP_NSC_11hip_rocprim7__merge17predicate_wrapperIxxNSC_4lessIxEEEEEE10hipError_tPvRmT0_T1_T2_T3_T4_T5_mmT6_P12ihipStream_tbEUlT_E_NS1_11comp_targetILNS1_3genE8ELNS1_11target_archE1030ELNS1_3gpuE2ELNS1_3repE0EEENS1_30default_config_static_selectorELNS0_4arch9wavefront6targetE0EEEvS10_.has_indirect_call, 0
	.section	.AMDGPU.csdata,"",@progbits
; Kernel info:
; codeLenInByte = 0
; TotalNumSgprs: 0
; NumVgprs: 0
; ScratchSize: 0
; MemoryBound: 0
; FloatMode: 240
; IeeeMode: 1
; LDSByteSize: 0 bytes/workgroup (compile time only)
; SGPRBlocks: 0
; VGPRBlocks: 0
; NumSGPRsForWavesPerEU: 1
; NumVGPRsForWavesPerEU: 1
; NamedBarCnt: 0
; Occupancy: 16
; WaveLimiterHint : 0
; COMPUTE_PGM_RSRC2:SCRATCH_EN: 0
; COMPUTE_PGM_RSRC2:USER_SGPR: 2
; COMPUTE_PGM_RSRC2:TRAP_HANDLER: 0
; COMPUTE_PGM_RSRC2:TGID_X_EN: 1
; COMPUTE_PGM_RSRC2:TGID_Y_EN: 0
; COMPUTE_PGM_RSRC2:TGID_Z_EN: 0
; COMPUTE_PGM_RSRC2:TIDIG_COMP_CNT: 0
	.section	.text._ZN7rocprim17ROCPRIM_400000_NS6detail17trampoline_kernelINS0_14default_configENS1_21merge_config_selectorINS0_5tupleIJxxEEENS0_10empty_typeEEEZNS1_10merge_implIS3_NS0_12zip_iteratorINS5_IJN6thrust23THRUST_200600_302600_NS6detail15normal_iteratorINSC_10device_ptrIKxEEEESI_EEEEESK_NSA_INS5_IJNSE_INSF_IxEEEESM_EEEEEPS7_SP_SP_NSC_11hip_rocprim7__merge17predicate_wrapperIxxNSC_4lessIxEEEEEE10hipError_tPvRmT0_T1_T2_T3_T4_T5_mmT6_P12ihipStream_tbEUlT_E0_NS1_11comp_targetILNS1_3genE0ELNS1_11target_archE4294967295ELNS1_3gpuE0ELNS1_3repE0EEENS1_30default_config_static_selectorELNS0_4arch9wavefront6targetE0EEEvS10_,"axG",@progbits,_ZN7rocprim17ROCPRIM_400000_NS6detail17trampoline_kernelINS0_14default_configENS1_21merge_config_selectorINS0_5tupleIJxxEEENS0_10empty_typeEEEZNS1_10merge_implIS3_NS0_12zip_iteratorINS5_IJN6thrust23THRUST_200600_302600_NS6detail15normal_iteratorINSC_10device_ptrIKxEEEESI_EEEEESK_NSA_INS5_IJNSE_INSF_IxEEEESM_EEEEEPS7_SP_SP_NSC_11hip_rocprim7__merge17predicate_wrapperIxxNSC_4lessIxEEEEEE10hipError_tPvRmT0_T1_T2_T3_T4_T5_mmT6_P12ihipStream_tbEUlT_E0_NS1_11comp_targetILNS1_3genE0ELNS1_11target_archE4294967295ELNS1_3gpuE0ELNS1_3repE0EEENS1_30default_config_static_selectorELNS0_4arch9wavefront6targetE0EEEvS10_,comdat
	.protected	_ZN7rocprim17ROCPRIM_400000_NS6detail17trampoline_kernelINS0_14default_configENS1_21merge_config_selectorINS0_5tupleIJxxEEENS0_10empty_typeEEEZNS1_10merge_implIS3_NS0_12zip_iteratorINS5_IJN6thrust23THRUST_200600_302600_NS6detail15normal_iteratorINSC_10device_ptrIKxEEEESI_EEEEESK_NSA_INS5_IJNSE_INSF_IxEEEESM_EEEEEPS7_SP_SP_NSC_11hip_rocprim7__merge17predicate_wrapperIxxNSC_4lessIxEEEEEE10hipError_tPvRmT0_T1_T2_T3_T4_T5_mmT6_P12ihipStream_tbEUlT_E0_NS1_11comp_targetILNS1_3genE0ELNS1_11target_archE4294967295ELNS1_3gpuE0ELNS1_3repE0EEENS1_30default_config_static_selectorELNS0_4arch9wavefront6targetE0EEEvS10_ ; -- Begin function _ZN7rocprim17ROCPRIM_400000_NS6detail17trampoline_kernelINS0_14default_configENS1_21merge_config_selectorINS0_5tupleIJxxEEENS0_10empty_typeEEEZNS1_10merge_implIS3_NS0_12zip_iteratorINS5_IJN6thrust23THRUST_200600_302600_NS6detail15normal_iteratorINSC_10device_ptrIKxEEEESI_EEEEESK_NSA_INS5_IJNSE_INSF_IxEEEESM_EEEEEPS7_SP_SP_NSC_11hip_rocprim7__merge17predicate_wrapperIxxNSC_4lessIxEEEEEE10hipError_tPvRmT0_T1_T2_T3_T4_T5_mmT6_P12ihipStream_tbEUlT_E0_NS1_11comp_targetILNS1_3genE0ELNS1_11target_archE4294967295ELNS1_3gpuE0ELNS1_3repE0EEENS1_30default_config_static_selectorELNS0_4arch9wavefront6targetE0EEEvS10_
	.globl	_ZN7rocprim17ROCPRIM_400000_NS6detail17trampoline_kernelINS0_14default_configENS1_21merge_config_selectorINS0_5tupleIJxxEEENS0_10empty_typeEEEZNS1_10merge_implIS3_NS0_12zip_iteratorINS5_IJN6thrust23THRUST_200600_302600_NS6detail15normal_iteratorINSC_10device_ptrIKxEEEESI_EEEEESK_NSA_INS5_IJNSE_INSF_IxEEEESM_EEEEEPS7_SP_SP_NSC_11hip_rocprim7__merge17predicate_wrapperIxxNSC_4lessIxEEEEEE10hipError_tPvRmT0_T1_T2_T3_T4_T5_mmT6_P12ihipStream_tbEUlT_E0_NS1_11comp_targetILNS1_3genE0ELNS1_11target_archE4294967295ELNS1_3gpuE0ELNS1_3repE0EEENS1_30default_config_static_selectorELNS0_4arch9wavefront6targetE0EEEvS10_
	.p2align	8
	.type	_ZN7rocprim17ROCPRIM_400000_NS6detail17trampoline_kernelINS0_14default_configENS1_21merge_config_selectorINS0_5tupleIJxxEEENS0_10empty_typeEEEZNS1_10merge_implIS3_NS0_12zip_iteratorINS5_IJN6thrust23THRUST_200600_302600_NS6detail15normal_iteratorINSC_10device_ptrIKxEEEESI_EEEEESK_NSA_INS5_IJNSE_INSF_IxEEEESM_EEEEEPS7_SP_SP_NSC_11hip_rocprim7__merge17predicate_wrapperIxxNSC_4lessIxEEEEEE10hipError_tPvRmT0_T1_T2_T3_T4_T5_mmT6_P12ihipStream_tbEUlT_E0_NS1_11comp_targetILNS1_3genE0ELNS1_11target_archE4294967295ELNS1_3gpuE0ELNS1_3repE0EEENS1_30default_config_static_selectorELNS0_4arch9wavefront6targetE0EEEvS10_,@function
_ZN7rocprim17ROCPRIM_400000_NS6detail17trampoline_kernelINS0_14default_configENS1_21merge_config_selectorINS0_5tupleIJxxEEENS0_10empty_typeEEEZNS1_10merge_implIS3_NS0_12zip_iteratorINS5_IJN6thrust23THRUST_200600_302600_NS6detail15normal_iteratorINSC_10device_ptrIKxEEEESI_EEEEESK_NSA_INS5_IJNSE_INSF_IxEEEESM_EEEEEPS7_SP_SP_NSC_11hip_rocprim7__merge17predicate_wrapperIxxNSC_4lessIxEEEEEE10hipError_tPvRmT0_T1_T2_T3_T4_T5_mmT6_P12ihipStream_tbEUlT_E0_NS1_11comp_targetILNS1_3genE0ELNS1_11target_archE4294967295ELNS1_3gpuE0ELNS1_3repE0EEENS1_30default_config_static_selectorELNS0_4arch9wavefront6targetE0EEEvS10_: ; @_ZN7rocprim17ROCPRIM_400000_NS6detail17trampoline_kernelINS0_14default_configENS1_21merge_config_selectorINS0_5tupleIJxxEEENS0_10empty_typeEEEZNS1_10merge_implIS3_NS0_12zip_iteratorINS5_IJN6thrust23THRUST_200600_302600_NS6detail15normal_iteratorINSC_10device_ptrIKxEEEESI_EEEEESK_NSA_INS5_IJNSE_INSF_IxEEEESM_EEEEEPS7_SP_SP_NSC_11hip_rocprim7__merge17predicate_wrapperIxxNSC_4lessIxEEEEEE10hipError_tPvRmT0_T1_T2_T3_T4_T5_mmT6_P12ihipStream_tbEUlT_E0_NS1_11comp_targetILNS1_3genE0ELNS1_11target_archE4294967295ELNS1_3gpuE0ELNS1_3repE0EEENS1_30default_config_static_selectorELNS0_4arch9wavefront6targetE0EEEvS10_
; %bb.0:
	s_clause 0x1
	s_load_b128 s[12:15], s[0:1], 0x58
	s_load_b256 s[4:11], s[0:1], 0x8
	s_bfe_u32 s2, ttmp6, 0x4000c
	s_and_b32 s3, ttmp6, 15
	s_add_co_i32 s2, s2, 1
	s_wait_kmcnt 0x0
	s_getreg_b32 s13, hwreg(HW_REG_IB_STS2, 6, 4)
	s_mul_i32 s2, ttmp9, s2
	v_mov_b32_e32 v1, 0
	s_add_co_i32 s3, s3, s2
	s_cmp_eq_u32 s13, 0
	s_cselect_b32 s16, ttmp9, s3
	s_delay_alu instid0(SALU_CYCLE_1) | instskip(SKIP_1) | instid1(SALU_CYCLE_1)
	s_add_co_i32 s3, s16, 1
	s_add_co_i32 s24, s14, s12
	;; [unrolled: 1-line block ×3, first 2 shown]
	s_delay_alu instid0(SALU_CYCLE_1) | instskip(NEXT) | instid1(SALU_CYCLE_1)
	s_lshr_b32 s2, s2, 10
	s_min_u32 s17, s16, s2
	s_min_u32 s3, s3, s2
	s_clause 0x1
	s_load_b32 s2, s[4:5], s17 offset:0x0 scale_offset
	s_load_b32 s20, s[4:5], s3 offset:0x0 scale_offset
	s_load_b128 s[12:15], s[0:1], 0x28
	s_wait_xcnt 0x0
	s_mov_b32 s3, 0
	s_lshl_b32 s4, s16, 10
	s_mov_b32 s17, s3
	s_add_co_i32 s5, s4, 0x400
	s_delay_alu instid0(SALU_CYCLE_1)
	s_min_u32 s5, s24, s5
	s_wait_kmcnt 0x0
	s_sub_co_i32 s16, s4, s2
	s_lshl_b64 s[22:23], s[2:3], 3
	s_sub_co_i32 s2, s20, s2
	s_lshl_b64 s[18:19], s[16:17], 3
	s_add_co_i32 s20, s16, s20
	s_add_nc_u64 s[16:17], s[10:11], s[18:19]
	s_sub_co_i32 s10, s5, s20
	s_mov_b32 s11, s3
	s_add_nc_u64 s[12:13], s[12:13], s[18:19]
	s_add_nc_u64 s[20:21], s[10:11], s[2:3]
	s_mov_b32 s5, exec_lo
	v_cmpx_le_u32_e64 s2, v0
	s_xor_b32 s5, exec_lo, s5
	s_cbranch_execz .LBB216_4
; %bb.1:
	s_mov_b32 s11, exec_lo
	v_cmpx_gt_u64_e64 s[20:21], v[0:1]
	s_cbranch_execz .LBB216_3
; %bb.2:
	v_subrev_nc_u32_e32 v6, s2, v0
	s_clause 0x1
	global_load_b64 v[2:3], v6, s[16:17] scale_offset
	global_load_b64 v[4:5], v6, s[12:13] scale_offset
	s_wait_xcnt 0x0
	v_lshlrev_b32_e32 v6, 4, v0
	s_wait_loadcnt 0x0
	ds_store_b128 v6, v[2:5]
.LBB216_3:
	s_or_b32 exec_lo, exec_lo, s11
.LBB216_4:
	s_or_saveexec_b32 s5, s5
	v_lshlrev_b32_e32 v14, 4, v0
	s_add_nc_u64 s[18:19], s[6:7], s[22:23]
	s_add_nc_u64 s[8:9], s[8:9], s[22:23]
	s_xor_b32 exec_lo, exec_lo, s5
	s_cbranch_execz .LBB216_6
; %bb.5:
	s_clause 0x1
	global_load_b64 v[2:3], v0, s[18:19] scale_offset
	global_load_b64 v[4:5], v0, s[8:9] scale_offset
	s_wait_loadcnt 0x0
	ds_store_b128 v14, v[2:5]
.LBB216_6:
	s_or_b32 exec_lo, exec_lo, s5
	v_or_b32_e32 v12, 0x200, v0
	v_mov_b32_e32 v13, 0
	s_mov_b32 s5, exec_lo
	s_delay_alu instid0(VALU_DEP_2)
	v_cmpx_le_u32_e64 s2, v12
	s_xor_b32 s5, exec_lo, s5
	s_cbranch_execz .LBB216_10
; %bb.7:
	s_mov_b32 s6, exec_lo
	v_cmpx_gt_u64_e64 s[20:21], v[12:13]
	s_cbranch_execz .LBB216_9
; %bb.8:
	v_sub_nc_u64_e64 v[2:3], v[0:1], s[2:3]
	s_delay_alu instid0(VALU_DEP_1) | instskip(NEXT) | instid1(VALU_DEP_1)
	v_lshlrev_b64_e32 v[2:3], 3, v[2:3]
	v_add_nc_u64_e32 v[6:7], s[16:17], v[2:3]
	v_add_nc_u64_e32 v[8:9], s[12:13], v[2:3]
	global_load_b64 v[2:3], v[6:7], off offset:4096
	global_load_b64 v[4:5], v[8:9], off offset:4096
	s_wait_loadcnt 0x0
	ds_store_b128 v14, v[2:5] offset:8192
.LBB216_9:
	s_or_b32 exec_lo, exec_lo, s6
.LBB216_10:
	s_or_saveexec_b32 s3, s5
	s_load_b64 s[6:7], s[0:1], 0x38
	s_xor_b32 exec_lo, exec_lo, s3
	s_cbranch_execz .LBB216_12
; %bb.11:
	s_clause 0x1
	global_load_b64 v[2:3], v0, s[18:19] offset:4096 scale_offset
	global_load_b64 v[4:5], v0, s[8:9] offset:4096 scale_offset
	s_wait_loadcnt 0x0
	ds_store_b128 v14, v[2:5] offset:8192
.LBB216_12:
	s_or_b32 exec_lo, exec_lo, s3
	v_lshlrev_b32_e32 v1, 1, v0
	s_wait_xcnt 0x0
	s_mov_b32 s0, exec_lo
	s_wait_dscnt 0x0
	s_barrier_signal -1
	s_barrier_wait -1
	v_sub_nc_u32_e64 v13, v1, s10 clamp
	v_min_u32_e32 v2, s2, v1
	s_delay_alu instid0(VALU_DEP_1)
	v_cmpx_lt_u32_e64 v13, v2
	s_cbranch_execz .LBB216_16
; %bb.13:
	v_lshlrev_b32_e32 v3, 4, v1
	s_mov_b32 s1, 0
	s_delay_alu instid0(VALU_DEP_1)
	v_lshl_add_u32 v3, s2, 4, v3
.LBB216_14:                             ; =>This Inner Loop Header: Depth=1
	v_add_nc_u32_e32 v4, v2, v13
	s_delay_alu instid0(VALU_DEP_1) | instskip(NEXT) | instid1(VALU_DEP_1)
	v_lshrrev_b32_e32 v8, 1, v4
	v_not_b32_e32 v4, v8
	v_lshlrev_b32_e32 v5, 4, v8
	s_delay_alu instid0(VALU_DEP_2)
	v_lshl_add_u32 v6, v4, 4, v3
	ds_load_b64 v[4:5], v5
	ds_load_b64 v[6:7], v6
	s_wait_dscnt 0x0
	v_cmp_lt_i64_e32 vcc_lo, v[6:7], v[4:5]
	v_add_nc_u32_e32 v4, 1, v8
	s_delay_alu instid0(VALU_DEP_1) | instskip(NEXT) | instid1(VALU_DEP_1)
	v_dual_cndmask_b32 v13, v4, v13 :: v_dual_cndmask_b32 v2, v2, v8
	v_cmp_ge_u32_e32 vcc_lo, v13, v2
	s_or_b32 s1, vcc_lo, s1
	s_delay_alu instid0(SALU_CYCLE_1)
	s_and_not1_b32 exec_lo, exec_lo, s1
	s_cbranch_execnz .LBB216_14
; %bb.15:
	s_or_b32 exec_lo, exec_lo, s1
.LBB216_16:
	s_delay_alu instid0(SALU_CYCLE_1)
	s_or_b32 exec_lo, exec_lo, s0
	v_add_nc_u32_e32 v2, s2, v1
	s_add_co_i32 s5, s10, s2
	v_cmp_ge_u32_e32 vcc_lo, s2, v13
	v_mov_b64_e32 v[4:5], 0
	v_mov_b64_e32 v[8:9], 0
	v_sub_nc_u32_e32 v15, v2, v13
	v_mov_b64_e32 v[6:7], 0
	v_mov_b64_e32 v[2:3], 0
	s_delay_alu instid0(VALU_DEP_3) | instskip(SKIP_1) | instid1(SALU_CYCLE_1)
	v_cmp_ge_u32_e64 s0, s5, v15
	s_or_b32 s0, vcc_lo, s0
	s_and_saveexec_b32 s3, s0
	s_cbranch_execz .LBB216_22
; %bb.17:
	v_mov_b64_e32 v[10:11], 0
	v_mov_b64_e32 v[6:7], 0
	;; [unrolled: 1-line block ×3, first 2 shown]
	v_cmp_gt_u32_e32 vcc_lo, s2, v13
	s_and_saveexec_b32 s0, vcc_lo
; %bb.18:
	v_lshlrev_b32_e32 v2, 4, v13
	ds_load_b128 v[4:7], v2
; %bb.19:
	s_or_b32 exec_lo, exec_lo, s0
	v_mov_b64_e32 v[8:9], 0
	v_cmp_le_u32_e64 s0, s5, v15
	s_mov_b32 s8, exec_lo
	v_cmpx_gt_u32_e64 s5, v15
; %bb.20:
	v_lshlrev_b32_e32 v2, 4, v15
	ds_load_b128 v[8:11], v2
; %bb.21:
	s_or_b32 exec_lo, exec_lo, s8
	s_wait_dscnt 0x0
	v_cmp_ge_i64_e64 s1, v[8:9], v[4:5]
	s_and_b32 s1, vcc_lo, s1
	s_delay_alu instid0(SALU_CYCLE_1) | instskip(SKIP_1) | instid1(VALU_DEP_1)
	s_or_b32 vcc_lo, s0, s1
	v_dual_mov_b32 v2, s2 :: v_dual_cndmask_b32 v3, v15, v13
	v_dual_cndmask_b32 v2, s5, v2, vcc_lo :: v_dual_add_nc_u32 v22, 1, v3
	v_cndmask_b32_e32 v3, v9, v5, vcc_lo
	s_delay_alu instid0(VALU_DEP_2) | instskip(NEXT) | instid1(VALU_DEP_1)
	v_add_min_u32_e64 v2, v2, -1, v22
	v_lshlrev_b32_e32 v2, 4, v2
	ds_load_b128 v[16:19], v2
	s_wait_dscnt 0x0
	v_dual_cndmask_b32 v2, v8, v4 :: v_dual_cndmask_b32 v21, v17, v9
	v_dual_cndmask_b32 v20, v16, v8 :: v_dual_cndmask_b32 v17, v5, v17
	v_dual_cndmask_b32 v16, v4, v16, vcc_lo :: v_dual_cndmask_b32 v8, v13, v22, vcc_lo
	v_cndmask_b32_e32 v9, v22, v15, vcc_lo
	v_dual_cndmask_b32 v5, v11, v7 :: v_dual_cndmask_b32 v4, v10, v6
	s_delay_alu instid0(VALU_DEP_3) | instskip(NEXT) | instid1(VALU_DEP_4)
	v_cmp_ge_i64_e64 s0, v[20:21], v[16:17]
	v_cmp_gt_u32_e64 s1, s2, v8
	s_delay_alu instid0(VALU_DEP_4) | instskip(SKIP_3) | instid1(SALU_CYCLE_1)
	v_cmp_le_u32_e64 s2, s5, v9
	v_dual_cndmask_b32 v8, v18, v10 :: v_dual_cndmask_b32 v9, v19, v11
	v_dual_cndmask_b32 v10, v7, v19 :: v_dual_cndmask_b32 v11, v6, v18
	s_and_b32 s0, s1, s0
	s_or_b32 vcc_lo, s2, s0
	v_dual_cndmask_b32 v7, v21, v17 :: v_dual_cndmask_b32 v6, v20, v16
	s_delay_alu instid0(VALU_DEP_2)
	v_dual_cndmask_b32 v9, v9, v10 :: v_dual_cndmask_b32 v8, v8, v11
.LBB216_22:
	s_or_b32 exec_lo, exec_lo, s3
	v_and_b32_e32 v10, 0x1f0, v0
	s_mov_b32 s5, 0
	s_sub_co_i32 s8, s24, s4
	s_lshl_b64 s[2:3], s[4:5], 3
	s_cmp_gt_u32 s8, 0x3ff
	v_lshl_add_u32 v10, v1, 4, v10
	v_lshrrev_b32_e32 v1, 1, v12
	s_add_nc_u64 s[0:1], s[14:15], s[2:3]
	s_wait_kmcnt 0x0
	s_add_nc_u64 s[2:3], s[6:7], s[2:3]
	s_barrier_signal -1
	s_barrier_wait -1
	ds_store_b128 v10, v[2:5]
	ds_store_b128 v10, v[6:9] offset:16
	s_wait_dscnt 0x0
	s_cbranch_scc0 .LBB216_24
; %bb.23:
	v_and_b32_e32 v3, 0x1f0, v1
	v_lshrrev_b32_e32 v2, 1, v0
	s_barrier_signal -1
	s_barrier_wait -1
	s_delay_alu instid0(VALU_DEP_2) | instskip(NEXT) | instid1(VALU_DEP_2)
	v_add_nc_u32_e32 v3, v3, v14
	v_and_b32_e32 v2, 0xf0, v2
	s_mov_b32 s5, -1
	s_delay_alu instid0(VALU_DEP_1)
	v_add_nc_u32_e32 v2, v2, v14
	ds_load_b128 v[6:9], v2
	ds_load_b128 v[2:5], v3 offset:8192
	s_wait_dscnt 0x1
	s_clause 0x1
	global_store_b64 v0, v[6:7], s[0:1] scale_offset
	global_store_b64 v0, v[8:9], s[2:3] scale_offset
	s_cbranch_execz .LBB216_25
	s_branch .LBB216_28
.LBB216_24:
                                        ; implicit-def: $vgpr4_vgpr5
.LBB216_25:
	v_and_b32_e32 v1, 0x1f0, v1
	s_barrier_signal -1
	s_barrier_wait -1
	s_wait_storecnt_dscnt 0x0
	s_mov_b32 s4, exec_lo
	v_lshl_add_u32 v1, v0, 4, v1
	ds_load_b128 v[2:5], v1 offset:8192
	s_wait_xcnt 0x0
	v_cmpx_gt_u32_e64 s8, v0
	s_cbranch_execz .LBB216_27
; %bb.26:
	v_lshrrev_b32_e32 v1, 1, v0
	s_delay_alu instid0(VALU_DEP_1) | instskip(NEXT) | instid1(VALU_DEP_1)
	v_and_b32_e32 v1, 0xf0, v1
	v_lshl_add_u32 v1, v0, 4, v1
	ds_load_b128 v[6:9], v1
	s_wait_dscnt 0x0
	s_clause 0x1
	global_store_b64 v0, v[6:7], s[0:1] scale_offset
	global_store_b64 v0, v[8:9], s[2:3] scale_offset
.LBB216_27:
	s_wait_xcnt 0x0
	s_or_b32 exec_lo, exec_lo, s4
	v_cmp_gt_u32_e64 s5, s8, v12
.LBB216_28:
	s_wait_xcnt 0x0
	s_delay_alu instid0(VALU_DEP_1)
	s_and_saveexec_b32 s4, s5
	s_cbranch_execnz .LBB216_30
; %bb.29:
	s_endpgm
.LBB216_30:
	s_wait_dscnt 0x0
	s_clause 0x1
	global_store_b64 v0, v[2:3], s[0:1] offset:4096 scale_offset
	global_store_b64 v0, v[4:5], s[2:3] offset:4096 scale_offset
	s_endpgm
	.section	.rodata,"a",@progbits
	.p2align	6, 0x0
	.amdhsa_kernel _ZN7rocprim17ROCPRIM_400000_NS6detail17trampoline_kernelINS0_14default_configENS1_21merge_config_selectorINS0_5tupleIJxxEEENS0_10empty_typeEEEZNS1_10merge_implIS3_NS0_12zip_iteratorINS5_IJN6thrust23THRUST_200600_302600_NS6detail15normal_iteratorINSC_10device_ptrIKxEEEESI_EEEEESK_NSA_INS5_IJNSE_INSF_IxEEEESM_EEEEEPS7_SP_SP_NSC_11hip_rocprim7__merge17predicate_wrapperIxxNSC_4lessIxEEEEEE10hipError_tPvRmT0_T1_T2_T3_T4_T5_mmT6_P12ihipStream_tbEUlT_E0_NS1_11comp_targetILNS1_3genE0ELNS1_11target_archE4294967295ELNS1_3gpuE0ELNS1_3repE0EEENS1_30default_config_static_selectorELNS0_4arch9wavefront6targetE0EEEvS10_
		.amdhsa_group_segment_fixed_size 16896
		.amdhsa_private_segment_fixed_size 0
		.amdhsa_kernarg_size 112
		.amdhsa_user_sgpr_count 2
		.amdhsa_user_sgpr_dispatch_ptr 0
		.amdhsa_user_sgpr_queue_ptr 0
		.amdhsa_user_sgpr_kernarg_segment_ptr 1
		.amdhsa_user_sgpr_dispatch_id 0
		.amdhsa_user_sgpr_kernarg_preload_length 0
		.amdhsa_user_sgpr_kernarg_preload_offset 0
		.amdhsa_user_sgpr_private_segment_size 0
		.amdhsa_wavefront_size32 1
		.amdhsa_uses_dynamic_stack 0
		.amdhsa_enable_private_segment 0
		.amdhsa_system_sgpr_workgroup_id_x 1
		.amdhsa_system_sgpr_workgroup_id_y 0
		.amdhsa_system_sgpr_workgroup_id_z 0
		.amdhsa_system_sgpr_workgroup_info 0
		.amdhsa_system_vgpr_workitem_id 0
		.amdhsa_next_free_vgpr 23
		.amdhsa_next_free_sgpr 25
		.amdhsa_named_barrier_count 0
		.amdhsa_reserve_vcc 1
		.amdhsa_float_round_mode_32 0
		.amdhsa_float_round_mode_16_64 0
		.amdhsa_float_denorm_mode_32 3
		.amdhsa_float_denorm_mode_16_64 3
		.amdhsa_fp16_overflow 0
		.amdhsa_memory_ordered 1
		.amdhsa_forward_progress 1
		.amdhsa_inst_pref_size 12
		.amdhsa_round_robin_scheduling 0
		.amdhsa_exception_fp_ieee_invalid_op 0
		.amdhsa_exception_fp_denorm_src 0
		.amdhsa_exception_fp_ieee_div_zero 0
		.amdhsa_exception_fp_ieee_overflow 0
		.amdhsa_exception_fp_ieee_underflow 0
		.amdhsa_exception_fp_ieee_inexact 0
		.amdhsa_exception_int_div_zero 0
	.end_amdhsa_kernel
	.section	.text._ZN7rocprim17ROCPRIM_400000_NS6detail17trampoline_kernelINS0_14default_configENS1_21merge_config_selectorINS0_5tupleIJxxEEENS0_10empty_typeEEEZNS1_10merge_implIS3_NS0_12zip_iteratorINS5_IJN6thrust23THRUST_200600_302600_NS6detail15normal_iteratorINSC_10device_ptrIKxEEEESI_EEEEESK_NSA_INS5_IJNSE_INSF_IxEEEESM_EEEEEPS7_SP_SP_NSC_11hip_rocprim7__merge17predicate_wrapperIxxNSC_4lessIxEEEEEE10hipError_tPvRmT0_T1_T2_T3_T4_T5_mmT6_P12ihipStream_tbEUlT_E0_NS1_11comp_targetILNS1_3genE0ELNS1_11target_archE4294967295ELNS1_3gpuE0ELNS1_3repE0EEENS1_30default_config_static_selectorELNS0_4arch9wavefront6targetE0EEEvS10_,"axG",@progbits,_ZN7rocprim17ROCPRIM_400000_NS6detail17trampoline_kernelINS0_14default_configENS1_21merge_config_selectorINS0_5tupleIJxxEEENS0_10empty_typeEEEZNS1_10merge_implIS3_NS0_12zip_iteratorINS5_IJN6thrust23THRUST_200600_302600_NS6detail15normal_iteratorINSC_10device_ptrIKxEEEESI_EEEEESK_NSA_INS5_IJNSE_INSF_IxEEEESM_EEEEEPS7_SP_SP_NSC_11hip_rocprim7__merge17predicate_wrapperIxxNSC_4lessIxEEEEEE10hipError_tPvRmT0_T1_T2_T3_T4_T5_mmT6_P12ihipStream_tbEUlT_E0_NS1_11comp_targetILNS1_3genE0ELNS1_11target_archE4294967295ELNS1_3gpuE0ELNS1_3repE0EEENS1_30default_config_static_selectorELNS0_4arch9wavefront6targetE0EEEvS10_,comdat
.Lfunc_end216:
	.size	_ZN7rocprim17ROCPRIM_400000_NS6detail17trampoline_kernelINS0_14default_configENS1_21merge_config_selectorINS0_5tupleIJxxEEENS0_10empty_typeEEEZNS1_10merge_implIS3_NS0_12zip_iteratorINS5_IJN6thrust23THRUST_200600_302600_NS6detail15normal_iteratorINSC_10device_ptrIKxEEEESI_EEEEESK_NSA_INS5_IJNSE_INSF_IxEEEESM_EEEEEPS7_SP_SP_NSC_11hip_rocprim7__merge17predicate_wrapperIxxNSC_4lessIxEEEEEE10hipError_tPvRmT0_T1_T2_T3_T4_T5_mmT6_P12ihipStream_tbEUlT_E0_NS1_11comp_targetILNS1_3genE0ELNS1_11target_archE4294967295ELNS1_3gpuE0ELNS1_3repE0EEENS1_30default_config_static_selectorELNS0_4arch9wavefront6targetE0EEEvS10_, .Lfunc_end216-_ZN7rocprim17ROCPRIM_400000_NS6detail17trampoline_kernelINS0_14default_configENS1_21merge_config_selectorINS0_5tupleIJxxEEENS0_10empty_typeEEEZNS1_10merge_implIS3_NS0_12zip_iteratorINS5_IJN6thrust23THRUST_200600_302600_NS6detail15normal_iteratorINSC_10device_ptrIKxEEEESI_EEEEESK_NSA_INS5_IJNSE_INSF_IxEEEESM_EEEEEPS7_SP_SP_NSC_11hip_rocprim7__merge17predicate_wrapperIxxNSC_4lessIxEEEEEE10hipError_tPvRmT0_T1_T2_T3_T4_T5_mmT6_P12ihipStream_tbEUlT_E0_NS1_11comp_targetILNS1_3genE0ELNS1_11target_archE4294967295ELNS1_3gpuE0ELNS1_3repE0EEENS1_30default_config_static_selectorELNS0_4arch9wavefront6targetE0EEEvS10_
                                        ; -- End function
	.set _ZN7rocprim17ROCPRIM_400000_NS6detail17trampoline_kernelINS0_14default_configENS1_21merge_config_selectorINS0_5tupleIJxxEEENS0_10empty_typeEEEZNS1_10merge_implIS3_NS0_12zip_iteratorINS5_IJN6thrust23THRUST_200600_302600_NS6detail15normal_iteratorINSC_10device_ptrIKxEEEESI_EEEEESK_NSA_INS5_IJNSE_INSF_IxEEEESM_EEEEEPS7_SP_SP_NSC_11hip_rocprim7__merge17predicate_wrapperIxxNSC_4lessIxEEEEEE10hipError_tPvRmT0_T1_T2_T3_T4_T5_mmT6_P12ihipStream_tbEUlT_E0_NS1_11comp_targetILNS1_3genE0ELNS1_11target_archE4294967295ELNS1_3gpuE0ELNS1_3repE0EEENS1_30default_config_static_selectorELNS0_4arch9wavefront6targetE0EEEvS10_.num_vgpr, 23
	.set _ZN7rocprim17ROCPRIM_400000_NS6detail17trampoline_kernelINS0_14default_configENS1_21merge_config_selectorINS0_5tupleIJxxEEENS0_10empty_typeEEEZNS1_10merge_implIS3_NS0_12zip_iteratorINS5_IJN6thrust23THRUST_200600_302600_NS6detail15normal_iteratorINSC_10device_ptrIKxEEEESI_EEEEESK_NSA_INS5_IJNSE_INSF_IxEEEESM_EEEEEPS7_SP_SP_NSC_11hip_rocprim7__merge17predicate_wrapperIxxNSC_4lessIxEEEEEE10hipError_tPvRmT0_T1_T2_T3_T4_T5_mmT6_P12ihipStream_tbEUlT_E0_NS1_11comp_targetILNS1_3genE0ELNS1_11target_archE4294967295ELNS1_3gpuE0ELNS1_3repE0EEENS1_30default_config_static_selectorELNS0_4arch9wavefront6targetE0EEEvS10_.num_agpr, 0
	.set _ZN7rocprim17ROCPRIM_400000_NS6detail17trampoline_kernelINS0_14default_configENS1_21merge_config_selectorINS0_5tupleIJxxEEENS0_10empty_typeEEEZNS1_10merge_implIS3_NS0_12zip_iteratorINS5_IJN6thrust23THRUST_200600_302600_NS6detail15normal_iteratorINSC_10device_ptrIKxEEEESI_EEEEESK_NSA_INS5_IJNSE_INSF_IxEEEESM_EEEEEPS7_SP_SP_NSC_11hip_rocprim7__merge17predicate_wrapperIxxNSC_4lessIxEEEEEE10hipError_tPvRmT0_T1_T2_T3_T4_T5_mmT6_P12ihipStream_tbEUlT_E0_NS1_11comp_targetILNS1_3genE0ELNS1_11target_archE4294967295ELNS1_3gpuE0ELNS1_3repE0EEENS1_30default_config_static_selectorELNS0_4arch9wavefront6targetE0EEEvS10_.numbered_sgpr, 25
	.set _ZN7rocprim17ROCPRIM_400000_NS6detail17trampoline_kernelINS0_14default_configENS1_21merge_config_selectorINS0_5tupleIJxxEEENS0_10empty_typeEEEZNS1_10merge_implIS3_NS0_12zip_iteratorINS5_IJN6thrust23THRUST_200600_302600_NS6detail15normal_iteratorINSC_10device_ptrIKxEEEESI_EEEEESK_NSA_INS5_IJNSE_INSF_IxEEEESM_EEEEEPS7_SP_SP_NSC_11hip_rocprim7__merge17predicate_wrapperIxxNSC_4lessIxEEEEEE10hipError_tPvRmT0_T1_T2_T3_T4_T5_mmT6_P12ihipStream_tbEUlT_E0_NS1_11comp_targetILNS1_3genE0ELNS1_11target_archE4294967295ELNS1_3gpuE0ELNS1_3repE0EEENS1_30default_config_static_selectorELNS0_4arch9wavefront6targetE0EEEvS10_.num_named_barrier, 0
	.set _ZN7rocprim17ROCPRIM_400000_NS6detail17trampoline_kernelINS0_14default_configENS1_21merge_config_selectorINS0_5tupleIJxxEEENS0_10empty_typeEEEZNS1_10merge_implIS3_NS0_12zip_iteratorINS5_IJN6thrust23THRUST_200600_302600_NS6detail15normal_iteratorINSC_10device_ptrIKxEEEESI_EEEEESK_NSA_INS5_IJNSE_INSF_IxEEEESM_EEEEEPS7_SP_SP_NSC_11hip_rocprim7__merge17predicate_wrapperIxxNSC_4lessIxEEEEEE10hipError_tPvRmT0_T1_T2_T3_T4_T5_mmT6_P12ihipStream_tbEUlT_E0_NS1_11comp_targetILNS1_3genE0ELNS1_11target_archE4294967295ELNS1_3gpuE0ELNS1_3repE0EEENS1_30default_config_static_selectorELNS0_4arch9wavefront6targetE0EEEvS10_.private_seg_size, 0
	.set _ZN7rocprim17ROCPRIM_400000_NS6detail17trampoline_kernelINS0_14default_configENS1_21merge_config_selectorINS0_5tupleIJxxEEENS0_10empty_typeEEEZNS1_10merge_implIS3_NS0_12zip_iteratorINS5_IJN6thrust23THRUST_200600_302600_NS6detail15normal_iteratorINSC_10device_ptrIKxEEEESI_EEEEESK_NSA_INS5_IJNSE_INSF_IxEEEESM_EEEEEPS7_SP_SP_NSC_11hip_rocprim7__merge17predicate_wrapperIxxNSC_4lessIxEEEEEE10hipError_tPvRmT0_T1_T2_T3_T4_T5_mmT6_P12ihipStream_tbEUlT_E0_NS1_11comp_targetILNS1_3genE0ELNS1_11target_archE4294967295ELNS1_3gpuE0ELNS1_3repE0EEENS1_30default_config_static_selectorELNS0_4arch9wavefront6targetE0EEEvS10_.uses_vcc, 1
	.set _ZN7rocprim17ROCPRIM_400000_NS6detail17trampoline_kernelINS0_14default_configENS1_21merge_config_selectorINS0_5tupleIJxxEEENS0_10empty_typeEEEZNS1_10merge_implIS3_NS0_12zip_iteratorINS5_IJN6thrust23THRUST_200600_302600_NS6detail15normal_iteratorINSC_10device_ptrIKxEEEESI_EEEEESK_NSA_INS5_IJNSE_INSF_IxEEEESM_EEEEEPS7_SP_SP_NSC_11hip_rocprim7__merge17predicate_wrapperIxxNSC_4lessIxEEEEEE10hipError_tPvRmT0_T1_T2_T3_T4_T5_mmT6_P12ihipStream_tbEUlT_E0_NS1_11comp_targetILNS1_3genE0ELNS1_11target_archE4294967295ELNS1_3gpuE0ELNS1_3repE0EEENS1_30default_config_static_selectorELNS0_4arch9wavefront6targetE0EEEvS10_.uses_flat_scratch, 0
	.set _ZN7rocprim17ROCPRIM_400000_NS6detail17trampoline_kernelINS0_14default_configENS1_21merge_config_selectorINS0_5tupleIJxxEEENS0_10empty_typeEEEZNS1_10merge_implIS3_NS0_12zip_iteratorINS5_IJN6thrust23THRUST_200600_302600_NS6detail15normal_iteratorINSC_10device_ptrIKxEEEESI_EEEEESK_NSA_INS5_IJNSE_INSF_IxEEEESM_EEEEEPS7_SP_SP_NSC_11hip_rocprim7__merge17predicate_wrapperIxxNSC_4lessIxEEEEEE10hipError_tPvRmT0_T1_T2_T3_T4_T5_mmT6_P12ihipStream_tbEUlT_E0_NS1_11comp_targetILNS1_3genE0ELNS1_11target_archE4294967295ELNS1_3gpuE0ELNS1_3repE0EEENS1_30default_config_static_selectorELNS0_4arch9wavefront6targetE0EEEvS10_.has_dyn_sized_stack, 0
	.set _ZN7rocprim17ROCPRIM_400000_NS6detail17trampoline_kernelINS0_14default_configENS1_21merge_config_selectorINS0_5tupleIJxxEEENS0_10empty_typeEEEZNS1_10merge_implIS3_NS0_12zip_iteratorINS5_IJN6thrust23THRUST_200600_302600_NS6detail15normal_iteratorINSC_10device_ptrIKxEEEESI_EEEEESK_NSA_INS5_IJNSE_INSF_IxEEEESM_EEEEEPS7_SP_SP_NSC_11hip_rocprim7__merge17predicate_wrapperIxxNSC_4lessIxEEEEEE10hipError_tPvRmT0_T1_T2_T3_T4_T5_mmT6_P12ihipStream_tbEUlT_E0_NS1_11comp_targetILNS1_3genE0ELNS1_11target_archE4294967295ELNS1_3gpuE0ELNS1_3repE0EEENS1_30default_config_static_selectorELNS0_4arch9wavefront6targetE0EEEvS10_.has_recursion, 0
	.set _ZN7rocprim17ROCPRIM_400000_NS6detail17trampoline_kernelINS0_14default_configENS1_21merge_config_selectorINS0_5tupleIJxxEEENS0_10empty_typeEEEZNS1_10merge_implIS3_NS0_12zip_iteratorINS5_IJN6thrust23THRUST_200600_302600_NS6detail15normal_iteratorINSC_10device_ptrIKxEEEESI_EEEEESK_NSA_INS5_IJNSE_INSF_IxEEEESM_EEEEEPS7_SP_SP_NSC_11hip_rocprim7__merge17predicate_wrapperIxxNSC_4lessIxEEEEEE10hipError_tPvRmT0_T1_T2_T3_T4_T5_mmT6_P12ihipStream_tbEUlT_E0_NS1_11comp_targetILNS1_3genE0ELNS1_11target_archE4294967295ELNS1_3gpuE0ELNS1_3repE0EEENS1_30default_config_static_selectorELNS0_4arch9wavefront6targetE0EEEvS10_.has_indirect_call, 0
	.section	.AMDGPU.csdata,"",@progbits
; Kernel info:
; codeLenInByte = 1428
; TotalNumSgprs: 27
; NumVgprs: 23
; ScratchSize: 0
; MemoryBound: 0
; FloatMode: 240
; IeeeMode: 1
; LDSByteSize: 16896 bytes/workgroup (compile time only)
; SGPRBlocks: 0
; VGPRBlocks: 1
; NumSGPRsForWavesPerEU: 27
; NumVGPRsForWavesPerEU: 23
; NamedBarCnt: 0
; Occupancy: 16
; WaveLimiterHint : 1
; COMPUTE_PGM_RSRC2:SCRATCH_EN: 0
; COMPUTE_PGM_RSRC2:USER_SGPR: 2
; COMPUTE_PGM_RSRC2:TRAP_HANDLER: 0
; COMPUTE_PGM_RSRC2:TGID_X_EN: 1
; COMPUTE_PGM_RSRC2:TGID_Y_EN: 0
; COMPUTE_PGM_RSRC2:TGID_Z_EN: 0
; COMPUTE_PGM_RSRC2:TIDIG_COMP_CNT: 0
	.section	.text._ZN7rocprim17ROCPRIM_400000_NS6detail17trampoline_kernelINS0_14default_configENS1_21merge_config_selectorINS0_5tupleIJxxEEENS0_10empty_typeEEEZNS1_10merge_implIS3_NS0_12zip_iteratorINS5_IJN6thrust23THRUST_200600_302600_NS6detail15normal_iteratorINSC_10device_ptrIKxEEEESI_EEEEESK_NSA_INS5_IJNSE_INSF_IxEEEESM_EEEEEPS7_SP_SP_NSC_11hip_rocprim7__merge17predicate_wrapperIxxNSC_4lessIxEEEEEE10hipError_tPvRmT0_T1_T2_T3_T4_T5_mmT6_P12ihipStream_tbEUlT_E0_NS1_11comp_targetILNS1_3genE5ELNS1_11target_archE942ELNS1_3gpuE9ELNS1_3repE0EEENS1_30default_config_static_selectorELNS0_4arch9wavefront6targetE0EEEvS10_,"axG",@progbits,_ZN7rocprim17ROCPRIM_400000_NS6detail17trampoline_kernelINS0_14default_configENS1_21merge_config_selectorINS0_5tupleIJxxEEENS0_10empty_typeEEEZNS1_10merge_implIS3_NS0_12zip_iteratorINS5_IJN6thrust23THRUST_200600_302600_NS6detail15normal_iteratorINSC_10device_ptrIKxEEEESI_EEEEESK_NSA_INS5_IJNSE_INSF_IxEEEESM_EEEEEPS7_SP_SP_NSC_11hip_rocprim7__merge17predicate_wrapperIxxNSC_4lessIxEEEEEE10hipError_tPvRmT0_T1_T2_T3_T4_T5_mmT6_P12ihipStream_tbEUlT_E0_NS1_11comp_targetILNS1_3genE5ELNS1_11target_archE942ELNS1_3gpuE9ELNS1_3repE0EEENS1_30default_config_static_selectorELNS0_4arch9wavefront6targetE0EEEvS10_,comdat
	.protected	_ZN7rocprim17ROCPRIM_400000_NS6detail17trampoline_kernelINS0_14default_configENS1_21merge_config_selectorINS0_5tupleIJxxEEENS0_10empty_typeEEEZNS1_10merge_implIS3_NS0_12zip_iteratorINS5_IJN6thrust23THRUST_200600_302600_NS6detail15normal_iteratorINSC_10device_ptrIKxEEEESI_EEEEESK_NSA_INS5_IJNSE_INSF_IxEEEESM_EEEEEPS7_SP_SP_NSC_11hip_rocprim7__merge17predicate_wrapperIxxNSC_4lessIxEEEEEE10hipError_tPvRmT0_T1_T2_T3_T4_T5_mmT6_P12ihipStream_tbEUlT_E0_NS1_11comp_targetILNS1_3genE5ELNS1_11target_archE942ELNS1_3gpuE9ELNS1_3repE0EEENS1_30default_config_static_selectorELNS0_4arch9wavefront6targetE0EEEvS10_ ; -- Begin function _ZN7rocprim17ROCPRIM_400000_NS6detail17trampoline_kernelINS0_14default_configENS1_21merge_config_selectorINS0_5tupleIJxxEEENS0_10empty_typeEEEZNS1_10merge_implIS3_NS0_12zip_iteratorINS5_IJN6thrust23THRUST_200600_302600_NS6detail15normal_iteratorINSC_10device_ptrIKxEEEESI_EEEEESK_NSA_INS5_IJNSE_INSF_IxEEEESM_EEEEEPS7_SP_SP_NSC_11hip_rocprim7__merge17predicate_wrapperIxxNSC_4lessIxEEEEEE10hipError_tPvRmT0_T1_T2_T3_T4_T5_mmT6_P12ihipStream_tbEUlT_E0_NS1_11comp_targetILNS1_3genE5ELNS1_11target_archE942ELNS1_3gpuE9ELNS1_3repE0EEENS1_30default_config_static_selectorELNS0_4arch9wavefront6targetE0EEEvS10_
	.globl	_ZN7rocprim17ROCPRIM_400000_NS6detail17trampoline_kernelINS0_14default_configENS1_21merge_config_selectorINS0_5tupleIJxxEEENS0_10empty_typeEEEZNS1_10merge_implIS3_NS0_12zip_iteratorINS5_IJN6thrust23THRUST_200600_302600_NS6detail15normal_iteratorINSC_10device_ptrIKxEEEESI_EEEEESK_NSA_INS5_IJNSE_INSF_IxEEEESM_EEEEEPS7_SP_SP_NSC_11hip_rocprim7__merge17predicate_wrapperIxxNSC_4lessIxEEEEEE10hipError_tPvRmT0_T1_T2_T3_T4_T5_mmT6_P12ihipStream_tbEUlT_E0_NS1_11comp_targetILNS1_3genE5ELNS1_11target_archE942ELNS1_3gpuE9ELNS1_3repE0EEENS1_30default_config_static_selectorELNS0_4arch9wavefront6targetE0EEEvS10_
	.p2align	8
	.type	_ZN7rocprim17ROCPRIM_400000_NS6detail17trampoline_kernelINS0_14default_configENS1_21merge_config_selectorINS0_5tupleIJxxEEENS0_10empty_typeEEEZNS1_10merge_implIS3_NS0_12zip_iteratorINS5_IJN6thrust23THRUST_200600_302600_NS6detail15normal_iteratorINSC_10device_ptrIKxEEEESI_EEEEESK_NSA_INS5_IJNSE_INSF_IxEEEESM_EEEEEPS7_SP_SP_NSC_11hip_rocprim7__merge17predicate_wrapperIxxNSC_4lessIxEEEEEE10hipError_tPvRmT0_T1_T2_T3_T4_T5_mmT6_P12ihipStream_tbEUlT_E0_NS1_11comp_targetILNS1_3genE5ELNS1_11target_archE942ELNS1_3gpuE9ELNS1_3repE0EEENS1_30default_config_static_selectorELNS0_4arch9wavefront6targetE0EEEvS10_,@function
_ZN7rocprim17ROCPRIM_400000_NS6detail17trampoline_kernelINS0_14default_configENS1_21merge_config_selectorINS0_5tupleIJxxEEENS0_10empty_typeEEEZNS1_10merge_implIS3_NS0_12zip_iteratorINS5_IJN6thrust23THRUST_200600_302600_NS6detail15normal_iteratorINSC_10device_ptrIKxEEEESI_EEEEESK_NSA_INS5_IJNSE_INSF_IxEEEESM_EEEEEPS7_SP_SP_NSC_11hip_rocprim7__merge17predicate_wrapperIxxNSC_4lessIxEEEEEE10hipError_tPvRmT0_T1_T2_T3_T4_T5_mmT6_P12ihipStream_tbEUlT_E0_NS1_11comp_targetILNS1_3genE5ELNS1_11target_archE942ELNS1_3gpuE9ELNS1_3repE0EEENS1_30default_config_static_selectorELNS0_4arch9wavefront6targetE0EEEvS10_: ; @_ZN7rocprim17ROCPRIM_400000_NS6detail17trampoline_kernelINS0_14default_configENS1_21merge_config_selectorINS0_5tupleIJxxEEENS0_10empty_typeEEEZNS1_10merge_implIS3_NS0_12zip_iteratorINS5_IJN6thrust23THRUST_200600_302600_NS6detail15normal_iteratorINSC_10device_ptrIKxEEEESI_EEEEESK_NSA_INS5_IJNSE_INSF_IxEEEESM_EEEEEPS7_SP_SP_NSC_11hip_rocprim7__merge17predicate_wrapperIxxNSC_4lessIxEEEEEE10hipError_tPvRmT0_T1_T2_T3_T4_T5_mmT6_P12ihipStream_tbEUlT_E0_NS1_11comp_targetILNS1_3genE5ELNS1_11target_archE942ELNS1_3gpuE9ELNS1_3repE0EEENS1_30default_config_static_selectorELNS0_4arch9wavefront6targetE0EEEvS10_
; %bb.0:
	.section	.rodata,"a",@progbits
	.p2align	6, 0x0
	.amdhsa_kernel _ZN7rocprim17ROCPRIM_400000_NS6detail17trampoline_kernelINS0_14default_configENS1_21merge_config_selectorINS0_5tupleIJxxEEENS0_10empty_typeEEEZNS1_10merge_implIS3_NS0_12zip_iteratorINS5_IJN6thrust23THRUST_200600_302600_NS6detail15normal_iteratorINSC_10device_ptrIKxEEEESI_EEEEESK_NSA_INS5_IJNSE_INSF_IxEEEESM_EEEEEPS7_SP_SP_NSC_11hip_rocprim7__merge17predicate_wrapperIxxNSC_4lessIxEEEEEE10hipError_tPvRmT0_T1_T2_T3_T4_T5_mmT6_P12ihipStream_tbEUlT_E0_NS1_11comp_targetILNS1_3genE5ELNS1_11target_archE942ELNS1_3gpuE9ELNS1_3repE0EEENS1_30default_config_static_selectorELNS0_4arch9wavefront6targetE0EEEvS10_
		.amdhsa_group_segment_fixed_size 0
		.amdhsa_private_segment_fixed_size 0
		.amdhsa_kernarg_size 112
		.amdhsa_user_sgpr_count 2
		.amdhsa_user_sgpr_dispatch_ptr 0
		.amdhsa_user_sgpr_queue_ptr 0
		.amdhsa_user_sgpr_kernarg_segment_ptr 1
		.amdhsa_user_sgpr_dispatch_id 0
		.amdhsa_user_sgpr_kernarg_preload_length 0
		.amdhsa_user_sgpr_kernarg_preload_offset 0
		.amdhsa_user_sgpr_private_segment_size 0
		.amdhsa_wavefront_size32 1
		.amdhsa_uses_dynamic_stack 0
		.amdhsa_enable_private_segment 0
		.amdhsa_system_sgpr_workgroup_id_x 1
		.amdhsa_system_sgpr_workgroup_id_y 0
		.amdhsa_system_sgpr_workgroup_id_z 0
		.amdhsa_system_sgpr_workgroup_info 0
		.amdhsa_system_vgpr_workitem_id 0
		.amdhsa_next_free_vgpr 1
		.amdhsa_next_free_sgpr 1
		.amdhsa_named_barrier_count 0
		.amdhsa_reserve_vcc 0
		.amdhsa_float_round_mode_32 0
		.amdhsa_float_round_mode_16_64 0
		.amdhsa_float_denorm_mode_32 3
		.amdhsa_float_denorm_mode_16_64 3
		.amdhsa_fp16_overflow 0
		.amdhsa_memory_ordered 1
		.amdhsa_forward_progress 1
		.amdhsa_inst_pref_size 0
		.amdhsa_round_robin_scheduling 0
		.amdhsa_exception_fp_ieee_invalid_op 0
		.amdhsa_exception_fp_denorm_src 0
		.amdhsa_exception_fp_ieee_div_zero 0
		.amdhsa_exception_fp_ieee_overflow 0
		.amdhsa_exception_fp_ieee_underflow 0
		.amdhsa_exception_fp_ieee_inexact 0
		.amdhsa_exception_int_div_zero 0
	.end_amdhsa_kernel
	.section	.text._ZN7rocprim17ROCPRIM_400000_NS6detail17trampoline_kernelINS0_14default_configENS1_21merge_config_selectorINS0_5tupleIJxxEEENS0_10empty_typeEEEZNS1_10merge_implIS3_NS0_12zip_iteratorINS5_IJN6thrust23THRUST_200600_302600_NS6detail15normal_iteratorINSC_10device_ptrIKxEEEESI_EEEEESK_NSA_INS5_IJNSE_INSF_IxEEEESM_EEEEEPS7_SP_SP_NSC_11hip_rocprim7__merge17predicate_wrapperIxxNSC_4lessIxEEEEEE10hipError_tPvRmT0_T1_T2_T3_T4_T5_mmT6_P12ihipStream_tbEUlT_E0_NS1_11comp_targetILNS1_3genE5ELNS1_11target_archE942ELNS1_3gpuE9ELNS1_3repE0EEENS1_30default_config_static_selectorELNS0_4arch9wavefront6targetE0EEEvS10_,"axG",@progbits,_ZN7rocprim17ROCPRIM_400000_NS6detail17trampoline_kernelINS0_14default_configENS1_21merge_config_selectorINS0_5tupleIJxxEEENS0_10empty_typeEEEZNS1_10merge_implIS3_NS0_12zip_iteratorINS5_IJN6thrust23THRUST_200600_302600_NS6detail15normal_iteratorINSC_10device_ptrIKxEEEESI_EEEEESK_NSA_INS5_IJNSE_INSF_IxEEEESM_EEEEEPS7_SP_SP_NSC_11hip_rocprim7__merge17predicate_wrapperIxxNSC_4lessIxEEEEEE10hipError_tPvRmT0_T1_T2_T3_T4_T5_mmT6_P12ihipStream_tbEUlT_E0_NS1_11comp_targetILNS1_3genE5ELNS1_11target_archE942ELNS1_3gpuE9ELNS1_3repE0EEENS1_30default_config_static_selectorELNS0_4arch9wavefront6targetE0EEEvS10_,comdat
.Lfunc_end217:
	.size	_ZN7rocprim17ROCPRIM_400000_NS6detail17trampoline_kernelINS0_14default_configENS1_21merge_config_selectorINS0_5tupleIJxxEEENS0_10empty_typeEEEZNS1_10merge_implIS3_NS0_12zip_iteratorINS5_IJN6thrust23THRUST_200600_302600_NS6detail15normal_iteratorINSC_10device_ptrIKxEEEESI_EEEEESK_NSA_INS5_IJNSE_INSF_IxEEEESM_EEEEEPS7_SP_SP_NSC_11hip_rocprim7__merge17predicate_wrapperIxxNSC_4lessIxEEEEEE10hipError_tPvRmT0_T1_T2_T3_T4_T5_mmT6_P12ihipStream_tbEUlT_E0_NS1_11comp_targetILNS1_3genE5ELNS1_11target_archE942ELNS1_3gpuE9ELNS1_3repE0EEENS1_30default_config_static_selectorELNS0_4arch9wavefront6targetE0EEEvS10_, .Lfunc_end217-_ZN7rocprim17ROCPRIM_400000_NS6detail17trampoline_kernelINS0_14default_configENS1_21merge_config_selectorINS0_5tupleIJxxEEENS0_10empty_typeEEEZNS1_10merge_implIS3_NS0_12zip_iteratorINS5_IJN6thrust23THRUST_200600_302600_NS6detail15normal_iteratorINSC_10device_ptrIKxEEEESI_EEEEESK_NSA_INS5_IJNSE_INSF_IxEEEESM_EEEEEPS7_SP_SP_NSC_11hip_rocprim7__merge17predicate_wrapperIxxNSC_4lessIxEEEEEE10hipError_tPvRmT0_T1_T2_T3_T4_T5_mmT6_P12ihipStream_tbEUlT_E0_NS1_11comp_targetILNS1_3genE5ELNS1_11target_archE942ELNS1_3gpuE9ELNS1_3repE0EEENS1_30default_config_static_selectorELNS0_4arch9wavefront6targetE0EEEvS10_
                                        ; -- End function
	.set _ZN7rocprim17ROCPRIM_400000_NS6detail17trampoline_kernelINS0_14default_configENS1_21merge_config_selectorINS0_5tupleIJxxEEENS0_10empty_typeEEEZNS1_10merge_implIS3_NS0_12zip_iteratorINS5_IJN6thrust23THRUST_200600_302600_NS6detail15normal_iteratorINSC_10device_ptrIKxEEEESI_EEEEESK_NSA_INS5_IJNSE_INSF_IxEEEESM_EEEEEPS7_SP_SP_NSC_11hip_rocprim7__merge17predicate_wrapperIxxNSC_4lessIxEEEEEE10hipError_tPvRmT0_T1_T2_T3_T4_T5_mmT6_P12ihipStream_tbEUlT_E0_NS1_11comp_targetILNS1_3genE5ELNS1_11target_archE942ELNS1_3gpuE9ELNS1_3repE0EEENS1_30default_config_static_selectorELNS0_4arch9wavefront6targetE0EEEvS10_.num_vgpr, 0
	.set _ZN7rocprim17ROCPRIM_400000_NS6detail17trampoline_kernelINS0_14default_configENS1_21merge_config_selectorINS0_5tupleIJxxEEENS0_10empty_typeEEEZNS1_10merge_implIS3_NS0_12zip_iteratorINS5_IJN6thrust23THRUST_200600_302600_NS6detail15normal_iteratorINSC_10device_ptrIKxEEEESI_EEEEESK_NSA_INS5_IJNSE_INSF_IxEEEESM_EEEEEPS7_SP_SP_NSC_11hip_rocprim7__merge17predicate_wrapperIxxNSC_4lessIxEEEEEE10hipError_tPvRmT0_T1_T2_T3_T4_T5_mmT6_P12ihipStream_tbEUlT_E0_NS1_11comp_targetILNS1_3genE5ELNS1_11target_archE942ELNS1_3gpuE9ELNS1_3repE0EEENS1_30default_config_static_selectorELNS0_4arch9wavefront6targetE0EEEvS10_.num_agpr, 0
	.set _ZN7rocprim17ROCPRIM_400000_NS6detail17trampoline_kernelINS0_14default_configENS1_21merge_config_selectorINS0_5tupleIJxxEEENS0_10empty_typeEEEZNS1_10merge_implIS3_NS0_12zip_iteratorINS5_IJN6thrust23THRUST_200600_302600_NS6detail15normal_iteratorINSC_10device_ptrIKxEEEESI_EEEEESK_NSA_INS5_IJNSE_INSF_IxEEEESM_EEEEEPS7_SP_SP_NSC_11hip_rocprim7__merge17predicate_wrapperIxxNSC_4lessIxEEEEEE10hipError_tPvRmT0_T1_T2_T3_T4_T5_mmT6_P12ihipStream_tbEUlT_E0_NS1_11comp_targetILNS1_3genE5ELNS1_11target_archE942ELNS1_3gpuE9ELNS1_3repE0EEENS1_30default_config_static_selectorELNS0_4arch9wavefront6targetE0EEEvS10_.numbered_sgpr, 0
	.set _ZN7rocprim17ROCPRIM_400000_NS6detail17trampoline_kernelINS0_14default_configENS1_21merge_config_selectorINS0_5tupleIJxxEEENS0_10empty_typeEEEZNS1_10merge_implIS3_NS0_12zip_iteratorINS5_IJN6thrust23THRUST_200600_302600_NS6detail15normal_iteratorINSC_10device_ptrIKxEEEESI_EEEEESK_NSA_INS5_IJNSE_INSF_IxEEEESM_EEEEEPS7_SP_SP_NSC_11hip_rocprim7__merge17predicate_wrapperIxxNSC_4lessIxEEEEEE10hipError_tPvRmT0_T1_T2_T3_T4_T5_mmT6_P12ihipStream_tbEUlT_E0_NS1_11comp_targetILNS1_3genE5ELNS1_11target_archE942ELNS1_3gpuE9ELNS1_3repE0EEENS1_30default_config_static_selectorELNS0_4arch9wavefront6targetE0EEEvS10_.num_named_barrier, 0
	.set _ZN7rocprim17ROCPRIM_400000_NS6detail17trampoline_kernelINS0_14default_configENS1_21merge_config_selectorINS0_5tupleIJxxEEENS0_10empty_typeEEEZNS1_10merge_implIS3_NS0_12zip_iteratorINS5_IJN6thrust23THRUST_200600_302600_NS6detail15normal_iteratorINSC_10device_ptrIKxEEEESI_EEEEESK_NSA_INS5_IJNSE_INSF_IxEEEESM_EEEEEPS7_SP_SP_NSC_11hip_rocprim7__merge17predicate_wrapperIxxNSC_4lessIxEEEEEE10hipError_tPvRmT0_T1_T2_T3_T4_T5_mmT6_P12ihipStream_tbEUlT_E0_NS1_11comp_targetILNS1_3genE5ELNS1_11target_archE942ELNS1_3gpuE9ELNS1_3repE0EEENS1_30default_config_static_selectorELNS0_4arch9wavefront6targetE0EEEvS10_.private_seg_size, 0
	.set _ZN7rocprim17ROCPRIM_400000_NS6detail17trampoline_kernelINS0_14default_configENS1_21merge_config_selectorINS0_5tupleIJxxEEENS0_10empty_typeEEEZNS1_10merge_implIS3_NS0_12zip_iteratorINS5_IJN6thrust23THRUST_200600_302600_NS6detail15normal_iteratorINSC_10device_ptrIKxEEEESI_EEEEESK_NSA_INS5_IJNSE_INSF_IxEEEESM_EEEEEPS7_SP_SP_NSC_11hip_rocprim7__merge17predicate_wrapperIxxNSC_4lessIxEEEEEE10hipError_tPvRmT0_T1_T2_T3_T4_T5_mmT6_P12ihipStream_tbEUlT_E0_NS1_11comp_targetILNS1_3genE5ELNS1_11target_archE942ELNS1_3gpuE9ELNS1_3repE0EEENS1_30default_config_static_selectorELNS0_4arch9wavefront6targetE0EEEvS10_.uses_vcc, 0
	.set _ZN7rocprim17ROCPRIM_400000_NS6detail17trampoline_kernelINS0_14default_configENS1_21merge_config_selectorINS0_5tupleIJxxEEENS0_10empty_typeEEEZNS1_10merge_implIS3_NS0_12zip_iteratorINS5_IJN6thrust23THRUST_200600_302600_NS6detail15normal_iteratorINSC_10device_ptrIKxEEEESI_EEEEESK_NSA_INS5_IJNSE_INSF_IxEEEESM_EEEEEPS7_SP_SP_NSC_11hip_rocprim7__merge17predicate_wrapperIxxNSC_4lessIxEEEEEE10hipError_tPvRmT0_T1_T2_T3_T4_T5_mmT6_P12ihipStream_tbEUlT_E0_NS1_11comp_targetILNS1_3genE5ELNS1_11target_archE942ELNS1_3gpuE9ELNS1_3repE0EEENS1_30default_config_static_selectorELNS0_4arch9wavefront6targetE0EEEvS10_.uses_flat_scratch, 0
	.set _ZN7rocprim17ROCPRIM_400000_NS6detail17trampoline_kernelINS0_14default_configENS1_21merge_config_selectorINS0_5tupleIJxxEEENS0_10empty_typeEEEZNS1_10merge_implIS3_NS0_12zip_iteratorINS5_IJN6thrust23THRUST_200600_302600_NS6detail15normal_iteratorINSC_10device_ptrIKxEEEESI_EEEEESK_NSA_INS5_IJNSE_INSF_IxEEEESM_EEEEEPS7_SP_SP_NSC_11hip_rocprim7__merge17predicate_wrapperIxxNSC_4lessIxEEEEEE10hipError_tPvRmT0_T1_T2_T3_T4_T5_mmT6_P12ihipStream_tbEUlT_E0_NS1_11comp_targetILNS1_3genE5ELNS1_11target_archE942ELNS1_3gpuE9ELNS1_3repE0EEENS1_30default_config_static_selectorELNS0_4arch9wavefront6targetE0EEEvS10_.has_dyn_sized_stack, 0
	.set _ZN7rocprim17ROCPRIM_400000_NS6detail17trampoline_kernelINS0_14default_configENS1_21merge_config_selectorINS0_5tupleIJxxEEENS0_10empty_typeEEEZNS1_10merge_implIS3_NS0_12zip_iteratorINS5_IJN6thrust23THRUST_200600_302600_NS6detail15normal_iteratorINSC_10device_ptrIKxEEEESI_EEEEESK_NSA_INS5_IJNSE_INSF_IxEEEESM_EEEEEPS7_SP_SP_NSC_11hip_rocprim7__merge17predicate_wrapperIxxNSC_4lessIxEEEEEE10hipError_tPvRmT0_T1_T2_T3_T4_T5_mmT6_P12ihipStream_tbEUlT_E0_NS1_11comp_targetILNS1_3genE5ELNS1_11target_archE942ELNS1_3gpuE9ELNS1_3repE0EEENS1_30default_config_static_selectorELNS0_4arch9wavefront6targetE0EEEvS10_.has_recursion, 0
	.set _ZN7rocprim17ROCPRIM_400000_NS6detail17trampoline_kernelINS0_14default_configENS1_21merge_config_selectorINS0_5tupleIJxxEEENS0_10empty_typeEEEZNS1_10merge_implIS3_NS0_12zip_iteratorINS5_IJN6thrust23THRUST_200600_302600_NS6detail15normal_iteratorINSC_10device_ptrIKxEEEESI_EEEEESK_NSA_INS5_IJNSE_INSF_IxEEEESM_EEEEEPS7_SP_SP_NSC_11hip_rocprim7__merge17predicate_wrapperIxxNSC_4lessIxEEEEEE10hipError_tPvRmT0_T1_T2_T3_T4_T5_mmT6_P12ihipStream_tbEUlT_E0_NS1_11comp_targetILNS1_3genE5ELNS1_11target_archE942ELNS1_3gpuE9ELNS1_3repE0EEENS1_30default_config_static_selectorELNS0_4arch9wavefront6targetE0EEEvS10_.has_indirect_call, 0
	.section	.AMDGPU.csdata,"",@progbits
; Kernel info:
; codeLenInByte = 0
; TotalNumSgprs: 0
; NumVgprs: 0
; ScratchSize: 0
; MemoryBound: 0
; FloatMode: 240
; IeeeMode: 1
; LDSByteSize: 0 bytes/workgroup (compile time only)
; SGPRBlocks: 0
; VGPRBlocks: 0
; NumSGPRsForWavesPerEU: 1
; NumVGPRsForWavesPerEU: 1
; NamedBarCnt: 0
; Occupancy: 16
; WaveLimiterHint : 0
; COMPUTE_PGM_RSRC2:SCRATCH_EN: 0
; COMPUTE_PGM_RSRC2:USER_SGPR: 2
; COMPUTE_PGM_RSRC2:TRAP_HANDLER: 0
; COMPUTE_PGM_RSRC2:TGID_X_EN: 1
; COMPUTE_PGM_RSRC2:TGID_Y_EN: 0
; COMPUTE_PGM_RSRC2:TGID_Z_EN: 0
; COMPUTE_PGM_RSRC2:TIDIG_COMP_CNT: 0
	.section	.text._ZN7rocprim17ROCPRIM_400000_NS6detail17trampoline_kernelINS0_14default_configENS1_21merge_config_selectorINS0_5tupleIJxxEEENS0_10empty_typeEEEZNS1_10merge_implIS3_NS0_12zip_iteratorINS5_IJN6thrust23THRUST_200600_302600_NS6detail15normal_iteratorINSC_10device_ptrIKxEEEESI_EEEEESK_NSA_INS5_IJNSE_INSF_IxEEEESM_EEEEEPS7_SP_SP_NSC_11hip_rocprim7__merge17predicate_wrapperIxxNSC_4lessIxEEEEEE10hipError_tPvRmT0_T1_T2_T3_T4_T5_mmT6_P12ihipStream_tbEUlT_E0_NS1_11comp_targetILNS1_3genE4ELNS1_11target_archE910ELNS1_3gpuE8ELNS1_3repE0EEENS1_30default_config_static_selectorELNS0_4arch9wavefront6targetE0EEEvS10_,"axG",@progbits,_ZN7rocprim17ROCPRIM_400000_NS6detail17trampoline_kernelINS0_14default_configENS1_21merge_config_selectorINS0_5tupleIJxxEEENS0_10empty_typeEEEZNS1_10merge_implIS3_NS0_12zip_iteratorINS5_IJN6thrust23THRUST_200600_302600_NS6detail15normal_iteratorINSC_10device_ptrIKxEEEESI_EEEEESK_NSA_INS5_IJNSE_INSF_IxEEEESM_EEEEEPS7_SP_SP_NSC_11hip_rocprim7__merge17predicate_wrapperIxxNSC_4lessIxEEEEEE10hipError_tPvRmT0_T1_T2_T3_T4_T5_mmT6_P12ihipStream_tbEUlT_E0_NS1_11comp_targetILNS1_3genE4ELNS1_11target_archE910ELNS1_3gpuE8ELNS1_3repE0EEENS1_30default_config_static_selectorELNS0_4arch9wavefront6targetE0EEEvS10_,comdat
	.protected	_ZN7rocprim17ROCPRIM_400000_NS6detail17trampoline_kernelINS0_14default_configENS1_21merge_config_selectorINS0_5tupleIJxxEEENS0_10empty_typeEEEZNS1_10merge_implIS3_NS0_12zip_iteratorINS5_IJN6thrust23THRUST_200600_302600_NS6detail15normal_iteratorINSC_10device_ptrIKxEEEESI_EEEEESK_NSA_INS5_IJNSE_INSF_IxEEEESM_EEEEEPS7_SP_SP_NSC_11hip_rocprim7__merge17predicate_wrapperIxxNSC_4lessIxEEEEEE10hipError_tPvRmT0_T1_T2_T3_T4_T5_mmT6_P12ihipStream_tbEUlT_E0_NS1_11comp_targetILNS1_3genE4ELNS1_11target_archE910ELNS1_3gpuE8ELNS1_3repE0EEENS1_30default_config_static_selectorELNS0_4arch9wavefront6targetE0EEEvS10_ ; -- Begin function _ZN7rocprim17ROCPRIM_400000_NS6detail17trampoline_kernelINS0_14default_configENS1_21merge_config_selectorINS0_5tupleIJxxEEENS0_10empty_typeEEEZNS1_10merge_implIS3_NS0_12zip_iteratorINS5_IJN6thrust23THRUST_200600_302600_NS6detail15normal_iteratorINSC_10device_ptrIKxEEEESI_EEEEESK_NSA_INS5_IJNSE_INSF_IxEEEESM_EEEEEPS7_SP_SP_NSC_11hip_rocprim7__merge17predicate_wrapperIxxNSC_4lessIxEEEEEE10hipError_tPvRmT0_T1_T2_T3_T4_T5_mmT6_P12ihipStream_tbEUlT_E0_NS1_11comp_targetILNS1_3genE4ELNS1_11target_archE910ELNS1_3gpuE8ELNS1_3repE0EEENS1_30default_config_static_selectorELNS0_4arch9wavefront6targetE0EEEvS10_
	.globl	_ZN7rocprim17ROCPRIM_400000_NS6detail17trampoline_kernelINS0_14default_configENS1_21merge_config_selectorINS0_5tupleIJxxEEENS0_10empty_typeEEEZNS1_10merge_implIS3_NS0_12zip_iteratorINS5_IJN6thrust23THRUST_200600_302600_NS6detail15normal_iteratorINSC_10device_ptrIKxEEEESI_EEEEESK_NSA_INS5_IJNSE_INSF_IxEEEESM_EEEEEPS7_SP_SP_NSC_11hip_rocprim7__merge17predicate_wrapperIxxNSC_4lessIxEEEEEE10hipError_tPvRmT0_T1_T2_T3_T4_T5_mmT6_P12ihipStream_tbEUlT_E0_NS1_11comp_targetILNS1_3genE4ELNS1_11target_archE910ELNS1_3gpuE8ELNS1_3repE0EEENS1_30default_config_static_selectorELNS0_4arch9wavefront6targetE0EEEvS10_
	.p2align	8
	.type	_ZN7rocprim17ROCPRIM_400000_NS6detail17trampoline_kernelINS0_14default_configENS1_21merge_config_selectorINS0_5tupleIJxxEEENS0_10empty_typeEEEZNS1_10merge_implIS3_NS0_12zip_iteratorINS5_IJN6thrust23THRUST_200600_302600_NS6detail15normal_iteratorINSC_10device_ptrIKxEEEESI_EEEEESK_NSA_INS5_IJNSE_INSF_IxEEEESM_EEEEEPS7_SP_SP_NSC_11hip_rocprim7__merge17predicate_wrapperIxxNSC_4lessIxEEEEEE10hipError_tPvRmT0_T1_T2_T3_T4_T5_mmT6_P12ihipStream_tbEUlT_E0_NS1_11comp_targetILNS1_3genE4ELNS1_11target_archE910ELNS1_3gpuE8ELNS1_3repE0EEENS1_30default_config_static_selectorELNS0_4arch9wavefront6targetE0EEEvS10_,@function
_ZN7rocprim17ROCPRIM_400000_NS6detail17trampoline_kernelINS0_14default_configENS1_21merge_config_selectorINS0_5tupleIJxxEEENS0_10empty_typeEEEZNS1_10merge_implIS3_NS0_12zip_iteratorINS5_IJN6thrust23THRUST_200600_302600_NS6detail15normal_iteratorINSC_10device_ptrIKxEEEESI_EEEEESK_NSA_INS5_IJNSE_INSF_IxEEEESM_EEEEEPS7_SP_SP_NSC_11hip_rocprim7__merge17predicate_wrapperIxxNSC_4lessIxEEEEEE10hipError_tPvRmT0_T1_T2_T3_T4_T5_mmT6_P12ihipStream_tbEUlT_E0_NS1_11comp_targetILNS1_3genE4ELNS1_11target_archE910ELNS1_3gpuE8ELNS1_3repE0EEENS1_30default_config_static_selectorELNS0_4arch9wavefront6targetE0EEEvS10_: ; @_ZN7rocprim17ROCPRIM_400000_NS6detail17trampoline_kernelINS0_14default_configENS1_21merge_config_selectorINS0_5tupleIJxxEEENS0_10empty_typeEEEZNS1_10merge_implIS3_NS0_12zip_iteratorINS5_IJN6thrust23THRUST_200600_302600_NS6detail15normal_iteratorINSC_10device_ptrIKxEEEESI_EEEEESK_NSA_INS5_IJNSE_INSF_IxEEEESM_EEEEEPS7_SP_SP_NSC_11hip_rocprim7__merge17predicate_wrapperIxxNSC_4lessIxEEEEEE10hipError_tPvRmT0_T1_T2_T3_T4_T5_mmT6_P12ihipStream_tbEUlT_E0_NS1_11comp_targetILNS1_3genE4ELNS1_11target_archE910ELNS1_3gpuE8ELNS1_3repE0EEENS1_30default_config_static_selectorELNS0_4arch9wavefront6targetE0EEEvS10_
; %bb.0:
	.section	.rodata,"a",@progbits
	.p2align	6, 0x0
	.amdhsa_kernel _ZN7rocprim17ROCPRIM_400000_NS6detail17trampoline_kernelINS0_14default_configENS1_21merge_config_selectorINS0_5tupleIJxxEEENS0_10empty_typeEEEZNS1_10merge_implIS3_NS0_12zip_iteratorINS5_IJN6thrust23THRUST_200600_302600_NS6detail15normal_iteratorINSC_10device_ptrIKxEEEESI_EEEEESK_NSA_INS5_IJNSE_INSF_IxEEEESM_EEEEEPS7_SP_SP_NSC_11hip_rocprim7__merge17predicate_wrapperIxxNSC_4lessIxEEEEEE10hipError_tPvRmT0_T1_T2_T3_T4_T5_mmT6_P12ihipStream_tbEUlT_E0_NS1_11comp_targetILNS1_3genE4ELNS1_11target_archE910ELNS1_3gpuE8ELNS1_3repE0EEENS1_30default_config_static_selectorELNS0_4arch9wavefront6targetE0EEEvS10_
		.amdhsa_group_segment_fixed_size 0
		.amdhsa_private_segment_fixed_size 0
		.amdhsa_kernarg_size 112
		.amdhsa_user_sgpr_count 2
		.amdhsa_user_sgpr_dispatch_ptr 0
		.amdhsa_user_sgpr_queue_ptr 0
		.amdhsa_user_sgpr_kernarg_segment_ptr 1
		.amdhsa_user_sgpr_dispatch_id 0
		.amdhsa_user_sgpr_kernarg_preload_length 0
		.amdhsa_user_sgpr_kernarg_preload_offset 0
		.amdhsa_user_sgpr_private_segment_size 0
		.amdhsa_wavefront_size32 1
		.amdhsa_uses_dynamic_stack 0
		.amdhsa_enable_private_segment 0
		.amdhsa_system_sgpr_workgroup_id_x 1
		.amdhsa_system_sgpr_workgroup_id_y 0
		.amdhsa_system_sgpr_workgroup_id_z 0
		.amdhsa_system_sgpr_workgroup_info 0
		.amdhsa_system_vgpr_workitem_id 0
		.amdhsa_next_free_vgpr 1
		.amdhsa_next_free_sgpr 1
		.amdhsa_named_barrier_count 0
		.amdhsa_reserve_vcc 0
		.amdhsa_float_round_mode_32 0
		.amdhsa_float_round_mode_16_64 0
		.amdhsa_float_denorm_mode_32 3
		.amdhsa_float_denorm_mode_16_64 3
		.amdhsa_fp16_overflow 0
		.amdhsa_memory_ordered 1
		.amdhsa_forward_progress 1
		.amdhsa_inst_pref_size 0
		.amdhsa_round_robin_scheduling 0
		.amdhsa_exception_fp_ieee_invalid_op 0
		.amdhsa_exception_fp_denorm_src 0
		.amdhsa_exception_fp_ieee_div_zero 0
		.amdhsa_exception_fp_ieee_overflow 0
		.amdhsa_exception_fp_ieee_underflow 0
		.amdhsa_exception_fp_ieee_inexact 0
		.amdhsa_exception_int_div_zero 0
	.end_amdhsa_kernel
	.section	.text._ZN7rocprim17ROCPRIM_400000_NS6detail17trampoline_kernelINS0_14default_configENS1_21merge_config_selectorINS0_5tupleIJxxEEENS0_10empty_typeEEEZNS1_10merge_implIS3_NS0_12zip_iteratorINS5_IJN6thrust23THRUST_200600_302600_NS6detail15normal_iteratorINSC_10device_ptrIKxEEEESI_EEEEESK_NSA_INS5_IJNSE_INSF_IxEEEESM_EEEEEPS7_SP_SP_NSC_11hip_rocprim7__merge17predicate_wrapperIxxNSC_4lessIxEEEEEE10hipError_tPvRmT0_T1_T2_T3_T4_T5_mmT6_P12ihipStream_tbEUlT_E0_NS1_11comp_targetILNS1_3genE4ELNS1_11target_archE910ELNS1_3gpuE8ELNS1_3repE0EEENS1_30default_config_static_selectorELNS0_4arch9wavefront6targetE0EEEvS10_,"axG",@progbits,_ZN7rocprim17ROCPRIM_400000_NS6detail17trampoline_kernelINS0_14default_configENS1_21merge_config_selectorINS0_5tupleIJxxEEENS0_10empty_typeEEEZNS1_10merge_implIS3_NS0_12zip_iteratorINS5_IJN6thrust23THRUST_200600_302600_NS6detail15normal_iteratorINSC_10device_ptrIKxEEEESI_EEEEESK_NSA_INS5_IJNSE_INSF_IxEEEESM_EEEEEPS7_SP_SP_NSC_11hip_rocprim7__merge17predicate_wrapperIxxNSC_4lessIxEEEEEE10hipError_tPvRmT0_T1_T2_T3_T4_T5_mmT6_P12ihipStream_tbEUlT_E0_NS1_11comp_targetILNS1_3genE4ELNS1_11target_archE910ELNS1_3gpuE8ELNS1_3repE0EEENS1_30default_config_static_selectorELNS0_4arch9wavefront6targetE0EEEvS10_,comdat
.Lfunc_end218:
	.size	_ZN7rocprim17ROCPRIM_400000_NS6detail17trampoline_kernelINS0_14default_configENS1_21merge_config_selectorINS0_5tupleIJxxEEENS0_10empty_typeEEEZNS1_10merge_implIS3_NS0_12zip_iteratorINS5_IJN6thrust23THRUST_200600_302600_NS6detail15normal_iteratorINSC_10device_ptrIKxEEEESI_EEEEESK_NSA_INS5_IJNSE_INSF_IxEEEESM_EEEEEPS7_SP_SP_NSC_11hip_rocprim7__merge17predicate_wrapperIxxNSC_4lessIxEEEEEE10hipError_tPvRmT0_T1_T2_T3_T4_T5_mmT6_P12ihipStream_tbEUlT_E0_NS1_11comp_targetILNS1_3genE4ELNS1_11target_archE910ELNS1_3gpuE8ELNS1_3repE0EEENS1_30default_config_static_selectorELNS0_4arch9wavefront6targetE0EEEvS10_, .Lfunc_end218-_ZN7rocprim17ROCPRIM_400000_NS6detail17trampoline_kernelINS0_14default_configENS1_21merge_config_selectorINS0_5tupleIJxxEEENS0_10empty_typeEEEZNS1_10merge_implIS3_NS0_12zip_iteratorINS5_IJN6thrust23THRUST_200600_302600_NS6detail15normal_iteratorINSC_10device_ptrIKxEEEESI_EEEEESK_NSA_INS5_IJNSE_INSF_IxEEEESM_EEEEEPS7_SP_SP_NSC_11hip_rocprim7__merge17predicate_wrapperIxxNSC_4lessIxEEEEEE10hipError_tPvRmT0_T1_T2_T3_T4_T5_mmT6_P12ihipStream_tbEUlT_E0_NS1_11comp_targetILNS1_3genE4ELNS1_11target_archE910ELNS1_3gpuE8ELNS1_3repE0EEENS1_30default_config_static_selectorELNS0_4arch9wavefront6targetE0EEEvS10_
                                        ; -- End function
	.set _ZN7rocprim17ROCPRIM_400000_NS6detail17trampoline_kernelINS0_14default_configENS1_21merge_config_selectorINS0_5tupleIJxxEEENS0_10empty_typeEEEZNS1_10merge_implIS3_NS0_12zip_iteratorINS5_IJN6thrust23THRUST_200600_302600_NS6detail15normal_iteratorINSC_10device_ptrIKxEEEESI_EEEEESK_NSA_INS5_IJNSE_INSF_IxEEEESM_EEEEEPS7_SP_SP_NSC_11hip_rocprim7__merge17predicate_wrapperIxxNSC_4lessIxEEEEEE10hipError_tPvRmT0_T1_T2_T3_T4_T5_mmT6_P12ihipStream_tbEUlT_E0_NS1_11comp_targetILNS1_3genE4ELNS1_11target_archE910ELNS1_3gpuE8ELNS1_3repE0EEENS1_30default_config_static_selectorELNS0_4arch9wavefront6targetE0EEEvS10_.num_vgpr, 0
	.set _ZN7rocprim17ROCPRIM_400000_NS6detail17trampoline_kernelINS0_14default_configENS1_21merge_config_selectorINS0_5tupleIJxxEEENS0_10empty_typeEEEZNS1_10merge_implIS3_NS0_12zip_iteratorINS5_IJN6thrust23THRUST_200600_302600_NS6detail15normal_iteratorINSC_10device_ptrIKxEEEESI_EEEEESK_NSA_INS5_IJNSE_INSF_IxEEEESM_EEEEEPS7_SP_SP_NSC_11hip_rocprim7__merge17predicate_wrapperIxxNSC_4lessIxEEEEEE10hipError_tPvRmT0_T1_T2_T3_T4_T5_mmT6_P12ihipStream_tbEUlT_E0_NS1_11comp_targetILNS1_3genE4ELNS1_11target_archE910ELNS1_3gpuE8ELNS1_3repE0EEENS1_30default_config_static_selectorELNS0_4arch9wavefront6targetE0EEEvS10_.num_agpr, 0
	.set _ZN7rocprim17ROCPRIM_400000_NS6detail17trampoline_kernelINS0_14default_configENS1_21merge_config_selectorINS0_5tupleIJxxEEENS0_10empty_typeEEEZNS1_10merge_implIS3_NS0_12zip_iteratorINS5_IJN6thrust23THRUST_200600_302600_NS6detail15normal_iteratorINSC_10device_ptrIKxEEEESI_EEEEESK_NSA_INS5_IJNSE_INSF_IxEEEESM_EEEEEPS7_SP_SP_NSC_11hip_rocprim7__merge17predicate_wrapperIxxNSC_4lessIxEEEEEE10hipError_tPvRmT0_T1_T2_T3_T4_T5_mmT6_P12ihipStream_tbEUlT_E0_NS1_11comp_targetILNS1_3genE4ELNS1_11target_archE910ELNS1_3gpuE8ELNS1_3repE0EEENS1_30default_config_static_selectorELNS0_4arch9wavefront6targetE0EEEvS10_.numbered_sgpr, 0
	.set _ZN7rocprim17ROCPRIM_400000_NS6detail17trampoline_kernelINS0_14default_configENS1_21merge_config_selectorINS0_5tupleIJxxEEENS0_10empty_typeEEEZNS1_10merge_implIS3_NS0_12zip_iteratorINS5_IJN6thrust23THRUST_200600_302600_NS6detail15normal_iteratorINSC_10device_ptrIKxEEEESI_EEEEESK_NSA_INS5_IJNSE_INSF_IxEEEESM_EEEEEPS7_SP_SP_NSC_11hip_rocprim7__merge17predicate_wrapperIxxNSC_4lessIxEEEEEE10hipError_tPvRmT0_T1_T2_T3_T4_T5_mmT6_P12ihipStream_tbEUlT_E0_NS1_11comp_targetILNS1_3genE4ELNS1_11target_archE910ELNS1_3gpuE8ELNS1_3repE0EEENS1_30default_config_static_selectorELNS0_4arch9wavefront6targetE0EEEvS10_.num_named_barrier, 0
	.set _ZN7rocprim17ROCPRIM_400000_NS6detail17trampoline_kernelINS0_14default_configENS1_21merge_config_selectorINS0_5tupleIJxxEEENS0_10empty_typeEEEZNS1_10merge_implIS3_NS0_12zip_iteratorINS5_IJN6thrust23THRUST_200600_302600_NS6detail15normal_iteratorINSC_10device_ptrIKxEEEESI_EEEEESK_NSA_INS5_IJNSE_INSF_IxEEEESM_EEEEEPS7_SP_SP_NSC_11hip_rocprim7__merge17predicate_wrapperIxxNSC_4lessIxEEEEEE10hipError_tPvRmT0_T1_T2_T3_T4_T5_mmT6_P12ihipStream_tbEUlT_E0_NS1_11comp_targetILNS1_3genE4ELNS1_11target_archE910ELNS1_3gpuE8ELNS1_3repE0EEENS1_30default_config_static_selectorELNS0_4arch9wavefront6targetE0EEEvS10_.private_seg_size, 0
	.set _ZN7rocprim17ROCPRIM_400000_NS6detail17trampoline_kernelINS0_14default_configENS1_21merge_config_selectorINS0_5tupleIJxxEEENS0_10empty_typeEEEZNS1_10merge_implIS3_NS0_12zip_iteratorINS5_IJN6thrust23THRUST_200600_302600_NS6detail15normal_iteratorINSC_10device_ptrIKxEEEESI_EEEEESK_NSA_INS5_IJNSE_INSF_IxEEEESM_EEEEEPS7_SP_SP_NSC_11hip_rocprim7__merge17predicate_wrapperIxxNSC_4lessIxEEEEEE10hipError_tPvRmT0_T1_T2_T3_T4_T5_mmT6_P12ihipStream_tbEUlT_E0_NS1_11comp_targetILNS1_3genE4ELNS1_11target_archE910ELNS1_3gpuE8ELNS1_3repE0EEENS1_30default_config_static_selectorELNS0_4arch9wavefront6targetE0EEEvS10_.uses_vcc, 0
	.set _ZN7rocprim17ROCPRIM_400000_NS6detail17trampoline_kernelINS0_14default_configENS1_21merge_config_selectorINS0_5tupleIJxxEEENS0_10empty_typeEEEZNS1_10merge_implIS3_NS0_12zip_iteratorINS5_IJN6thrust23THRUST_200600_302600_NS6detail15normal_iteratorINSC_10device_ptrIKxEEEESI_EEEEESK_NSA_INS5_IJNSE_INSF_IxEEEESM_EEEEEPS7_SP_SP_NSC_11hip_rocprim7__merge17predicate_wrapperIxxNSC_4lessIxEEEEEE10hipError_tPvRmT0_T1_T2_T3_T4_T5_mmT6_P12ihipStream_tbEUlT_E0_NS1_11comp_targetILNS1_3genE4ELNS1_11target_archE910ELNS1_3gpuE8ELNS1_3repE0EEENS1_30default_config_static_selectorELNS0_4arch9wavefront6targetE0EEEvS10_.uses_flat_scratch, 0
	.set _ZN7rocprim17ROCPRIM_400000_NS6detail17trampoline_kernelINS0_14default_configENS1_21merge_config_selectorINS0_5tupleIJxxEEENS0_10empty_typeEEEZNS1_10merge_implIS3_NS0_12zip_iteratorINS5_IJN6thrust23THRUST_200600_302600_NS6detail15normal_iteratorINSC_10device_ptrIKxEEEESI_EEEEESK_NSA_INS5_IJNSE_INSF_IxEEEESM_EEEEEPS7_SP_SP_NSC_11hip_rocprim7__merge17predicate_wrapperIxxNSC_4lessIxEEEEEE10hipError_tPvRmT0_T1_T2_T3_T4_T5_mmT6_P12ihipStream_tbEUlT_E0_NS1_11comp_targetILNS1_3genE4ELNS1_11target_archE910ELNS1_3gpuE8ELNS1_3repE0EEENS1_30default_config_static_selectorELNS0_4arch9wavefront6targetE0EEEvS10_.has_dyn_sized_stack, 0
	.set _ZN7rocprim17ROCPRIM_400000_NS6detail17trampoline_kernelINS0_14default_configENS1_21merge_config_selectorINS0_5tupleIJxxEEENS0_10empty_typeEEEZNS1_10merge_implIS3_NS0_12zip_iteratorINS5_IJN6thrust23THRUST_200600_302600_NS6detail15normal_iteratorINSC_10device_ptrIKxEEEESI_EEEEESK_NSA_INS5_IJNSE_INSF_IxEEEESM_EEEEEPS7_SP_SP_NSC_11hip_rocprim7__merge17predicate_wrapperIxxNSC_4lessIxEEEEEE10hipError_tPvRmT0_T1_T2_T3_T4_T5_mmT6_P12ihipStream_tbEUlT_E0_NS1_11comp_targetILNS1_3genE4ELNS1_11target_archE910ELNS1_3gpuE8ELNS1_3repE0EEENS1_30default_config_static_selectorELNS0_4arch9wavefront6targetE0EEEvS10_.has_recursion, 0
	.set _ZN7rocprim17ROCPRIM_400000_NS6detail17trampoline_kernelINS0_14default_configENS1_21merge_config_selectorINS0_5tupleIJxxEEENS0_10empty_typeEEEZNS1_10merge_implIS3_NS0_12zip_iteratorINS5_IJN6thrust23THRUST_200600_302600_NS6detail15normal_iteratorINSC_10device_ptrIKxEEEESI_EEEEESK_NSA_INS5_IJNSE_INSF_IxEEEESM_EEEEEPS7_SP_SP_NSC_11hip_rocprim7__merge17predicate_wrapperIxxNSC_4lessIxEEEEEE10hipError_tPvRmT0_T1_T2_T3_T4_T5_mmT6_P12ihipStream_tbEUlT_E0_NS1_11comp_targetILNS1_3genE4ELNS1_11target_archE910ELNS1_3gpuE8ELNS1_3repE0EEENS1_30default_config_static_selectorELNS0_4arch9wavefront6targetE0EEEvS10_.has_indirect_call, 0
	.section	.AMDGPU.csdata,"",@progbits
; Kernel info:
; codeLenInByte = 0
; TotalNumSgprs: 0
; NumVgprs: 0
; ScratchSize: 0
; MemoryBound: 0
; FloatMode: 240
; IeeeMode: 1
; LDSByteSize: 0 bytes/workgroup (compile time only)
; SGPRBlocks: 0
; VGPRBlocks: 0
; NumSGPRsForWavesPerEU: 1
; NumVGPRsForWavesPerEU: 1
; NamedBarCnt: 0
; Occupancy: 16
; WaveLimiterHint : 0
; COMPUTE_PGM_RSRC2:SCRATCH_EN: 0
; COMPUTE_PGM_RSRC2:USER_SGPR: 2
; COMPUTE_PGM_RSRC2:TRAP_HANDLER: 0
; COMPUTE_PGM_RSRC2:TGID_X_EN: 1
; COMPUTE_PGM_RSRC2:TGID_Y_EN: 0
; COMPUTE_PGM_RSRC2:TGID_Z_EN: 0
; COMPUTE_PGM_RSRC2:TIDIG_COMP_CNT: 0
	.section	.text._ZN7rocprim17ROCPRIM_400000_NS6detail17trampoline_kernelINS0_14default_configENS1_21merge_config_selectorINS0_5tupleIJxxEEENS0_10empty_typeEEEZNS1_10merge_implIS3_NS0_12zip_iteratorINS5_IJN6thrust23THRUST_200600_302600_NS6detail15normal_iteratorINSC_10device_ptrIKxEEEESI_EEEEESK_NSA_INS5_IJNSE_INSF_IxEEEESM_EEEEEPS7_SP_SP_NSC_11hip_rocprim7__merge17predicate_wrapperIxxNSC_4lessIxEEEEEE10hipError_tPvRmT0_T1_T2_T3_T4_T5_mmT6_P12ihipStream_tbEUlT_E0_NS1_11comp_targetILNS1_3genE3ELNS1_11target_archE908ELNS1_3gpuE7ELNS1_3repE0EEENS1_30default_config_static_selectorELNS0_4arch9wavefront6targetE0EEEvS10_,"axG",@progbits,_ZN7rocprim17ROCPRIM_400000_NS6detail17trampoline_kernelINS0_14default_configENS1_21merge_config_selectorINS0_5tupleIJxxEEENS0_10empty_typeEEEZNS1_10merge_implIS3_NS0_12zip_iteratorINS5_IJN6thrust23THRUST_200600_302600_NS6detail15normal_iteratorINSC_10device_ptrIKxEEEESI_EEEEESK_NSA_INS5_IJNSE_INSF_IxEEEESM_EEEEEPS7_SP_SP_NSC_11hip_rocprim7__merge17predicate_wrapperIxxNSC_4lessIxEEEEEE10hipError_tPvRmT0_T1_T2_T3_T4_T5_mmT6_P12ihipStream_tbEUlT_E0_NS1_11comp_targetILNS1_3genE3ELNS1_11target_archE908ELNS1_3gpuE7ELNS1_3repE0EEENS1_30default_config_static_selectorELNS0_4arch9wavefront6targetE0EEEvS10_,comdat
	.protected	_ZN7rocprim17ROCPRIM_400000_NS6detail17trampoline_kernelINS0_14default_configENS1_21merge_config_selectorINS0_5tupleIJxxEEENS0_10empty_typeEEEZNS1_10merge_implIS3_NS0_12zip_iteratorINS5_IJN6thrust23THRUST_200600_302600_NS6detail15normal_iteratorINSC_10device_ptrIKxEEEESI_EEEEESK_NSA_INS5_IJNSE_INSF_IxEEEESM_EEEEEPS7_SP_SP_NSC_11hip_rocprim7__merge17predicate_wrapperIxxNSC_4lessIxEEEEEE10hipError_tPvRmT0_T1_T2_T3_T4_T5_mmT6_P12ihipStream_tbEUlT_E0_NS1_11comp_targetILNS1_3genE3ELNS1_11target_archE908ELNS1_3gpuE7ELNS1_3repE0EEENS1_30default_config_static_selectorELNS0_4arch9wavefront6targetE0EEEvS10_ ; -- Begin function _ZN7rocprim17ROCPRIM_400000_NS6detail17trampoline_kernelINS0_14default_configENS1_21merge_config_selectorINS0_5tupleIJxxEEENS0_10empty_typeEEEZNS1_10merge_implIS3_NS0_12zip_iteratorINS5_IJN6thrust23THRUST_200600_302600_NS6detail15normal_iteratorINSC_10device_ptrIKxEEEESI_EEEEESK_NSA_INS5_IJNSE_INSF_IxEEEESM_EEEEEPS7_SP_SP_NSC_11hip_rocprim7__merge17predicate_wrapperIxxNSC_4lessIxEEEEEE10hipError_tPvRmT0_T1_T2_T3_T4_T5_mmT6_P12ihipStream_tbEUlT_E0_NS1_11comp_targetILNS1_3genE3ELNS1_11target_archE908ELNS1_3gpuE7ELNS1_3repE0EEENS1_30default_config_static_selectorELNS0_4arch9wavefront6targetE0EEEvS10_
	.globl	_ZN7rocprim17ROCPRIM_400000_NS6detail17trampoline_kernelINS0_14default_configENS1_21merge_config_selectorINS0_5tupleIJxxEEENS0_10empty_typeEEEZNS1_10merge_implIS3_NS0_12zip_iteratorINS5_IJN6thrust23THRUST_200600_302600_NS6detail15normal_iteratorINSC_10device_ptrIKxEEEESI_EEEEESK_NSA_INS5_IJNSE_INSF_IxEEEESM_EEEEEPS7_SP_SP_NSC_11hip_rocprim7__merge17predicate_wrapperIxxNSC_4lessIxEEEEEE10hipError_tPvRmT0_T1_T2_T3_T4_T5_mmT6_P12ihipStream_tbEUlT_E0_NS1_11comp_targetILNS1_3genE3ELNS1_11target_archE908ELNS1_3gpuE7ELNS1_3repE0EEENS1_30default_config_static_selectorELNS0_4arch9wavefront6targetE0EEEvS10_
	.p2align	8
	.type	_ZN7rocprim17ROCPRIM_400000_NS6detail17trampoline_kernelINS0_14default_configENS1_21merge_config_selectorINS0_5tupleIJxxEEENS0_10empty_typeEEEZNS1_10merge_implIS3_NS0_12zip_iteratorINS5_IJN6thrust23THRUST_200600_302600_NS6detail15normal_iteratorINSC_10device_ptrIKxEEEESI_EEEEESK_NSA_INS5_IJNSE_INSF_IxEEEESM_EEEEEPS7_SP_SP_NSC_11hip_rocprim7__merge17predicate_wrapperIxxNSC_4lessIxEEEEEE10hipError_tPvRmT0_T1_T2_T3_T4_T5_mmT6_P12ihipStream_tbEUlT_E0_NS1_11comp_targetILNS1_3genE3ELNS1_11target_archE908ELNS1_3gpuE7ELNS1_3repE0EEENS1_30default_config_static_selectorELNS0_4arch9wavefront6targetE0EEEvS10_,@function
_ZN7rocprim17ROCPRIM_400000_NS6detail17trampoline_kernelINS0_14default_configENS1_21merge_config_selectorINS0_5tupleIJxxEEENS0_10empty_typeEEEZNS1_10merge_implIS3_NS0_12zip_iteratorINS5_IJN6thrust23THRUST_200600_302600_NS6detail15normal_iteratorINSC_10device_ptrIKxEEEESI_EEEEESK_NSA_INS5_IJNSE_INSF_IxEEEESM_EEEEEPS7_SP_SP_NSC_11hip_rocprim7__merge17predicate_wrapperIxxNSC_4lessIxEEEEEE10hipError_tPvRmT0_T1_T2_T3_T4_T5_mmT6_P12ihipStream_tbEUlT_E0_NS1_11comp_targetILNS1_3genE3ELNS1_11target_archE908ELNS1_3gpuE7ELNS1_3repE0EEENS1_30default_config_static_selectorELNS0_4arch9wavefront6targetE0EEEvS10_: ; @_ZN7rocprim17ROCPRIM_400000_NS6detail17trampoline_kernelINS0_14default_configENS1_21merge_config_selectorINS0_5tupleIJxxEEENS0_10empty_typeEEEZNS1_10merge_implIS3_NS0_12zip_iteratorINS5_IJN6thrust23THRUST_200600_302600_NS6detail15normal_iteratorINSC_10device_ptrIKxEEEESI_EEEEESK_NSA_INS5_IJNSE_INSF_IxEEEESM_EEEEEPS7_SP_SP_NSC_11hip_rocprim7__merge17predicate_wrapperIxxNSC_4lessIxEEEEEE10hipError_tPvRmT0_T1_T2_T3_T4_T5_mmT6_P12ihipStream_tbEUlT_E0_NS1_11comp_targetILNS1_3genE3ELNS1_11target_archE908ELNS1_3gpuE7ELNS1_3repE0EEENS1_30default_config_static_selectorELNS0_4arch9wavefront6targetE0EEEvS10_
; %bb.0:
	.section	.rodata,"a",@progbits
	.p2align	6, 0x0
	.amdhsa_kernel _ZN7rocprim17ROCPRIM_400000_NS6detail17trampoline_kernelINS0_14default_configENS1_21merge_config_selectorINS0_5tupleIJxxEEENS0_10empty_typeEEEZNS1_10merge_implIS3_NS0_12zip_iteratorINS5_IJN6thrust23THRUST_200600_302600_NS6detail15normal_iteratorINSC_10device_ptrIKxEEEESI_EEEEESK_NSA_INS5_IJNSE_INSF_IxEEEESM_EEEEEPS7_SP_SP_NSC_11hip_rocprim7__merge17predicate_wrapperIxxNSC_4lessIxEEEEEE10hipError_tPvRmT0_T1_T2_T3_T4_T5_mmT6_P12ihipStream_tbEUlT_E0_NS1_11comp_targetILNS1_3genE3ELNS1_11target_archE908ELNS1_3gpuE7ELNS1_3repE0EEENS1_30default_config_static_selectorELNS0_4arch9wavefront6targetE0EEEvS10_
		.amdhsa_group_segment_fixed_size 0
		.amdhsa_private_segment_fixed_size 0
		.amdhsa_kernarg_size 112
		.amdhsa_user_sgpr_count 2
		.amdhsa_user_sgpr_dispatch_ptr 0
		.amdhsa_user_sgpr_queue_ptr 0
		.amdhsa_user_sgpr_kernarg_segment_ptr 1
		.amdhsa_user_sgpr_dispatch_id 0
		.amdhsa_user_sgpr_kernarg_preload_length 0
		.amdhsa_user_sgpr_kernarg_preload_offset 0
		.amdhsa_user_sgpr_private_segment_size 0
		.amdhsa_wavefront_size32 1
		.amdhsa_uses_dynamic_stack 0
		.amdhsa_enable_private_segment 0
		.amdhsa_system_sgpr_workgroup_id_x 1
		.amdhsa_system_sgpr_workgroup_id_y 0
		.amdhsa_system_sgpr_workgroup_id_z 0
		.amdhsa_system_sgpr_workgroup_info 0
		.amdhsa_system_vgpr_workitem_id 0
		.amdhsa_next_free_vgpr 1
		.amdhsa_next_free_sgpr 1
		.amdhsa_named_barrier_count 0
		.amdhsa_reserve_vcc 0
		.amdhsa_float_round_mode_32 0
		.amdhsa_float_round_mode_16_64 0
		.amdhsa_float_denorm_mode_32 3
		.amdhsa_float_denorm_mode_16_64 3
		.amdhsa_fp16_overflow 0
		.amdhsa_memory_ordered 1
		.amdhsa_forward_progress 1
		.amdhsa_inst_pref_size 0
		.amdhsa_round_robin_scheduling 0
		.amdhsa_exception_fp_ieee_invalid_op 0
		.amdhsa_exception_fp_denorm_src 0
		.amdhsa_exception_fp_ieee_div_zero 0
		.amdhsa_exception_fp_ieee_overflow 0
		.amdhsa_exception_fp_ieee_underflow 0
		.amdhsa_exception_fp_ieee_inexact 0
		.amdhsa_exception_int_div_zero 0
	.end_amdhsa_kernel
	.section	.text._ZN7rocprim17ROCPRIM_400000_NS6detail17trampoline_kernelINS0_14default_configENS1_21merge_config_selectorINS0_5tupleIJxxEEENS0_10empty_typeEEEZNS1_10merge_implIS3_NS0_12zip_iteratorINS5_IJN6thrust23THRUST_200600_302600_NS6detail15normal_iteratorINSC_10device_ptrIKxEEEESI_EEEEESK_NSA_INS5_IJNSE_INSF_IxEEEESM_EEEEEPS7_SP_SP_NSC_11hip_rocprim7__merge17predicate_wrapperIxxNSC_4lessIxEEEEEE10hipError_tPvRmT0_T1_T2_T3_T4_T5_mmT6_P12ihipStream_tbEUlT_E0_NS1_11comp_targetILNS1_3genE3ELNS1_11target_archE908ELNS1_3gpuE7ELNS1_3repE0EEENS1_30default_config_static_selectorELNS0_4arch9wavefront6targetE0EEEvS10_,"axG",@progbits,_ZN7rocprim17ROCPRIM_400000_NS6detail17trampoline_kernelINS0_14default_configENS1_21merge_config_selectorINS0_5tupleIJxxEEENS0_10empty_typeEEEZNS1_10merge_implIS3_NS0_12zip_iteratorINS5_IJN6thrust23THRUST_200600_302600_NS6detail15normal_iteratorINSC_10device_ptrIKxEEEESI_EEEEESK_NSA_INS5_IJNSE_INSF_IxEEEESM_EEEEEPS7_SP_SP_NSC_11hip_rocprim7__merge17predicate_wrapperIxxNSC_4lessIxEEEEEE10hipError_tPvRmT0_T1_T2_T3_T4_T5_mmT6_P12ihipStream_tbEUlT_E0_NS1_11comp_targetILNS1_3genE3ELNS1_11target_archE908ELNS1_3gpuE7ELNS1_3repE0EEENS1_30default_config_static_selectorELNS0_4arch9wavefront6targetE0EEEvS10_,comdat
.Lfunc_end219:
	.size	_ZN7rocprim17ROCPRIM_400000_NS6detail17trampoline_kernelINS0_14default_configENS1_21merge_config_selectorINS0_5tupleIJxxEEENS0_10empty_typeEEEZNS1_10merge_implIS3_NS0_12zip_iteratorINS5_IJN6thrust23THRUST_200600_302600_NS6detail15normal_iteratorINSC_10device_ptrIKxEEEESI_EEEEESK_NSA_INS5_IJNSE_INSF_IxEEEESM_EEEEEPS7_SP_SP_NSC_11hip_rocprim7__merge17predicate_wrapperIxxNSC_4lessIxEEEEEE10hipError_tPvRmT0_T1_T2_T3_T4_T5_mmT6_P12ihipStream_tbEUlT_E0_NS1_11comp_targetILNS1_3genE3ELNS1_11target_archE908ELNS1_3gpuE7ELNS1_3repE0EEENS1_30default_config_static_selectorELNS0_4arch9wavefront6targetE0EEEvS10_, .Lfunc_end219-_ZN7rocprim17ROCPRIM_400000_NS6detail17trampoline_kernelINS0_14default_configENS1_21merge_config_selectorINS0_5tupleIJxxEEENS0_10empty_typeEEEZNS1_10merge_implIS3_NS0_12zip_iteratorINS5_IJN6thrust23THRUST_200600_302600_NS6detail15normal_iteratorINSC_10device_ptrIKxEEEESI_EEEEESK_NSA_INS5_IJNSE_INSF_IxEEEESM_EEEEEPS7_SP_SP_NSC_11hip_rocprim7__merge17predicate_wrapperIxxNSC_4lessIxEEEEEE10hipError_tPvRmT0_T1_T2_T3_T4_T5_mmT6_P12ihipStream_tbEUlT_E0_NS1_11comp_targetILNS1_3genE3ELNS1_11target_archE908ELNS1_3gpuE7ELNS1_3repE0EEENS1_30default_config_static_selectorELNS0_4arch9wavefront6targetE0EEEvS10_
                                        ; -- End function
	.set _ZN7rocprim17ROCPRIM_400000_NS6detail17trampoline_kernelINS0_14default_configENS1_21merge_config_selectorINS0_5tupleIJxxEEENS0_10empty_typeEEEZNS1_10merge_implIS3_NS0_12zip_iteratorINS5_IJN6thrust23THRUST_200600_302600_NS6detail15normal_iteratorINSC_10device_ptrIKxEEEESI_EEEEESK_NSA_INS5_IJNSE_INSF_IxEEEESM_EEEEEPS7_SP_SP_NSC_11hip_rocprim7__merge17predicate_wrapperIxxNSC_4lessIxEEEEEE10hipError_tPvRmT0_T1_T2_T3_T4_T5_mmT6_P12ihipStream_tbEUlT_E0_NS1_11comp_targetILNS1_3genE3ELNS1_11target_archE908ELNS1_3gpuE7ELNS1_3repE0EEENS1_30default_config_static_selectorELNS0_4arch9wavefront6targetE0EEEvS10_.num_vgpr, 0
	.set _ZN7rocprim17ROCPRIM_400000_NS6detail17trampoline_kernelINS0_14default_configENS1_21merge_config_selectorINS0_5tupleIJxxEEENS0_10empty_typeEEEZNS1_10merge_implIS3_NS0_12zip_iteratorINS5_IJN6thrust23THRUST_200600_302600_NS6detail15normal_iteratorINSC_10device_ptrIKxEEEESI_EEEEESK_NSA_INS5_IJNSE_INSF_IxEEEESM_EEEEEPS7_SP_SP_NSC_11hip_rocprim7__merge17predicate_wrapperIxxNSC_4lessIxEEEEEE10hipError_tPvRmT0_T1_T2_T3_T4_T5_mmT6_P12ihipStream_tbEUlT_E0_NS1_11comp_targetILNS1_3genE3ELNS1_11target_archE908ELNS1_3gpuE7ELNS1_3repE0EEENS1_30default_config_static_selectorELNS0_4arch9wavefront6targetE0EEEvS10_.num_agpr, 0
	.set _ZN7rocprim17ROCPRIM_400000_NS6detail17trampoline_kernelINS0_14default_configENS1_21merge_config_selectorINS0_5tupleIJxxEEENS0_10empty_typeEEEZNS1_10merge_implIS3_NS0_12zip_iteratorINS5_IJN6thrust23THRUST_200600_302600_NS6detail15normal_iteratorINSC_10device_ptrIKxEEEESI_EEEEESK_NSA_INS5_IJNSE_INSF_IxEEEESM_EEEEEPS7_SP_SP_NSC_11hip_rocprim7__merge17predicate_wrapperIxxNSC_4lessIxEEEEEE10hipError_tPvRmT0_T1_T2_T3_T4_T5_mmT6_P12ihipStream_tbEUlT_E0_NS1_11comp_targetILNS1_3genE3ELNS1_11target_archE908ELNS1_3gpuE7ELNS1_3repE0EEENS1_30default_config_static_selectorELNS0_4arch9wavefront6targetE0EEEvS10_.numbered_sgpr, 0
	.set _ZN7rocprim17ROCPRIM_400000_NS6detail17trampoline_kernelINS0_14default_configENS1_21merge_config_selectorINS0_5tupleIJxxEEENS0_10empty_typeEEEZNS1_10merge_implIS3_NS0_12zip_iteratorINS5_IJN6thrust23THRUST_200600_302600_NS6detail15normal_iteratorINSC_10device_ptrIKxEEEESI_EEEEESK_NSA_INS5_IJNSE_INSF_IxEEEESM_EEEEEPS7_SP_SP_NSC_11hip_rocprim7__merge17predicate_wrapperIxxNSC_4lessIxEEEEEE10hipError_tPvRmT0_T1_T2_T3_T4_T5_mmT6_P12ihipStream_tbEUlT_E0_NS1_11comp_targetILNS1_3genE3ELNS1_11target_archE908ELNS1_3gpuE7ELNS1_3repE0EEENS1_30default_config_static_selectorELNS0_4arch9wavefront6targetE0EEEvS10_.num_named_barrier, 0
	.set _ZN7rocprim17ROCPRIM_400000_NS6detail17trampoline_kernelINS0_14default_configENS1_21merge_config_selectorINS0_5tupleIJxxEEENS0_10empty_typeEEEZNS1_10merge_implIS3_NS0_12zip_iteratorINS5_IJN6thrust23THRUST_200600_302600_NS6detail15normal_iteratorINSC_10device_ptrIKxEEEESI_EEEEESK_NSA_INS5_IJNSE_INSF_IxEEEESM_EEEEEPS7_SP_SP_NSC_11hip_rocprim7__merge17predicate_wrapperIxxNSC_4lessIxEEEEEE10hipError_tPvRmT0_T1_T2_T3_T4_T5_mmT6_P12ihipStream_tbEUlT_E0_NS1_11comp_targetILNS1_3genE3ELNS1_11target_archE908ELNS1_3gpuE7ELNS1_3repE0EEENS1_30default_config_static_selectorELNS0_4arch9wavefront6targetE0EEEvS10_.private_seg_size, 0
	.set _ZN7rocprim17ROCPRIM_400000_NS6detail17trampoline_kernelINS0_14default_configENS1_21merge_config_selectorINS0_5tupleIJxxEEENS0_10empty_typeEEEZNS1_10merge_implIS3_NS0_12zip_iteratorINS5_IJN6thrust23THRUST_200600_302600_NS6detail15normal_iteratorINSC_10device_ptrIKxEEEESI_EEEEESK_NSA_INS5_IJNSE_INSF_IxEEEESM_EEEEEPS7_SP_SP_NSC_11hip_rocprim7__merge17predicate_wrapperIxxNSC_4lessIxEEEEEE10hipError_tPvRmT0_T1_T2_T3_T4_T5_mmT6_P12ihipStream_tbEUlT_E0_NS1_11comp_targetILNS1_3genE3ELNS1_11target_archE908ELNS1_3gpuE7ELNS1_3repE0EEENS1_30default_config_static_selectorELNS0_4arch9wavefront6targetE0EEEvS10_.uses_vcc, 0
	.set _ZN7rocprim17ROCPRIM_400000_NS6detail17trampoline_kernelINS0_14default_configENS1_21merge_config_selectorINS0_5tupleIJxxEEENS0_10empty_typeEEEZNS1_10merge_implIS3_NS0_12zip_iteratorINS5_IJN6thrust23THRUST_200600_302600_NS6detail15normal_iteratorINSC_10device_ptrIKxEEEESI_EEEEESK_NSA_INS5_IJNSE_INSF_IxEEEESM_EEEEEPS7_SP_SP_NSC_11hip_rocprim7__merge17predicate_wrapperIxxNSC_4lessIxEEEEEE10hipError_tPvRmT0_T1_T2_T3_T4_T5_mmT6_P12ihipStream_tbEUlT_E0_NS1_11comp_targetILNS1_3genE3ELNS1_11target_archE908ELNS1_3gpuE7ELNS1_3repE0EEENS1_30default_config_static_selectorELNS0_4arch9wavefront6targetE0EEEvS10_.uses_flat_scratch, 0
	.set _ZN7rocprim17ROCPRIM_400000_NS6detail17trampoline_kernelINS0_14default_configENS1_21merge_config_selectorINS0_5tupleIJxxEEENS0_10empty_typeEEEZNS1_10merge_implIS3_NS0_12zip_iteratorINS5_IJN6thrust23THRUST_200600_302600_NS6detail15normal_iteratorINSC_10device_ptrIKxEEEESI_EEEEESK_NSA_INS5_IJNSE_INSF_IxEEEESM_EEEEEPS7_SP_SP_NSC_11hip_rocprim7__merge17predicate_wrapperIxxNSC_4lessIxEEEEEE10hipError_tPvRmT0_T1_T2_T3_T4_T5_mmT6_P12ihipStream_tbEUlT_E0_NS1_11comp_targetILNS1_3genE3ELNS1_11target_archE908ELNS1_3gpuE7ELNS1_3repE0EEENS1_30default_config_static_selectorELNS0_4arch9wavefront6targetE0EEEvS10_.has_dyn_sized_stack, 0
	.set _ZN7rocprim17ROCPRIM_400000_NS6detail17trampoline_kernelINS0_14default_configENS1_21merge_config_selectorINS0_5tupleIJxxEEENS0_10empty_typeEEEZNS1_10merge_implIS3_NS0_12zip_iteratorINS5_IJN6thrust23THRUST_200600_302600_NS6detail15normal_iteratorINSC_10device_ptrIKxEEEESI_EEEEESK_NSA_INS5_IJNSE_INSF_IxEEEESM_EEEEEPS7_SP_SP_NSC_11hip_rocprim7__merge17predicate_wrapperIxxNSC_4lessIxEEEEEE10hipError_tPvRmT0_T1_T2_T3_T4_T5_mmT6_P12ihipStream_tbEUlT_E0_NS1_11comp_targetILNS1_3genE3ELNS1_11target_archE908ELNS1_3gpuE7ELNS1_3repE0EEENS1_30default_config_static_selectorELNS0_4arch9wavefront6targetE0EEEvS10_.has_recursion, 0
	.set _ZN7rocprim17ROCPRIM_400000_NS6detail17trampoline_kernelINS0_14default_configENS1_21merge_config_selectorINS0_5tupleIJxxEEENS0_10empty_typeEEEZNS1_10merge_implIS3_NS0_12zip_iteratorINS5_IJN6thrust23THRUST_200600_302600_NS6detail15normal_iteratorINSC_10device_ptrIKxEEEESI_EEEEESK_NSA_INS5_IJNSE_INSF_IxEEEESM_EEEEEPS7_SP_SP_NSC_11hip_rocprim7__merge17predicate_wrapperIxxNSC_4lessIxEEEEEE10hipError_tPvRmT0_T1_T2_T3_T4_T5_mmT6_P12ihipStream_tbEUlT_E0_NS1_11comp_targetILNS1_3genE3ELNS1_11target_archE908ELNS1_3gpuE7ELNS1_3repE0EEENS1_30default_config_static_selectorELNS0_4arch9wavefront6targetE0EEEvS10_.has_indirect_call, 0
	.section	.AMDGPU.csdata,"",@progbits
; Kernel info:
; codeLenInByte = 0
; TotalNumSgprs: 0
; NumVgprs: 0
; ScratchSize: 0
; MemoryBound: 0
; FloatMode: 240
; IeeeMode: 1
; LDSByteSize: 0 bytes/workgroup (compile time only)
; SGPRBlocks: 0
; VGPRBlocks: 0
; NumSGPRsForWavesPerEU: 1
; NumVGPRsForWavesPerEU: 1
; NamedBarCnt: 0
; Occupancy: 16
; WaveLimiterHint : 0
; COMPUTE_PGM_RSRC2:SCRATCH_EN: 0
; COMPUTE_PGM_RSRC2:USER_SGPR: 2
; COMPUTE_PGM_RSRC2:TRAP_HANDLER: 0
; COMPUTE_PGM_RSRC2:TGID_X_EN: 1
; COMPUTE_PGM_RSRC2:TGID_Y_EN: 0
; COMPUTE_PGM_RSRC2:TGID_Z_EN: 0
; COMPUTE_PGM_RSRC2:TIDIG_COMP_CNT: 0
	.section	.text._ZN7rocprim17ROCPRIM_400000_NS6detail17trampoline_kernelINS0_14default_configENS1_21merge_config_selectorINS0_5tupleIJxxEEENS0_10empty_typeEEEZNS1_10merge_implIS3_NS0_12zip_iteratorINS5_IJN6thrust23THRUST_200600_302600_NS6detail15normal_iteratorINSC_10device_ptrIKxEEEESI_EEEEESK_NSA_INS5_IJNSE_INSF_IxEEEESM_EEEEEPS7_SP_SP_NSC_11hip_rocprim7__merge17predicate_wrapperIxxNSC_4lessIxEEEEEE10hipError_tPvRmT0_T1_T2_T3_T4_T5_mmT6_P12ihipStream_tbEUlT_E0_NS1_11comp_targetILNS1_3genE2ELNS1_11target_archE906ELNS1_3gpuE6ELNS1_3repE0EEENS1_30default_config_static_selectorELNS0_4arch9wavefront6targetE0EEEvS10_,"axG",@progbits,_ZN7rocprim17ROCPRIM_400000_NS6detail17trampoline_kernelINS0_14default_configENS1_21merge_config_selectorINS0_5tupleIJxxEEENS0_10empty_typeEEEZNS1_10merge_implIS3_NS0_12zip_iteratorINS5_IJN6thrust23THRUST_200600_302600_NS6detail15normal_iteratorINSC_10device_ptrIKxEEEESI_EEEEESK_NSA_INS5_IJNSE_INSF_IxEEEESM_EEEEEPS7_SP_SP_NSC_11hip_rocprim7__merge17predicate_wrapperIxxNSC_4lessIxEEEEEE10hipError_tPvRmT0_T1_T2_T3_T4_T5_mmT6_P12ihipStream_tbEUlT_E0_NS1_11comp_targetILNS1_3genE2ELNS1_11target_archE906ELNS1_3gpuE6ELNS1_3repE0EEENS1_30default_config_static_selectorELNS0_4arch9wavefront6targetE0EEEvS10_,comdat
	.protected	_ZN7rocprim17ROCPRIM_400000_NS6detail17trampoline_kernelINS0_14default_configENS1_21merge_config_selectorINS0_5tupleIJxxEEENS0_10empty_typeEEEZNS1_10merge_implIS3_NS0_12zip_iteratorINS5_IJN6thrust23THRUST_200600_302600_NS6detail15normal_iteratorINSC_10device_ptrIKxEEEESI_EEEEESK_NSA_INS5_IJNSE_INSF_IxEEEESM_EEEEEPS7_SP_SP_NSC_11hip_rocprim7__merge17predicate_wrapperIxxNSC_4lessIxEEEEEE10hipError_tPvRmT0_T1_T2_T3_T4_T5_mmT6_P12ihipStream_tbEUlT_E0_NS1_11comp_targetILNS1_3genE2ELNS1_11target_archE906ELNS1_3gpuE6ELNS1_3repE0EEENS1_30default_config_static_selectorELNS0_4arch9wavefront6targetE0EEEvS10_ ; -- Begin function _ZN7rocprim17ROCPRIM_400000_NS6detail17trampoline_kernelINS0_14default_configENS1_21merge_config_selectorINS0_5tupleIJxxEEENS0_10empty_typeEEEZNS1_10merge_implIS3_NS0_12zip_iteratorINS5_IJN6thrust23THRUST_200600_302600_NS6detail15normal_iteratorINSC_10device_ptrIKxEEEESI_EEEEESK_NSA_INS5_IJNSE_INSF_IxEEEESM_EEEEEPS7_SP_SP_NSC_11hip_rocprim7__merge17predicate_wrapperIxxNSC_4lessIxEEEEEE10hipError_tPvRmT0_T1_T2_T3_T4_T5_mmT6_P12ihipStream_tbEUlT_E0_NS1_11comp_targetILNS1_3genE2ELNS1_11target_archE906ELNS1_3gpuE6ELNS1_3repE0EEENS1_30default_config_static_selectorELNS0_4arch9wavefront6targetE0EEEvS10_
	.globl	_ZN7rocprim17ROCPRIM_400000_NS6detail17trampoline_kernelINS0_14default_configENS1_21merge_config_selectorINS0_5tupleIJxxEEENS0_10empty_typeEEEZNS1_10merge_implIS3_NS0_12zip_iteratorINS5_IJN6thrust23THRUST_200600_302600_NS6detail15normal_iteratorINSC_10device_ptrIKxEEEESI_EEEEESK_NSA_INS5_IJNSE_INSF_IxEEEESM_EEEEEPS7_SP_SP_NSC_11hip_rocprim7__merge17predicate_wrapperIxxNSC_4lessIxEEEEEE10hipError_tPvRmT0_T1_T2_T3_T4_T5_mmT6_P12ihipStream_tbEUlT_E0_NS1_11comp_targetILNS1_3genE2ELNS1_11target_archE906ELNS1_3gpuE6ELNS1_3repE0EEENS1_30default_config_static_selectorELNS0_4arch9wavefront6targetE0EEEvS10_
	.p2align	8
	.type	_ZN7rocprim17ROCPRIM_400000_NS6detail17trampoline_kernelINS0_14default_configENS1_21merge_config_selectorINS0_5tupleIJxxEEENS0_10empty_typeEEEZNS1_10merge_implIS3_NS0_12zip_iteratorINS5_IJN6thrust23THRUST_200600_302600_NS6detail15normal_iteratorINSC_10device_ptrIKxEEEESI_EEEEESK_NSA_INS5_IJNSE_INSF_IxEEEESM_EEEEEPS7_SP_SP_NSC_11hip_rocprim7__merge17predicate_wrapperIxxNSC_4lessIxEEEEEE10hipError_tPvRmT0_T1_T2_T3_T4_T5_mmT6_P12ihipStream_tbEUlT_E0_NS1_11comp_targetILNS1_3genE2ELNS1_11target_archE906ELNS1_3gpuE6ELNS1_3repE0EEENS1_30default_config_static_selectorELNS0_4arch9wavefront6targetE0EEEvS10_,@function
_ZN7rocprim17ROCPRIM_400000_NS6detail17trampoline_kernelINS0_14default_configENS1_21merge_config_selectorINS0_5tupleIJxxEEENS0_10empty_typeEEEZNS1_10merge_implIS3_NS0_12zip_iteratorINS5_IJN6thrust23THRUST_200600_302600_NS6detail15normal_iteratorINSC_10device_ptrIKxEEEESI_EEEEESK_NSA_INS5_IJNSE_INSF_IxEEEESM_EEEEEPS7_SP_SP_NSC_11hip_rocprim7__merge17predicate_wrapperIxxNSC_4lessIxEEEEEE10hipError_tPvRmT0_T1_T2_T3_T4_T5_mmT6_P12ihipStream_tbEUlT_E0_NS1_11comp_targetILNS1_3genE2ELNS1_11target_archE906ELNS1_3gpuE6ELNS1_3repE0EEENS1_30default_config_static_selectorELNS0_4arch9wavefront6targetE0EEEvS10_: ; @_ZN7rocprim17ROCPRIM_400000_NS6detail17trampoline_kernelINS0_14default_configENS1_21merge_config_selectorINS0_5tupleIJxxEEENS0_10empty_typeEEEZNS1_10merge_implIS3_NS0_12zip_iteratorINS5_IJN6thrust23THRUST_200600_302600_NS6detail15normal_iteratorINSC_10device_ptrIKxEEEESI_EEEEESK_NSA_INS5_IJNSE_INSF_IxEEEESM_EEEEEPS7_SP_SP_NSC_11hip_rocprim7__merge17predicate_wrapperIxxNSC_4lessIxEEEEEE10hipError_tPvRmT0_T1_T2_T3_T4_T5_mmT6_P12ihipStream_tbEUlT_E0_NS1_11comp_targetILNS1_3genE2ELNS1_11target_archE906ELNS1_3gpuE6ELNS1_3repE0EEENS1_30default_config_static_selectorELNS0_4arch9wavefront6targetE0EEEvS10_
; %bb.0:
	.section	.rodata,"a",@progbits
	.p2align	6, 0x0
	.amdhsa_kernel _ZN7rocprim17ROCPRIM_400000_NS6detail17trampoline_kernelINS0_14default_configENS1_21merge_config_selectorINS0_5tupleIJxxEEENS0_10empty_typeEEEZNS1_10merge_implIS3_NS0_12zip_iteratorINS5_IJN6thrust23THRUST_200600_302600_NS6detail15normal_iteratorINSC_10device_ptrIKxEEEESI_EEEEESK_NSA_INS5_IJNSE_INSF_IxEEEESM_EEEEEPS7_SP_SP_NSC_11hip_rocprim7__merge17predicate_wrapperIxxNSC_4lessIxEEEEEE10hipError_tPvRmT0_T1_T2_T3_T4_T5_mmT6_P12ihipStream_tbEUlT_E0_NS1_11comp_targetILNS1_3genE2ELNS1_11target_archE906ELNS1_3gpuE6ELNS1_3repE0EEENS1_30default_config_static_selectorELNS0_4arch9wavefront6targetE0EEEvS10_
		.amdhsa_group_segment_fixed_size 0
		.amdhsa_private_segment_fixed_size 0
		.amdhsa_kernarg_size 112
		.amdhsa_user_sgpr_count 2
		.amdhsa_user_sgpr_dispatch_ptr 0
		.amdhsa_user_sgpr_queue_ptr 0
		.amdhsa_user_sgpr_kernarg_segment_ptr 1
		.amdhsa_user_sgpr_dispatch_id 0
		.amdhsa_user_sgpr_kernarg_preload_length 0
		.amdhsa_user_sgpr_kernarg_preload_offset 0
		.amdhsa_user_sgpr_private_segment_size 0
		.amdhsa_wavefront_size32 1
		.amdhsa_uses_dynamic_stack 0
		.amdhsa_enable_private_segment 0
		.amdhsa_system_sgpr_workgroup_id_x 1
		.amdhsa_system_sgpr_workgroup_id_y 0
		.amdhsa_system_sgpr_workgroup_id_z 0
		.amdhsa_system_sgpr_workgroup_info 0
		.amdhsa_system_vgpr_workitem_id 0
		.amdhsa_next_free_vgpr 1
		.amdhsa_next_free_sgpr 1
		.amdhsa_named_barrier_count 0
		.amdhsa_reserve_vcc 0
		.amdhsa_float_round_mode_32 0
		.amdhsa_float_round_mode_16_64 0
		.amdhsa_float_denorm_mode_32 3
		.amdhsa_float_denorm_mode_16_64 3
		.amdhsa_fp16_overflow 0
		.amdhsa_memory_ordered 1
		.amdhsa_forward_progress 1
		.amdhsa_inst_pref_size 0
		.amdhsa_round_robin_scheduling 0
		.amdhsa_exception_fp_ieee_invalid_op 0
		.amdhsa_exception_fp_denorm_src 0
		.amdhsa_exception_fp_ieee_div_zero 0
		.amdhsa_exception_fp_ieee_overflow 0
		.amdhsa_exception_fp_ieee_underflow 0
		.amdhsa_exception_fp_ieee_inexact 0
		.amdhsa_exception_int_div_zero 0
	.end_amdhsa_kernel
	.section	.text._ZN7rocprim17ROCPRIM_400000_NS6detail17trampoline_kernelINS0_14default_configENS1_21merge_config_selectorINS0_5tupleIJxxEEENS0_10empty_typeEEEZNS1_10merge_implIS3_NS0_12zip_iteratorINS5_IJN6thrust23THRUST_200600_302600_NS6detail15normal_iteratorINSC_10device_ptrIKxEEEESI_EEEEESK_NSA_INS5_IJNSE_INSF_IxEEEESM_EEEEEPS7_SP_SP_NSC_11hip_rocprim7__merge17predicate_wrapperIxxNSC_4lessIxEEEEEE10hipError_tPvRmT0_T1_T2_T3_T4_T5_mmT6_P12ihipStream_tbEUlT_E0_NS1_11comp_targetILNS1_3genE2ELNS1_11target_archE906ELNS1_3gpuE6ELNS1_3repE0EEENS1_30default_config_static_selectorELNS0_4arch9wavefront6targetE0EEEvS10_,"axG",@progbits,_ZN7rocprim17ROCPRIM_400000_NS6detail17trampoline_kernelINS0_14default_configENS1_21merge_config_selectorINS0_5tupleIJxxEEENS0_10empty_typeEEEZNS1_10merge_implIS3_NS0_12zip_iteratorINS5_IJN6thrust23THRUST_200600_302600_NS6detail15normal_iteratorINSC_10device_ptrIKxEEEESI_EEEEESK_NSA_INS5_IJNSE_INSF_IxEEEESM_EEEEEPS7_SP_SP_NSC_11hip_rocprim7__merge17predicate_wrapperIxxNSC_4lessIxEEEEEE10hipError_tPvRmT0_T1_T2_T3_T4_T5_mmT6_P12ihipStream_tbEUlT_E0_NS1_11comp_targetILNS1_3genE2ELNS1_11target_archE906ELNS1_3gpuE6ELNS1_3repE0EEENS1_30default_config_static_selectorELNS0_4arch9wavefront6targetE0EEEvS10_,comdat
.Lfunc_end220:
	.size	_ZN7rocprim17ROCPRIM_400000_NS6detail17trampoline_kernelINS0_14default_configENS1_21merge_config_selectorINS0_5tupleIJxxEEENS0_10empty_typeEEEZNS1_10merge_implIS3_NS0_12zip_iteratorINS5_IJN6thrust23THRUST_200600_302600_NS6detail15normal_iteratorINSC_10device_ptrIKxEEEESI_EEEEESK_NSA_INS5_IJNSE_INSF_IxEEEESM_EEEEEPS7_SP_SP_NSC_11hip_rocprim7__merge17predicate_wrapperIxxNSC_4lessIxEEEEEE10hipError_tPvRmT0_T1_T2_T3_T4_T5_mmT6_P12ihipStream_tbEUlT_E0_NS1_11comp_targetILNS1_3genE2ELNS1_11target_archE906ELNS1_3gpuE6ELNS1_3repE0EEENS1_30default_config_static_selectorELNS0_4arch9wavefront6targetE0EEEvS10_, .Lfunc_end220-_ZN7rocprim17ROCPRIM_400000_NS6detail17trampoline_kernelINS0_14default_configENS1_21merge_config_selectorINS0_5tupleIJxxEEENS0_10empty_typeEEEZNS1_10merge_implIS3_NS0_12zip_iteratorINS5_IJN6thrust23THRUST_200600_302600_NS6detail15normal_iteratorINSC_10device_ptrIKxEEEESI_EEEEESK_NSA_INS5_IJNSE_INSF_IxEEEESM_EEEEEPS7_SP_SP_NSC_11hip_rocprim7__merge17predicate_wrapperIxxNSC_4lessIxEEEEEE10hipError_tPvRmT0_T1_T2_T3_T4_T5_mmT6_P12ihipStream_tbEUlT_E0_NS1_11comp_targetILNS1_3genE2ELNS1_11target_archE906ELNS1_3gpuE6ELNS1_3repE0EEENS1_30default_config_static_selectorELNS0_4arch9wavefront6targetE0EEEvS10_
                                        ; -- End function
	.set _ZN7rocprim17ROCPRIM_400000_NS6detail17trampoline_kernelINS0_14default_configENS1_21merge_config_selectorINS0_5tupleIJxxEEENS0_10empty_typeEEEZNS1_10merge_implIS3_NS0_12zip_iteratorINS5_IJN6thrust23THRUST_200600_302600_NS6detail15normal_iteratorINSC_10device_ptrIKxEEEESI_EEEEESK_NSA_INS5_IJNSE_INSF_IxEEEESM_EEEEEPS7_SP_SP_NSC_11hip_rocprim7__merge17predicate_wrapperIxxNSC_4lessIxEEEEEE10hipError_tPvRmT0_T1_T2_T3_T4_T5_mmT6_P12ihipStream_tbEUlT_E0_NS1_11comp_targetILNS1_3genE2ELNS1_11target_archE906ELNS1_3gpuE6ELNS1_3repE0EEENS1_30default_config_static_selectorELNS0_4arch9wavefront6targetE0EEEvS10_.num_vgpr, 0
	.set _ZN7rocprim17ROCPRIM_400000_NS6detail17trampoline_kernelINS0_14default_configENS1_21merge_config_selectorINS0_5tupleIJxxEEENS0_10empty_typeEEEZNS1_10merge_implIS3_NS0_12zip_iteratorINS5_IJN6thrust23THRUST_200600_302600_NS6detail15normal_iteratorINSC_10device_ptrIKxEEEESI_EEEEESK_NSA_INS5_IJNSE_INSF_IxEEEESM_EEEEEPS7_SP_SP_NSC_11hip_rocprim7__merge17predicate_wrapperIxxNSC_4lessIxEEEEEE10hipError_tPvRmT0_T1_T2_T3_T4_T5_mmT6_P12ihipStream_tbEUlT_E0_NS1_11comp_targetILNS1_3genE2ELNS1_11target_archE906ELNS1_3gpuE6ELNS1_3repE0EEENS1_30default_config_static_selectorELNS0_4arch9wavefront6targetE0EEEvS10_.num_agpr, 0
	.set _ZN7rocprim17ROCPRIM_400000_NS6detail17trampoline_kernelINS0_14default_configENS1_21merge_config_selectorINS0_5tupleIJxxEEENS0_10empty_typeEEEZNS1_10merge_implIS3_NS0_12zip_iteratorINS5_IJN6thrust23THRUST_200600_302600_NS6detail15normal_iteratorINSC_10device_ptrIKxEEEESI_EEEEESK_NSA_INS5_IJNSE_INSF_IxEEEESM_EEEEEPS7_SP_SP_NSC_11hip_rocprim7__merge17predicate_wrapperIxxNSC_4lessIxEEEEEE10hipError_tPvRmT0_T1_T2_T3_T4_T5_mmT6_P12ihipStream_tbEUlT_E0_NS1_11comp_targetILNS1_3genE2ELNS1_11target_archE906ELNS1_3gpuE6ELNS1_3repE0EEENS1_30default_config_static_selectorELNS0_4arch9wavefront6targetE0EEEvS10_.numbered_sgpr, 0
	.set _ZN7rocprim17ROCPRIM_400000_NS6detail17trampoline_kernelINS0_14default_configENS1_21merge_config_selectorINS0_5tupleIJxxEEENS0_10empty_typeEEEZNS1_10merge_implIS3_NS0_12zip_iteratorINS5_IJN6thrust23THRUST_200600_302600_NS6detail15normal_iteratorINSC_10device_ptrIKxEEEESI_EEEEESK_NSA_INS5_IJNSE_INSF_IxEEEESM_EEEEEPS7_SP_SP_NSC_11hip_rocprim7__merge17predicate_wrapperIxxNSC_4lessIxEEEEEE10hipError_tPvRmT0_T1_T2_T3_T4_T5_mmT6_P12ihipStream_tbEUlT_E0_NS1_11comp_targetILNS1_3genE2ELNS1_11target_archE906ELNS1_3gpuE6ELNS1_3repE0EEENS1_30default_config_static_selectorELNS0_4arch9wavefront6targetE0EEEvS10_.num_named_barrier, 0
	.set _ZN7rocprim17ROCPRIM_400000_NS6detail17trampoline_kernelINS0_14default_configENS1_21merge_config_selectorINS0_5tupleIJxxEEENS0_10empty_typeEEEZNS1_10merge_implIS3_NS0_12zip_iteratorINS5_IJN6thrust23THRUST_200600_302600_NS6detail15normal_iteratorINSC_10device_ptrIKxEEEESI_EEEEESK_NSA_INS5_IJNSE_INSF_IxEEEESM_EEEEEPS7_SP_SP_NSC_11hip_rocprim7__merge17predicate_wrapperIxxNSC_4lessIxEEEEEE10hipError_tPvRmT0_T1_T2_T3_T4_T5_mmT6_P12ihipStream_tbEUlT_E0_NS1_11comp_targetILNS1_3genE2ELNS1_11target_archE906ELNS1_3gpuE6ELNS1_3repE0EEENS1_30default_config_static_selectorELNS0_4arch9wavefront6targetE0EEEvS10_.private_seg_size, 0
	.set _ZN7rocprim17ROCPRIM_400000_NS6detail17trampoline_kernelINS0_14default_configENS1_21merge_config_selectorINS0_5tupleIJxxEEENS0_10empty_typeEEEZNS1_10merge_implIS3_NS0_12zip_iteratorINS5_IJN6thrust23THRUST_200600_302600_NS6detail15normal_iteratorINSC_10device_ptrIKxEEEESI_EEEEESK_NSA_INS5_IJNSE_INSF_IxEEEESM_EEEEEPS7_SP_SP_NSC_11hip_rocprim7__merge17predicate_wrapperIxxNSC_4lessIxEEEEEE10hipError_tPvRmT0_T1_T2_T3_T4_T5_mmT6_P12ihipStream_tbEUlT_E0_NS1_11comp_targetILNS1_3genE2ELNS1_11target_archE906ELNS1_3gpuE6ELNS1_3repE0EEENS1_30default_config_static_selectorELNS0_4arch9wavefront6targetE0EEEvS10_.uses_vcc, 0
	.set _ZN7rocprim17ROCPRIM_400000_NS6detail17trampoline_kernelINS0_14default_configENS1_21merge_config_selectorINS0_5tupleIJxxEEENS0_10empty_typeEEEZNS1_10merge_implIS3_NS0_12zip_iteratorINS5_IJN6thrust23THRUST_200600_302600_NS6detail15normal_iteratorINSC_10device_ptrIKxEEEESI_EEEEESK_NSA_INS5_IJNSE_INSF_IxEEEESM_EEEEEPS7_SP_SP_NSC_11hip_rocprim7__merge17predicate_wrapperIxxNSC_4lessIxEEEEEE10hipError_tPvRmT0_T1_T2_T3_T4_T5_mmT6_P12ihipStream_tbEUlT_E0_NS1_11comp_targetILNS1_3genE2ELNS1_11target_archE906ELNS1_3gpuE6ELNS1_3repE0EEENS1_30default_config_static_selectorELNS0_4arch9wavefront6targetE0EEEvS10_.uses_flat_scratch, 0
	.set _ZN7rocprim17ROCPRIM_400000_NS6detail17trampoline_kernelINS0_14default_configENS1_21merge_config_selectorINS0_5tupleIJxxEEENS0_10empty_typeEEEZNS1_10merge_implIS3_NS0_12zip_iteratorINS5_IJN6thrust23THRUST_200600_302600_NS6detail15normal_iteratorINSC_10device_ptrIKxEEEESI_EEEEESK_NSA_INS5_IJNSE_INSF_IxEEEESM_EEEEEPS7_SP_SP_NSC_11hip_rocprim7__merge17predicate_wrapperIxxNSC_4lessIxEEEEEE10hipError_tPvRmT0_T1_T2_T3_T4_T5_mmT6_P12ihipStream_tbEUlT_E0_NS1_11comp_targetILNS1_3genE2ELNS1_11target_archE906ELNS1_3gpuE6ELNS1_3repE0EEENS1_30default_config_static_selectorELNS0_4arch9wavefront6targetE0EEEvS10_.has_dyn_sized_stack, 0
	.set _ZN7rocprim17ROCPRIM_400000_NS6detail17trampoline_kernelINS0_14default_configENS1_21merge_config_selectorINS0_5tupleIJxxEEENS0_10empty_typeEEEZNS1_10merge_implIS3_NS0_12zip_iteratorINS5_IJN6thrust23THRUST_200600_302600_NS6detail15normal_iteratorINSC_10device_ptrIKxEEEESI_EEEEESK_NSA_INS5_IJNSE_INSF_IxEEEESM_EEEEEPS7_SP_SP_NSC_11hip_rocprim7__merge17predicate_wrapperIxxNSC_4lessIxEEEEEE10hipError_tPvRmT0_T1_T2_T3_T4_T5_mmT6_P12ihipStream_tbEUlT_E0_NS1_11comp_targetILNS1_3genE2ELNS1_11target_archE906ELNS1_3gpuE6ELNS1_3repE0EEENS1_30default_config_static_selectorELNS0_4arch9wavefront6targetE0EEEvS10_.has_recursion, 0
	.set _ZN7rocprim17ROCPRIM_400000_NS6detail17trampoline_kernelINS0_14default_configENS1_21merge_config_selectorINS0_5tupleIJxxEEENS0_10empty_typeEEEZNS1_10merge_implIS3_NS0_12zip_iteratorINS5_IJN6thrust23THRUST_200600_302600_NS6detail15normal_iteratorINSC_10device_ptrIKxEEEESI_EEEEESK_NSA_INS5_IJNSE_INSF_IxEEEESM_EEEEEPS7_SP_SP_NSC_11hip_rocprim7__merge17predicate_wrapperIxxNSC_4lessIxEEEEEE10hipError_tPvRmT0_T1_T2_T3_T4_T5_mmT6_P12ihipStream_tbEUlT_E0_NS1_11comp_targetILNS1_3genE2ELNS1_11target_archE906ELNS1_3gpuE6ELNS1_3repE0EEENS1_30default_config_static_selectorELNS0_4arch9wavefront6targetE0EEEvS10_.has_indirect_call, 0
	.section	.AMDGPU.csdata,"",@progbits
; Kernel info:
; codeLenInByte = 0
; TotalNumSgprs: 0
; NumVgprs: 0
; ScratchSize: 0
; MemoryBound: 0
; FloatMode: 240
; IeeeMode: 1
; LDSByteSize: 0 bytes/workgroup (compile time only)
; SGPRBlocks: 0
; VGPRBlocks: 0
; NumSGPRsForWavesPerEU: 1
; NumVGPRsForWavesPerEU: 1
; NamedBarCnt: 0
; Occupancy: 16
; WaveLimiterHint : 0
; COMPUTE_PGM_RSRC2:SCRATCH_EN: 0
; COMPUTE_PGM_RSRC2:USER_SGPR: 2
; COMPUTE_PGM_RSRC2:TRAP_HANDLER: 0
; COMPUTE_PGM_RSRC2:TGID_X_EN: 1
; COMPUTE_PGM_RSRC2:TGID_Y_EN: 0
; COMPUTE_PGM_RSRC2:TGID_Z_EN: 0
; COMPUTE_PGM_RSRC2:TIDIG_COMP_CNT: 0
	.section	.text._ZN7rocprim17ROCPRIM_400000_NS6detail17trampoline_kernelINS0_14default_configENS1_21merge_config_selectorINS0_5tupleIJxxEEENS0_10empty_typeEEEZNS1_10merge_implIS3_NS0_12zip_iteratorINS5_IJN6thrust23THRUST_200600_302600_NS6detail15normal_iteratorINSC_10device_ptrIKxEEEESI_EEEEESK_NSA_INS5_IJNSE_INSF_IxEEEESM_EEEEEPS7_SP_SP_NSC_11hip_rocprim7__merge17predicate_wrapperIxxNSC_4lessIxEEEEEE10hipError_tPvRmT0_T1_T2_T3_T4_T5_mmT6_P12ihipStream_tbEUlT_E0_NS1_11comp_targetILNS1_3genE10ELNS1_11target_archE1201ELNS1_3gpuE5ELNS1_3repE0EEENS1_30default_config_static_selectorELNS0_4arch9wavefront6targetE0EEEvS10_,"axG",@progbits,_ZN7rocprim17ROCPRIM_400000_NS6detail17trampoline_kernelINS0_14default_configENS1_21merge_config_selectorINS0_5tupleIJxxEEENS0_10empty_typeEEEZNS1_10merge_implIS3_NS0_12zip_iteratorINS5_IJN6thrust23THRUST_200600_302600_NS6detail15normal_iteratorINSC_10device_ptrIKxEEEESI_EEEEESK_NSA_INS5_IJNSE_INSF_IxEEEESM_EEEEEPS7_SP_SP_NSC_11hip_rocprim7__merge17predicate_wrapperIxxNSC_4lessIxEEEEEE10hipError_tPvRmT0_T1_T2_T3_T4_T5_mmT6_P12ihipStream_tbEUlT_E0_NS1_11comp_targetILNS1_3genE10ELNS1_11target_archE1201ELNS1_3gpuE5ELNS1_3repE0EEENS1_30default_config_static_selectorELNS0_4arch9wavefront6targetE0EEEvS10_,comdat
	.protected	_ZN7rocprim17ROCPRIM_400000_NS6detail17trampoline_kernelINS0_14default_configENS1_21merge_config_selectorINS0_5tupleIJxxEEENS0_10empty_typeEEEZNS1_10merge_implIS3_NS0_12zip_iteratorINS5_IJN6thrust23THRUST_200600_302600_NS6detail15normal_iteratorINSC_10device_ptrIKxEEEESI_EEEEESK_NSA_INS5_IJNSE_INSF_IxEEEESM_EEEEEPS7_SP_SP_NSC_11hip_rocprim7__merge17predicate_wrapperIxxNSC_4lessIxEEEEEE10hipError_tPvRmT0_T1_T2_T3_T4_T5_mmT6_P12ihipStream_tbEUlT_E0_NS1_11comp_targetILNS1_3genE10ELNS1_11target_archE1201ELNS1_3gpuE5ELNS1_3repE0EEENS1_30default_config_static_selectorELNS0_4arch9wavefront6targetE0EEEvS10_ ; -- Begin function _ZN7rocprim17ROCPRIM_400000_NS6detail17trampoline_kernelINS0_14default_configENS1_21merge_config_selectorINS0_5tupleIJxxEEENS0_10empty_typeEEEZNS1_10merge_implIS3_NS0_12zip_iteratorINS5_IJN6thrust23THRUST_200600_302600_NS6detail15normal_iteratorINSC_10device_ptrIKxEEEESI_EEEEESK_NSA_INS5_IJNSE_INSF_IxEEEESM_EEEEEPS7_SP_SP_NSC_11hip_rocprim7__merge17predicate_wrapperIxxNSC_4lessIxEEEEEE10hipError_tPvRmT0_T1_T2_T3_T4_T5_mmT6_P12ihipStream_tbEUlT_E0_NS1_11comp_targetILNS1_3genE10ELNS1_11target_archE1201ELNS1_3gpuE5ELNS1_3repE0EEENS1_30default_config_static_selectorELNS0_4arch9wavefront6targetE0EEEvS10_
	.globl	_ZN7rocprim17ROCPRIM_400000_NS6detail17trampoline_kernelINS0_14default_configENS1_21merge_config_selectorINS0_5tupleIJxxEEENS0_10empty_typeEEEZNS1_10merge_implIS3_NS0_12zip_iteratorINS5_IJN6thrust23THRUST_200600_302600_NS6detail15normal_iteratorINSC_10device_ptrIKxEEEESI_EEEEESK_NSA_INS5_IJNSE_INSF_IxEEEESM_EEEEEPS7_SP_SP_NSC_11hip_rocprim7__merge17predicate_wrapperIxxNSC_4lessIxEEEEEE10hipError_tPvRmT0_T1_T2_T3_T4_T5_mmT6_P12ihipStream_tbEUlT_E0_NS1_11comp_targetILNS1_3genE10ELNS1_11target_archE1201ELNS1_3gpuE5ELNS1_3repE0EEENS1_30default_config_static_selectorELNS0_4arch9wavefront6targetE0EEEvS10_
	.p2align	8
	.type	_ZN7rocprim17ROCPRIM_400000_NS6detail17trampoline_kernelINS0_14default_configENS1_21merge_config_selectorINS0_5tupleIJxxEEENS0_10empty_typeEEEZNS1_10merge_implIS3_NS0_12zip_iteratorINS5_IJN6thrust23THRUST_200600_302600_NS6detail15normal_iteratorINSC_10device_ptrIKxEEEESI_EEEEESK_NSA_INS5_IJNSE_INSF_IxEEEESM_EEEEEPS7_SP_SP_NSC_11hip_rocprim7__merge17predicate_wrapperIxxNSC_4lessIxEEEEEE10hipError_tPvRmT0_T1_T2_T3_T4_T5_mmT6_P12ihipStream_tbEUlT_E0_NS1_11comp_targetILNS1_3genE10ELNS1_11target_archE1201ELNS1_3gpuE5ELNS1_3repE0EEENS1_30default_config_static_selectorELNS0_4arch9wavefront6targetE0EEEvS10_,@function
_ZN7rocprim17ROCPRIM_400000_NS6detail17trampoline_kernelINS0_14default_configENS1_21merge_config_selectorINS0_5tupleIJxxEEENS0_10empty_typeEEEZNS1_10merge_implIS3_NS0_12zip_iteratorINS5_IJN6thrust23THRUST_200600_302600_NS6detail15normal_iteratorINSC_10device_ptrIKxEEEESI_EEEEESK_NSA_INS5_IJNSE_INSF_IxEEEESM_EEEEEPS7_SP_SP_NSC_11hip_rocprim7__merge17predicate_wrapperIxxNSC_4lessIxEEEEEE10hipError_tPvRmT0_T1_T2_T3_T4_T5_mmT6_P12ihipStream_tbEUlT_E0_NS1_11comp_targetILNS1_3genE10ELNS1_11target_archE1201ELNS1_3gpuE5ELNS1_3repE0EEENS1_30default_config_static_selectorELNS0_4arch9wavefront6targetE0EEEvS10_: ; @_ZN7rocprim17ROCPRIM_400000_NS6detail17trampoline_kernelINS0_14default_configENS1_21merge_config_selectorINS0_5tupleIJxxEEENS0_10empty_typeEEEZNS1_10merge_implIS3_NS0_12zip_iteratorINS5_IJN6thrust23THRUST_200600_302600_NS6detail15normal_iteratorINSC_10device_ptrIKxEEEESI_EEEEESK_NSA_INS5_IJNSE_INSF_IxEEEESM_EEEEEPS7_SP_SP_NSC_11hip_rocprim7__merge17predicate_wrapperIxxNSC_4lessIxEEEEEE10hipError_tPvRmT0_T1_T2_T3_T4_T5_mmT6_P12ihipStream_tbEUlT_E0_NS1_11comp_targetILNS1_3genE10ELNS1_11target_archE1201ELNS1_3gpuE5ELNS1_3repE0EEENS1_30default_config_static_selectorELNS0_4arch9wavefront6targetE0EEEvS10_
; %bb.0:
	.section	.rodata,"a",@progbits
	.p2align	6, 0x0
	.amdhsa_kernel _ZN7rocprim17ROCPRIM_400000_NS6detail17trampoline_kernelINS0_14default_configENS1_21merge_config_selectorINS0_5tupleIJxxEEENS0_10empty_typeEEEZNS1_10merge_implIS3_NS0_12zip_iteratorINS5_IJN6thrust23THRUST_200600_302600_NS6detail15normal_iteratorINSC_10device_ptrIKxEEEESI_EEEEESK_NSA_INS5_IJNSE_INSF_IxEEEESM_EEEEEPS7_SP_SP_NSC_11hip_rocprim7__merge17predicate_wrapperIxxNSC_4lessIxEEEEEE10hipError_tPvRmT0_T1_T2_T3_T4_T5_mmT6_P12ihipStream_tbEUlT_E0_NS1_11comp_targetILNS1_3genE10ELNS1_11target_archE1201ELNS1_3gpuE5ELNS1_3repE0EEENS1_30default_config_static_selectorELNS0_4arch9wavefront6targetE0EEEvS10_
		.amdhsa_group_segment_fixed_size 0
		.amdhsa_private_segment_fixed_size 0
		.amdhsa_kernarg_size 112
		.amdhsa_user_sgpr_count 2
		.amdhsa_user_sgpr_dispatch_ptr 0
		.amdhsa_user_sgpr_queue_ptr 0
		.amdhsa_user_sgpr_kernarg_segment_ptr 1
		.amdhsa_user_sgpr_dispatch_id 0
		.amdhsa_user_sgpr_kernarg_preload_length 0
		.amdhsa_user_sgpr_kernarg_preload_offset 0
		.amdhsa_user_sgpr_private_segment_size 0
		.amdhsa_wavefront_size32 1
		.amdhsa_uses_dynamic_stack 0
		.amdhsa_enable_private_segment 0
		.amdhsa_system_sgpr_workgroup_id_x 1
		.amdhsa_system_sgpr_workgroup_id_y 0
		.amdhsa_system_sgpr_workgroup_id_z 0
		.amdhsa_system_sgpr_workgroup_info 0
		.amdhsa_system_vgpr_workitem_id 0
		.amdhsa_next_free_vgpr 1
		.amdhsa_next_free_sgpr 1
		.amdhsa_named_barrier_count 0
		.amdhsa_reserve_vcc 0
		.amdhsa_float_round_mode_32 0
		.amdhsa_float_round_mode_16_64 0
		.amdhsa_float_denorm_mode_32 3
		.amdhsa_float_denorm_mode_16_64 3
		.amdhsa_fp16_overflow 0
		.amdhsa_memory_ordered 1
		.amdhsa_forward_progress 1
		.amdhsa_inst_pref_size 0
		.amdhsa_round_robin_scheduling 0
		.amdhsa_exception_fp_ieee_invalid_op 0
		.amdhsa_exception_fp_denorm_src 0
		.amdhsa_exception_fp_ieee_div_zero 0
		.amdhsa_exception_fp_ieee_overflow 0
		.amdhsa_exception_fp_ieee_underflow 0
		.amdhsa_exception_fp_ieee_inexact 0
		.amdhsa_exception_int_div_zero 0
	.end_amdhsa_kernel
	.section	.text._ZN7rocprim17ROCPRIM_400000_NS6detail17trampoline_kernelINS0_14default_configENS1_21merge_config_selectorINS0_5tupleIJxxEEENS0_10empty_typeEEEZNS1_10merge_implIS3_NS0_12zip_iteratorINS5_IJN6thrust23THRUST_200600_302600_NS6detail15normal_iteratorINSC_10device_ptrIKxEEEESI_EEEEESK_NSA_INS5_IJNSE_INSF_IxEEEESM_EEEEEPS7_SP_SP_NSC_11hip_rocprim7__merge17predicate_wrapperIxxNSC_4lessIxEEEEEE10hipError_tPvRmT0_T1_T2_T3_T4_T5_mmT6_P12ihipStream_tbEUlT_E0_NS1_11comp_targetILNS1_3genE10ELNS1_11target_archE1201ELNS1_3gpuE5ELNS1_3repE0EEENS1_30default_config_static_selectorELNS0_4arch9wavefront6targetE0EEEvS10_,"axG",@progbits,_ZN7rocprim17ROCPRIM_400000_NS6detail17trampoline_kernelINS0_14default_configENS1_21merge_config_selectorINS0_5tupleIJxxEEENS0_10empty_typeEEEZNS1_10merge_implIS3_NS0_12zip_iteratorINS5_IJN6thrust23THRUST_200600_302600_NS6detail15normal_iteratorINSC_10device_ptrIKxEEEESI_EEEEESK_NSA_INS5_IJNSE_INSF_IxEEEESM_EEEEEPS7_SP_SP_NSC_11hip_rocprim7__merge17predicate_wrapperIxxNSC_4lessIxEEEEEE10hipError_tPvRmT0_T1_T2_T3_T4_T5_mmT6_P12ihipStream_tbEUlT_E0_NS1_11comp_targetILNS1_3genE10ELNS1_11target_archE1201ELNS1_3gpuE5ELNS1_3repE0EEENS1_30default_config_static_selectorELNS0_4arch9wavefront6targetE0EEEvS10_,comdat
.Lfunc_end221:
	.size	_ZN7rocprim17ROCPRIM_400000_NS6detail17trampoline_kernelINS0_14default_configENS1_21merge_config_selectorINS0_5tupleIJxxEEENS0_10empty_typeEEEZNS1_10merge_implIS3_NS0_12zip_iteratorINS5_IJN6thrust23THRUST_200600_302600_NS6detail15normal_iteratorINSC_10device_ptrIKxEEEESI_EEEEESK_NSA_INS5_IJNSE_INSF_IxEEEESM_EEEEEPS7_SP_SP_NSC_11hip_rocprim7__merge17predicate_wrapperIxxNSC_4lessIxEEEEEE10hipError_tPvRmT0_T1_T2_T3_T4_T5_mmT6_P12ihipStream_tbEUlT_E0_NS1_11comp_targetILNS1_3genE10ELNS1_11target_archE1201ELNS1_3gpuE5ELNS1_3repE0EEENS1_30default_config_static_selectorELNS0_4arch9wavefront6targetE0EEEvS10_, .Lfunc_end221-_ZN7rocprim17ROCPRIM_400000_NS6detail17trampoline_kernelINS0_14default_configENS1_21merge_config_selectorINS0_5tupleIJxxEEENS0_10empty_typeEEEZNS1_10merge_implIS3_NS0_12zip_iteratorINS5_IJN6thrust23THRUST_200600_302600_NS6detail15normal_iteratorINSC_10device_ptrIKxEEEESI_EEEEESK_NSA_INS5_IJNSE_INSF_IxEEEESM_EEEEEPS7_SP_SP_NSC_11hip_rocprim7__merge17predicate_wrapperIxxNSC_4lessIxEEEEEE10hipError_tPvRmT0_T1_T2_T3_T4_T5_mmT6_P12ihipStream_tbEUlT_E0_NS1_11comp_targetILNS1_3genE10ELNS1_11target_archE1201ELNS1_3gpuE5ELNS1_3repE0EEENS1_30default_config_static_selectorELNS0_4arch9wavefront6targetE0EEEvS10_
                                        ; -- End function
	.set _ZN7rocprim17ROCPRIM_400000_NS6detail17trampoline_kernelINS0_14default_configENS1_21merge_config_selectorINS0_5tupleIJxxEEENS0_10empty_typeEEEZNS1_10merge_implIS3_NS0_12zip_iteratorINS5_IJN6thrust23THRUST_200600_302600_NS6detail15normal_iteratorINSC_10device_ptrIKxEEEESI_EEEEESK_NSA_INS5_IJNSE_INSF_IxEEEESM_EEEEEPS7_SP_SP_NSC_11hip_rocprim7__merge17predicate_wrapperIxxNSC_4lessIxEEEEEE10hipError_tPvRmT0_T1_T2_T3_T4_T5_mmT6_P12ihipStream_tbEUlT_E0_NS1_11comp_targetILNS1_3genE10ELNS1_11target_archE1201ELNS1_3gpuE5ELNS1_3repE0EEENS1_30default_config_static_selectorELNS0_4arch9wavefront6targetE0EEEvS10_.num_vgpr, 0
	.set _ZN7rocprim17ROCPRIM_400000_NS6detail17trampoline_kernelINS0_14default_configENS1_21merge_config_selectorINS0_5tupleIJxxEEENS0_10empty_typeEEEZNS1_10merge_implIS3_NS0_12zip_iteratorINS5_IJN6thrust23THRUST_200600_302600_NS6detail15normal_iteratorINSC_10device_ptrIKxEEEESI_EEEEESK_NSA_INS5_IJNSE_INSF_IxEEEESM_EEEEEPS7_SP_SP_NSC_11hip_rocprim7__merge17predicate_wrapperIxxNSC_4lessIxEEEEEE10hipError_tPvRmT0_T1_T2_T3_T4_T5_mmT6_P12ihipStream_tbEUlT_E0_NS1_11comp_targetILNS1_3genE10ELNS1_11target_archE1201ELNS1_3gpuE5ELNS1_3repE0EEENS1_30default_config_static_selectorELNS0_4arch9wavefront6targetE0EEEvS10_.num_agpr, 0
	.set _ZN7rocprim17ROCPRIM_400000_NS6detail17trampoline_kernelINS0_14default_configENS1_21merge_config_selectorINS0_5tupleIJxxEEENS0_10empty_typeEEEZNS1_10merge_implIS3_NS0_12zip_iteratorINS5_IJN6thrust23THRUST_200600_302600_NS6detail15normal_iteratorINSC_10device_ptrIKxEEEESI_EEEEESK_NSA_INS5_IJNSE_INSF_IxEEEESM_EEEEEPS7_SP_SP_NSC_11hip_rocprim7__merge17predicate_wrapperIxxNSC_4lessIxEEEEEE10hipError_tPvRmT0_T1_T2_T3_T4_T5_mmT6_P12ihipStream_tbEUlT_E0_NS1_11comp_targetILNS1_3genE10ELNS1_11target_archE1201ELNS1_3gpuE5ELNS1_3repE0EEENS1_30default_config_static_selectorELNS0_4arch9wavefront6targetE0EEEvS10_.numbered_sgpr, 0
	.set _ZN7rocprim17ROCPRIM_400000_NS6detail17trampoline_kernelINS0_14default_configENS1_21merge_config_selectorINS0_5tupleIJxxEEENS0_10empty_typeEEEZNS1_10merge_implIS3_NS0_12zip_iteratorINS5_IJN6thrust23THRUST_200600_302600_NS6detail15normal_iteratorINSC_10device_ptrIKxEEEESI_EEEEESK_NSA_INS5_IJNSE_INSF_IxEEEESM_EEEEEPS7_SP_SP_NSC_11hip_rocprim7__merge17predicate_wrapperIxxNSC_4lessIxEEEEEE10hipError_tPvRmT0_T1_T2_T3_T4_T5_mmT6_P12ihipStream_tbEUlT_E0_NS1_11comp_targetILNS1_3genE10ELNS1_11target_archE1201ELNS1_3gpuE5ELNS1_3repE0EEENS1_30default_config_static_selectorELNS0_4arch9wavefront6targetE0EEEvS10_.num_named_barrier, 0
	.set _ZN7rocprim17ROCPRIM_400000_NS6detail17trampoline_kernelINS0_14default_configENS1_21merge_config_selectorINS0_5tupleIJxxEEENS0_10empty_typeEEEZNS1_10merge_implIS3_NS0_12zip_iteratorINS5_IJN6thrust23THRUST_200600_302600_NS6detail15normal_iteratorINSC_10device_ptrIKxEEEESI_EEEEESK_NSA_INS5_IJNSE_INSF_IxEEEESM_EEEEEPS7_SP_SP_NSC_11hip_rocprim7__merge17predicate_wrapperIxxNSC_4lessIxEEEEEE10hipError_tPvRmT0_T1_T2_T3_T4_T5_mmT6_P12ihipStream_tbEUlT_E0_NS1_11comp_targetILNS1_3genE10ELNS1_11target_archE1201ELNS1_3gpuE5ELNS1_3repE0EEENS1_30default_config_static_selectorELNS0_4arch9wavefront6targetE0EEEvS10_.private_seg_size, 0
	.set _ZN7rocprim17ROCPRIM_400000_NS6detail17trampoline_kernelINS0_14default_configENS1_21merge_config_selectorINS0_5tupleIJxxEEENS0_10empty_typeEEEZNS1_10merge_implIS3_NS0_12zip_iteratorINS5_IJN6thrust23THRUST_200600_302600_NS6detail15normal_iteratorINSC_10device_ptrIKxEEEESI_EEEEESK_NSA_INS5_IJNSE_INSF_IxEEEESM_EEEEEPS7_SP_SP_NSC_11hip_rocprim7__merge17predicate_wrapperIxxNSC_4lessIxEEEEEE10hipError_tPvRmT0_T1_T2_T3_T4_T5_mmT6_P12ihipStream_tbEUlT_E0_NS1_11comp_targetILNS1_3genE10ELNS1_11target_archE1201ELNS1_3gpuE5ELNS1_3repE0EEENS1_30default_config_static_selectorELNS0_4arch9wavefront6targetE0EEEvS10_.uses_vcc, 0
	.set _ZN7rocprim17ROCPRIM_400000_NS6detail17trampoline_kernelINS0_14default_configENS1_21merge_config_selectorINS0_5tupleIJxxEEENS0_10empty_typeEEEZNS1_10merge_implIS3_NS0_12zip_iteratorINS5_IJN6thrust23THRUST_200600_302600_NS6detail15normal_iteratorINSC_10device_ptrIKxEEEESI_EEEEESK_NSA_INS5_IJNSE_INSF_IxEEEESM_EEEEEPS7_SP_SP_NSC_11hip_rocprim7__merge17predicate_wrapperIxxNSC_4lessIxEEEEEE10hipError_tPvRmT0_T1_T2_T3_T4_T5_mmT6_P12ihipStream_tbEUlT_E0_NS1_11comp_targetILNS1_3genE10ELNS1_11target_archE1201ELNS1_3gpuE5ELNS1_3repE0EEENS1_30default_config_static_selectorELNS0_4arch9wavefront6targetE0EEEvS10_.uses_flat_scratch, 0
	.set _ZN7rocprim17ROCPRIM_400000_NS6detail17trampoline_kernelINS0_14default_configENS1_21merge_config_selectorINS0_5tupleIJxxEEENS0_10empty_typeEEEZNS1_10merge_implIS3_NS0_12zip_iteratorINS5_IJN6thrust23THRUST_200600_302600_NS6detail15normal_iteratorINSC_10device_ptrIKxEEEESI_EEEEESK_NSA_INS5_IJNSE_INSF_IxEEEESM_EEEEEPS7_SP_SP_NSC_11hip_rocprim7__merge17predicate_wrapperIxxNSC_4lessIxEEEEEE10hipError_tPvRmT0_T1_T2_T3_T4_T5_mmT6_P12ihipStream_tbEUlT_E0_NS1_11comp_targetILNS1_3genE10ELNS1_11target_archE1201ELNS1_3gpuE5ELNS1_3repE0EEENS1_30default_config_static_selectorELNS0_4arch9wavefront6targetE0EEEvS10_.has_dyn_sized_stack, 0
	.set _ZN7rocprim17ROCPRIM_400000_NS6detail17trampoline_kernelINS0_14default_configENS1_21merge_config_selectorINS0_5tupleIJxxEEENS0_10empty_typeEEEZNS1_10merge_implIS3_NS0_12zip_iteratorINS5_IJN6thrust23THRUST_200600_302600_NS6detail15normal_iteratorINSC_10device_ptrIKxEEEESI_EEEEESK_NSA_INS5_IJNSE_INSF_IxEEEESM_EEEEEPS7_SP_SP_NSC_11hip_rocprim7__merge17predicate_wrapperIxxNSC_4lessIxEEEEEE10hipError_tPvRmT0_T1_T2_T3_T4_T5_mmT6_P12ihipStream_tbEUlT_E0_NS1_11comp_targetILNS1_3genE10ELNS1_11target_archE1201ELNS1_3gpuE5ELNS1_3repE0EEENS1_30default_config_static_selectorELNS0_4arch9wavefront6targetE0EEEvS10_.has_recursion, 0
	.set _ZN7rocprim17ROCPRIM_400000_NS6detail17trampoline_kernelINS0_14default_configENS1_21merge_config_selectorINS0_5tupleIJxxEEENS0_10empty_typeEEEZNS1_10merge_implIS3_NS0_12zip_iteratorINS5_IJN6thrust23THRUST_200600_302600_NS6detail15normal_iteratorINSC_10device_ptrIKxEEEESI_EEEEESK_NSA_INS5_IJNSE_INSF_IxEEEESM_EEEEEPS7_SP_SP_NSC_11hip_rocprim7__merge17predicate_wrapperIxxNSC_4lessIxEEEEEE10hipError_tPvRmT0_T1_T2_T3_T4_T5_mmT6_P12ihipStream_tbEUlT_E0_NS1_11comp_targetILNS1_3genE10ELNS1_11target_archE1201ELNS1_3gpuE5ELNS1_3repE0EEENS1_30default_config_static_selectorELNS0_4arch9wavefront6targetE0EEEvS10_.has_indirect_call, 0
	.section	.AMDGPU.csdata,"",@progbits
; Kernel info:
; codeLenInByte = 0
; TotalNumSgprs: 0
; NumVgprs: 0
; ScratchSize: 0
; MemoryBound: 0
; FloatMode: 240
; IeeeMode: 1
; LDSByteSize: 0 bytes/workgroup (compile time only)
; SGPRBlocks: 0
; VGPRBlocks: 0
; NumSGPRsForWavesPerEU: 1
; NumVGPRsForWavesPerEU: 1
; NamedBarCnt: 0
; Occupancy: 16
; WaveLimiterHint : 0
; COMPUTE_PGM_RSRC2:SCRATCH_EN: 0
; COMPUTE_PGM_RSRC2:USER_SGPR: 2
; COMPUTE_PGM_RSRC2:TRAP_HANDLER: 0
; COMPUTE_PGM_RSRC2:TGID_X_EN: 1
; COMPUTE_PGM_RSRC2:TGID_Y_EN: 0
; COMPUTE_PGM_RSRC2:TGID_Z_EN: 0
; COMPUTE_PGM_RSRC2:TIDIG_COMP_CNT: 0
	.section	.text._ZN7rocprim17ROCPRIM_400000_NS6detail17trampoline_kernelINS0_14default_configENS1_21merge_config_selectorINS0_5tupleIJxxEEENS0_10empty_typeEEEZNS1_10merge_implIS3_NS0_12zip_iteratorINS5_IJN6thrust23THRUST_200600_302600_NS6detail15normal_iteratorINSC_10device_ptrIKxEEEESI_EEEEESK_NSA_INS5_IJNSE_INSF_IxEEEESM_EEEEEPS7_SP_SP_NSC_11hip_rocprim7__merge17predicate_wrapperIxxNSC_4lessIxEEEEEE10hipError_tPvRmT0_T1_T2_T3_T4_T5_mmT6_P12ihipStream_tbEUlT_E0_NS1_11comp_targetILNS1_3genE10ELNS1_11target_archE1200ELNS1_3gpuE4ELNS1_3repE0EEENS1_30default_config_static_selectorELNS0_4arch9wavefront6targetE0EEEvS10_,"axG",@progbits,_ZN7rocprim17ROCPRIM_400000_NS6detail17trampoline_kernelINS0_14default_configENS1_21merge_config_selectorINS0_5tupleIJxxEEENS0_10empty_typeEEEZNS1_10merge_implIS3_NS0_12zip_iteratorINS5_IJN6thrust23THRUST_200600_302600_NS6detail15normal_iteratorINSC_10device_ptrIKxEEEESI_EEEEESK_NSA_INS5_IJNSE_INSF_IxEEEESM_EEEEEPS7_SP_SP_NSC_11hip_rocprim7__merge17predicate_wrapperIxxNSC_4lessIxEEEEEE10hipError_tPvRmT0_T1_T2_T3_T4_T5_mmT6_P12ihipStream_tbEUlT_E0_NS1_11comp_targetILNS1_3genE10ELNS1_11target_archE1200ELNS1_3gpuE4ELNS1_3repE0EEENS1_30default_config_static_selectorELNS0_4arch9wavefront6targetE0EEEvS10_,comdat
	.protected	_ZN7rocprim17ROCPRIM_400000_NS6detail17trampoline_kernelINS0_14default_configENS1_21merge_config_selectorINS0_5tupleIJxxEEENS0_10empty_typeEEEZNS1_10merge_implIS3_NS0_12zip_iteratorINS5_IJN6thrust23THRUST_200600_302600_NS6detail15normal_iteratorINSC_10device_ptrIKxEEEESI_EEEEESK_NSA_INS5_IJNSE_INSF_IxEEEESM_EEEEEPS7_SP_SP_NSC_11hip_rocprim7__merge17predicate_wrapperIxxNSC_4lessIxEEEEEE10hipError_tPvRmT0_T1_T2_T3_T4_T5_mmT6_P12ihipStream_tbEUlT_E0_NS1_11comp_targetILNS1_3genE10ELNS1_11target_archE1200ELNS1_3gpuE4ELNS1_3repE0EEENS1_30default_config_static_selectorELNS0_4arch9wavefront6targetE0EEEvS10_ ; -- Begin function _ZN7rocprim17ROCPRIM_400000_NS6detail17trampoline_kernelINS0_14default_configENS1_21merge_config_selectorINS0_5tupleIJxxEEENS0_10empty_typeEEEZNS1_10merge_implIS3_NS0_12zip_iteratorINS5_IJN6thrust23THRUST_200600_302600_NS6detail15normal_iteratorINSC_10device_ptrIKxEEEESI_EEEEESK_NSA_INS5_IJNSE_INSF_IxEEEESM_EEEEEPS7_SP_SP_NSC_11hip_rocprim7__merge17predicate_wrapperIxxNSC_4lessIxEEEEEE10hipError_tPvRmT0_T1_T2_T3_T4_T5_mmT6_P12ihipStream_tbEUlT_E0_NS1_11comp_targetILNS1_3genE10ELNS1_11target_archE1200ELNS1_3gpuE4ELNS1_3repE0EEENS1_30default_config_static_selectorELNS0_4arch9wavefront6targetE0EEEvS10_
	.globl	_ZN7rocprim17ROCPRIM_400000_NS6detail17trampoline_kernelINS0_14default_configENS1_21merge_config_selectorINS0_5tupleIJxxEEENS0_10empty_typeEEEZNS1_10merge_implIS3_NS0_12zip_iteratorINS5_IJN6thrust23THRUST_200600_302600_NS6detail15normal_iteratorINSC_10device_ptrIKxEEEESI_EEEEESK_NSA_INS5_IJNSE_INSF_IxEEEESM_EEEEEPS7_SP_SP_NSC_11hip_rocprim7__merge17predicate_wrapperIxxNSC_4lessIxEEEEEE10hipError_tPvRmT0_T1_T2_T3_T4_T5_mmT6_P12ihipStream_tbEUlT_E0_NS1_11comp_targetILNS1_3genE10ELNS1_11target_archE1200ELNS1_3gpuE4ELNS1_3repE0EEENS1_30default_config_static_selectorELNS0_4arch9wavefront6targetE0EEEvS10_
	.p2align	8
	.type	_ZN7rocprim17ROCPRIM_400000_NS6detail17trampoline_kernelINS0_14default_configENS1_21merge_config_selectorINS0_5tupleIJxxEEENS0_10empty_typeEEEZNS1_10merge_implIS3_NS0_12zip_iteratorINS5_IJN6thrust23THRUST_200600_302600_NS6detail15normal_iteratorINSC_10device_ptrIKxEEEESI_EEEEESK_NSA_INS5_IJNSE_INSF_IxEEEESM_EEEEEPS7_SP_SP_NSC_11hip_rocprim7__merge17predicate_wrapperIxxNSC_4lessIxEEEEEE10hipError_tPvRmT0_T1_T2_T3_T4_T5_mmT6_P12ihipStream_tbEUlT_E0_NS1_11comp_targetILNS1_3genE10ELNS1_11target_archE1200ELNS1_3gpuE4ELNS1_3repE0EEENS1_30default_config_static_selectorELNS0_4arch9wavefront6targetE0EEEvS10_,@function
_ZN7rocprim17ROCPRIM_400000_NS6detail17trampoline_kernelINS0_14default_configENS1_21merge_config_selectorINS0_5tupleIJxxEEENS0_10empty_typeEEEZNS1_10merge_implIS3_NS0_12zip_iteratorINS5_IJN6thrust23THRUST_200600_302600_NS6detail15normal_iteratorINSC_10device_ptrIKxEEEESI_EEEEESK_NSA_INS5_IJNSE_INSF_IxEEEESM_EEEEEPS7_SP_SP_NSC_11hip_rocprim7__merge17predicate_wrapperIxxNSC_4lessIxEEEEEE10hipError_tPvRmT0_T1_T2_T3_T4_T5_mmT6_P12ihipStream_tbEUlT_E0_NS1_11comp_targetILNS1_3genE10ELNS1_11target_archE1200ELNS1_3gpuE4ELNS1_3repE0EEENS1_30default_config_static_selectorELNS0_4arch9wavefront6targetE0EEEvS10_: ; @_ZN7rocprim17ROCPRIM_400000_NS6detail17trampoline_kernelINS0_14default_configENS1_21merge_config_selectorINS0_5tupleIJxxEEENS0_10empty_typeEEEZNS1_10merge_implIS3_NS0_12zip_iteratorINS5_IJN6thrust23THRUST_200600_302600_NS6detail15normal_iteratorINSC_10device_ptrIKxEEEESI_EEEEESK_NSA_INS5_IJNSE_INSF_IxEEEESM_EEEEEPS7_SP_SP_NSC_11hip_rocprim7__merge17predicate_wrapperIxxNSC_4lessIxEEEEEE10hipError_tPvRmT0_T1_T2_T3_T4_T5_mmT6_P12ihipStream_tbEUlT_E0_NS1_11comp_targetILNS1_3genE10ELNS1_11target_archE1200ELNS1_3gpuE4ELNS1_3repE0EEENS1_30default_config_static_selectorELNS0_4arch9wavefront6targetE0EEEvS10_
; %bb.0:
	.section	.rodata,"a",@progbits
	.p2align	6, 0x0
	.amdhsa_kernel _ZN7rocprim17ROCPRIM_400000_NS6detail17trampoline_kernelINS0_14default_configENS1_21merge_config_selectorINS0_5tupleIJxxEEENS0_10empty_typeEEEZNS1_10merge_implIS3_NS0_12zip_iteratorINS5_IJN6thrust23THRUST_200600_302600_NS6detail15normal_iteratorINSC_10device_ptrIKxEEEESI_EEEEESK_NSA_INS5_IJNSE_INSF_IxEEEESM_EEEEEPS7_SP_SP_NSC_11hip_rocprim7__merge17predicate_wrapperIxxNSC_4lessIxEEEEEE10hipError_tPvRmT0_T1_T2_T3_T4_T5_mmT6_P12ihipStream_tbEUlT_E0_NS1_11comp_targetILNS1_3genE10ELNS1_11target_archE1200ELNS1_3gpuE4ELNS1_3repE0EEENS1_30default_config_static_selectorELNS0_4arch9wavefront6targetE0EEEvS10_
		.amdhsa_group_segment_fixed_size 0
		.amdhsa_private_segment_fixed_size 0
		.amdhsa_kernarg_size 112
		.amdhsa_user_sgpr_count 2
		.amdhsa_user_sgpr_dispatch_ptr 0
		.amdhsa_user_sgpr_queue_ptr 0
		.amdhsa_user_sgpr_kernarg_segment_ptr 1
		.amdhsa_user_sgpr_dispatch_id 0
		.amdhsa_user_sgpr_kernarg_preload_length 0
		.amdhsa_user_sgpr_kernarg_preload_offset 0
		.amdhsa_user_sgpr_private_segment_size 0
		.amdhsa_wavefront_size32 1
		.amdhsa_uses_dynamic_stack 0
		.amdhsa_enable_private_segment 0
		.amdhsa_system_sgpr_workgroup_id_x 1
		.amdhsa_system_sgpr_workgroup_id_y 0
		.amdhsa_system_sgpr_workgroup_id_z 0
		.amdhsa_system_sgpr_workgroup_info 0
		.amdhsa_system_vgpr_workitem_id 0
		.amdhsa_next_free_vgpr 1
		.amdhsa_next_free_sgpr 1
		.amdhsa_named_barrier_count 0
		.amdhsa_reserve_vcc 0
		.amdhsa_float_round_mode_32 0
		.amdhsa_float_round_mode_16_64 0
		.amdhsa_float_denorm_mode_32 3
		.amdhsa_float_denorm_mode_16_64 3
		.amdhsa_fp16_overflow 0
		.amdhsa_memory_ordered 1
		.amdhsa_forward_progress 1
		.amdhsa_inst_pref_size 0
		.amdhsa_round_robin_scheduling 0
		.amdhsa_exception_fp_ieee_invalid_op 0
		.amdhsa_exception_fp_denorm_src 0
		.amdhsa_exception_fp_ieee_div_zero 0
		.amdhsa_exception_fp_ieee_overflow 0
		.amdhsa_exception_fp_ieee_underflow 0
		.amdhsa_exception_fp_ieee_inexact 0
		.amdhsa_exception_int_div_zero 0
	.end_amdhsa_kernel
	.section	.text._ZN7rocprim17ROCPRIM_400000_NS6detail17trampoline_kernelINS0_14default_configENS1_21merge_config_selectorINS0_5tupleIJxxEEENS0_10empty_typeEEEZNS1_10merge_implIS3_NS0_12zip_iteratorINS5_IJN6thrust23THRUST_200600_302600_NS6detail15normal_iteratorINSC_10device_ptrIKxEEEESI_EEEEESK_NSA_INS5_IJNSE_INSF_IxEEEESM_EEEEEPS7_SP_SP_NSC_11hip_rocprim7__merge17predicate_wrapperIxxNSC_4lessIxEEEEEE10hipError_tPvRmT0_T1_T2_T3_T4_T5_mmT6_P12ihipStream_tbEUlT_E0_NS1_11comp_targetILNS1_3genE10ELNS1_11target_archE1200ELNS1_3gpuE4ELNS1_3repE0EEENS1_30default_config_static_selectorELNS0_4arch9wavefront6targetE0EEEvS10_,"axG",@progbits,_ZN7rocprim17ROCPRIM_400000_NS6detail17trampoline_kernelINS0_14default_configENS1_21merge_config_selectorINS0_5tupleIJxxEEENS0_10empty_typeEEEZNS1_10merge_implIS3_NS0_12zip_iteratorINS5_IJN6thrust23THRUST_200600_302600_NS6detail15normal_iteratorINSC_10device_ptrIKxEEEESI_EEEEESK_NSA_INS5_IJNSE_INSF_IxEEEESM_EEEEEPS7_SP_SP_NSC_11hip_rocprim7__merge17predicate_wrapperIxxNSC_4lessIxEEEEEE10hipError_tPvRmT0_T1_T2_T3_T4_T5_mmT6_P12ihipStream_tbEUlT_E0_NS1_11comp_targetILNS1_3genE10ELNS1_11target_archE1200ELNS1_3gpuE4ELNS1_3repE0EEENS1_30default_config_static_selectorELNS0_4arch9wavefront6targetE0EEEvS10_,comdat
.Lfunc_end222:
	.size	_ZN7rocprim17ROCPRIM_400000_NS6detail17trampoline_kernelINS0_14default_configENS1_21merge_config_selectorINS0_5tupleIJxxEEENS0_10empty_typeEEEZNS1_10merge_implIS3_NS0_12zip_iteratorINS5_IJN6thrust23THRUST_200600_302600_NS6detail15normal_iteratorINSC_10device_ptrIKxEEEESI_EEEEESK_NSA_INS5_IJNSE_INSF_IxEEEESM_EEEEEPS7_SP_SP_NSC_11hip_rocprim7__merge17predicate_wrapperIxxNSC_4lessIxEEEEEE10hipError_tPvRmT0_T1_T2_T3_T4_T5_mmT6_P12ihipStream_tbEUlT_E0_NS1_11comp_targetILNS1_3genE10ELNS1_11target_archE1200ELNS1_3gpuE4ELNS1_3repE0EEENS1_30default_config_static_selectorELNS0_4arch9wavefront6targetE0EEEvS10_, .Lfunc_end222-_ZN7rocprim17ROCPRIM_400000_NS6detail17trampoline_kernelINS0_14default_configENS1_21merge_config_selectorINS0_5tupleIJxxEEENS0_10empty_typeEEEZNS1_10merge_implIS3_NS0_12zip_iteratorINS5_IJN6thrust23THRUST_200600_302600_NS6detail15normal_iteratorINSC_10device_ptrIKxEEEESI_EEEEESK_NSA_INS5_IJNSE_INSF_IxEEEESM_EEEEEPS7_SP_SP_NSC_11hip_rocprim7__merge17predicate_wrapperIxxNSC_4lessIxEEEEEE10hipError_tPvRmT0_T1_T2_T3_T4_T5_mmT6_P12ihipStream_tbEUlT_E0_NS1_11comp_targetILNS1_3genE10ELNS1_11target_archE1200ELNS1_3gpuE4ELNS1_3repE0EEENS1_30default_config_static_selectorELNS0_4arch9wavefront6targetE0EEEvS10_
                                        ; -- End function
	.set _ZN7rocprim17ROCPRIM_400000_NS6detail17trampoline_kernelINS0_14default_configENS1_21merge_config_selectorINS0_5tupleIJxxEEENS0_10empty_typeEEEZNS1_10merge_implIS3_NS0_12zip_iteratorINS5_IJN6thrust23THRUST_200600_302600_NS6detail15normal_iteratorINSC_10device_ptrIKxEEEESI_EEEEESK_NSA_INS5_IJNSE_INSF_IxEEEESM_EEEEEPS7_SP_SP_NSC_11hip_rocprim7__merge17predicate_wrapperIxxNSC_4lessIxEEEEEE10hipError_tPvRmT0_T1_T2_T3_T4_T5_mmT6_P12ihipStream_tbEUlT_E0_NS1_11comp_targetILNS1_3genE10ELNS1_11target_archE1200ELNS1_3gpuE4ELNS1_3repE0EEENS1_30default_config_static_selectorELNS0_4arch9wavefront6targetE0EEEvS10_.num_vgpr, 0
	.set _ZN7rocprim17ROCPRIM_400000_NS6detail17trampoline_kernelINS0_14default_configENS1_21merge_config_selectorINS0_5tupleIJxxEEENS0_10empty_typeEEEZNS1_10merge_implIS3_NS0_12zip_iteratorINS5_IJN6thrust23THRUST_200600_302600_NS6detail15normal_iteratorINSC_10device_ptrIKxEEEESI_EEEEESK_NSA_INS5_IJNSE_INSF_IxEEEESM_EEEEEPS7_SP_SP_NSC_11hip_rocprim7__merge17predicate_wrapperIxxNSC_4lessIxEEEEEE10hipError_tPvRmT0_T1_T2_T3_T4_T5_mmT6_P12ihipStream_tbEUlT_E0_NS1_11comp_targetILNS1_3genE10ELNS1_11target_archE1200ELNS1_3gpuE4ELNS1_3repE0EEENS1_30default_config_static_selectorELNS0_4arch9wavefront6targetE0EEEvS10_.num_agpr, 0
	.set _ZN7rocprim17ROCPRIM_400000_NS6detail17trampoline_kernelINS0_14default_configENS1_21merge_config_selectorINS0_5tupleIJxxEEENS0_10empty_typeEEEZNS1_10merge_implIS3_NS0_12zip_iteratorINS5_IJN6thrust23THRUST_200600_302600_NS6detail15normal_iteratorINSC_10device_ptrIKxEEEESI_EEEEESK_NSA_INS5_IJNSE_INSF_IxEEEESM_EEEEEPS7_SP_SP_NSC_11hip_rocprim7__merge17predicate_wrapperIxxNSC_4lessIxEEEEEE10hipError_tPvRmT0_T1_T2_T3_T4_T5_mmT6_P12ihipStream_tbEUlT_E0_NS1_11comp_targetILNS1_3genE10ELNS1_11target_archE1200ELNS1_3gpuE4ELNS1_3repE0EEENS1_30default_config_static_selectorELNS0_4arch9wavefront6targetE0EEEvS10_.numbered_sgpr, 0
	.set _ZN7rocprim17ROCPRIM_400000_NS6detail17trampoline_kernelINS0_14default_configENS1_21merge_config_selectorINS0_5tupleIJxxEEENS0_10empty_typeEEEZNS1_10merge_implIS3_NS0_12zip_iteratorINS5_IJN6thrust23THRUST_200600_302600_NS6detail15normal_iteratorINSC_10device_ptrIKxEEEESI_EEEEESK_NSA_INS5_IJNSE_INSF_IxEEEESM_EEEEEPS7_SP_SP_NSC_11hip_rocprim7__merge17predicate_wrapperIxxNSC_4lessIxEEEEEE10hipError_tPvRmT0_T1_T2_T3_T4_T5_mmT6_P12ihipStream_tbEUlT_E0_NS1_11comp_targetILNS1_3genE10ELNS1_11target_archE1200ELNS1_3gpuE4ELNS1_3repE0EEENS1_30default_config_static_selectorELNS0_4arch9wavefront6targetE0EEEvS10_.num_named_barrier, 0
	.set _ZN7rocprim17ROCPRIM_400000_NS6detail17trampoline_kernelINS0_14default_configENS1_21merge_config_selectorINS0_5tupleIJxxEEENS0_10empty_typeEEEZNS1_10merge_implIS3_NS0_12zip_iteratorINS5_IJN6thrust23THRUST_200600_302600_NS6detail15normal_iteratorINSC_10device_ptrIKxEEEESI_EEEEESK_NSA_INS5_IJNSE_INSF_IxEEEESM_EEEEEPS7_SP_SP_NSC_11hip_rocprim7__merge17predicate_wrapperIxxNSC_4lessIxEEEEEE10hipError_tPvRmT0_T1_T2_T3_T4_T5_mmT6_P12ihipStream_tbEUlT_E0_NS1_11comp_targetILNS1_3genE10ELNS1_11target_archE1200ELNS1_3gpuE4ELNS1_3repE0EEENS1_30default_config_static_selectorELNS0_4arch9wavefront6targetE0EEEvS10_.private_seg_size, 0
	.set _ZN7rocprim17ROCPRIM_400000_NS6detail17trampoline_kernelINS0_14default_configENS1_21merge_config_selectorINS0_5tupleIJxxEEENS0_10empty_typeEEEZNS1_10merge_implIS3_NS0_12zip_iteratorINS5_IJN6thrust23THRUST_200600_302600_NS6detail15normal_iteratorINSC_10device_ptrIKxEEEESI_EEEEESK_NSA_INS5_IJNSE_INSF_IxEEEESM_EEEEEPS7_SP_SP_NSC_11hip_rocprim7__merge17predicate_wrapperIxxNSC_4lessIxEEEEEE10hipError_tPvRmT0_T1_T2_T3_T4_T5_mmT6_P12ihipStream_tbEUlT_E0_NS1_11comp_targetILNS1_3genE10ELNS1_11target_archE1200ELNS1_3gpuE4ELNS1_3repE0EEENS1_30default_config_static_selectorELNS0_4arch9wavefront6targetE0EEEvS10_.uses_vcc, 0
	.set _ZN7rocprim17ROCPRIM_400000_NS6detail17trampoline_kernelINS0_14default_configENS1_21merge_config_selectorINS0_5tupleIJxxEEENS0_10empty_typeEEEZNS1_10merge_implIS3_NS0_12zip_iteratorINS5_IJN6thrust23THRUST_200600_302600_NS6detail15normal_iteratorINSC_10device_ptrIKxEEEESI_EEEEESK_NSA_INS5_IJNSE_INSF_IxEEEESM_EEEEEPS7_SP_SP_NSC_11hip_rocprim7__merge17predicate_wrapperIxxNSC_4lessIxEEEEEE10hipError_tPvRmT0_T1_T2_T3_T4_T5_mmT6_P12ihipStream_tbEUlT_E0_NS1_11comp_targetILNS1_3genE10ELNS1_11target_archE1200ELNS1_3gpuE4ELNS1_3repE0EEENS1_30default_config_static_selectorELNS0_4arch9wavefront6targetE0EEEvS10_.uses_flat_scratch, 0
	.set _ZN7rocprim17ROCPRIM_400000_NS6detail17trampoline_kernelINS0_14default_configENS1_21merge_config_selectorINS0_5tupleIJxxEEENS0_10empty_typeEEEZNS1_10merge_implIS3_NS0_12zip_iteratorINS5_IJN6thrust23THRUST_200600_302600_NS6detail15normal_iteratorINSC_10device_ptrIKxEEEESI_EEEEESK_NSA_INS5_IJNSE_INSF_IxEEEESM_EEEEEPS7_SP_SP_NSC_11hip_rocprim7__merge17predicate_wrapperIxxNSC_4lessIxEEEEEE10hipError_tPvRmT0_T1_T2_T3_T4_T5_mmT6_P12ihipStream_tbEUlT_E0_NS1_11comp_targetILNS1_3genE10ELNS1_11target_archE1200ELNS1_3gpuE4ELNS1_3repE0EEENS1_30default_config_static_selectorELNS0_4arch9wavefront6targetE0EEEvS10_.has_dyn_sized_stack, 0
	.set _ZN7rocprim17ROCPRIM_400000_NS6detail17trampoline_kernelINS0_14default_configENS1_21merge_config_selectorINS0_5tupleIJxxEEENS0_10empty_typeEEEZNS1_10merge_implIS3_NS0_12zip_iteratorINS5_IJN6thrust23THRUST_200600_302600_NS6detail15normal_iteratorINSC_10device_ptrIKxEEEESI_EEEEESK_NSA_INS5_IJNSE_INSF_IxEEEESM_EEEEEPS7_SP_SP_NSC_11hip_rocprim7__merge17predicate_wrapperIxxNSC_4lessIxEEEEEE10hipError_tPvRmT0_T1_T2_T3_T4_T5_mmT6_P12ihipStream_tbEUlT_E0_NS1_11comp_targetILNS1_3genE10ELNS1_11target_archE1200ELNS1_3gpuE4ELNS1_3repE0EEENS1_30default_config_static_selectorELNS0_4arch9wavefront6targetE0EEEvS10_.has_recursion, 0
	.set _ZN7rocprim17ROCPRIM_400000_NS6detail17trampoline_kernelINS0_14default_configENS1_21merge_config_selectorINS0_5tupleIJxxEEENS0_10empty_typeEEEZNS1_10merge_implIS3_NS0_12zip_iteratorINS5_IJN6thrust23THRUST_200600_302600_NS6detail15normal_iteratorINSC_10device_ptrIKxEEEESI_EEEEESK_NSA_INS5_IJNSE_INSF_IxEEEESM_EEEEEPS7_SP_SP_NSC_11hip_rocprim7__merge17predicate_wrapperIxxNSC_4lessIxEEEEEE10hipError_tPvRmT0_T1_T2_T3_T4_T5_mmT6_P12ihipStream_tbEUlT_E0_NS1_11comp_targetILNS1_3genE10ELNS1_11target_archE1200ELNS1_3gpuE4ELNS1_3repE0EEENS1_30default_config_static_selectorELNS0_4arch9wavefront6targetE0EEEvS10_.has_indirect_call, 0
	.section	.AMDGPU.csdata,"",@progbits
; Kernel info:
; codeLenInByte = 0
; TotalNumSgprs: 0
; NumVgprs: 0
; ScratchSize: 0
; MemoryBound: 0
; FloatMode: 240
; IeeeMode: 1
; LDSByteSize: 0 bytes/workgroup (compile time only)
; SGPRBlocks: 0
; VGPRBlocks: 0
; NumSGPRsForWavesPerEU: 1
; NumVGPRsForWavesPerEU: 1
; NamedBarCnt: 0
; Occupancy: 16
; WaveLimiterHint : 0
; COMPUTE_PGM_RSRC2:SCRATCH_EN: 0
; COMPUTE_PGM_RSRC2:USER_SGPR: 2
; COMPUTE_PGM_RSRC2:TRAP_HANDLER: 0
; COMPUTE_PGM_RSRC2:TGID_X_EN: 1
; COMPUTE_PGM_RSRC2:TGID_Y_EN: 0
; COMPUTE_PGM_RSRC2:TGID_Z_EN: 0
; COMPUTE_PGM_RSRC2:TIDIG_COMP_CNT: 0
	.section	.text._ZN7rocprim17ROCPRIM_400000_NS6detail17trampoline_kernelINS0_14default_configENS1_21merge_config_selectorINS0_5tupleIJxxEEENS0_10empty_typeEEEZNS1_10merge_implIS3_NS0_12zip_iteratorINS5_IJN6thrust23THRUST_200600_302600_NS6detail15normal_iteratorINSC_10device_ptrIKxEEEESI_EEEEESK_NSA_INS5_IJNSE_INSF_IxEEEESM_EEEEEPS7_SP_SP_NSC_11hip_rocprim7__merge17predicate_wrapperIxxNSC_4lessIxEEEEEE10hipError_tPvRmT0_T1_T2_T3_T4_T5_mmT6_P12ihipStream_tbEUlT_E0_NS1_11comp_targetILNS1_3genE9ELNS1_11target_archE1100ELNS1_3gpuE3ELNS1_3repE0EEENS1_30default_config_static_selectorELNS0_4arch9wavefront6targetE0EEEvS10_,"axG",@progbits,_ZN7rocprim17ROCPRIM_400000_NS6detail17trampoline_kernelINS0_14default_configENS1_21merge_config_selectorINS0_5tupleIJxxEEENS0_10empty_typeEEEZNS1_10merge_implIS3_NS0_12zip_iteratorINS5_IJN6thrust23THRUST_200600_302600_NS6detail15normal_iteratorINSC_10device_ptrIKxEEEESI_EEEEESK_NSA_INS5_IJNSE_INSF_IxEEEESM_EEEEEPS7_SP_SP_NSC_11hip_rocprim7__merge17predicate_wrapperIxxNSC_4lessIxEEEEEE10hipError_tPvRmT0_T1_T2_T3_T4_T5_mmT6_P12ihipStream_tbEUlT_E0_NS1_11comp_targetILNS1_3genE9ELNS1_11target_archE1100ELNS1_3gpuE3ELNS1_3repE0EEENS1_30default_config_static_selectorELNS0_4arch9wavefront6targetE0EEEvS10_,comdat
	.protected	_ZN7rocprim17ROCPRIM_400000_NS6detail17trampoline_kernelINS0_14default_configENS1_21merge_config_selectorINS0_5tupleIJxxEEENS0_10empty_typeEEEZNS1_10merge_implIS3_NS0_12zip_iteratorINS5_IJN6thrust23THRUST_200600_302600_NS6detail15normal_iteratorINSC_10device_ptrIKxEEEESI_EEEEESK_NSA_INS5_IJNSE_INSF_IxEEEESM_EEEEEPS7_SP_SP_NSC_11hip_rocprim7__merge17predicate_wrapperIxxNSC_4lessIxEEEEEE10hipError_tPvRmT0_T1_T2_T3_T4_T5_mmT6_P12ihipStream_tbEUlT_E0_NS1_11comp_targetILNS1_3genE9ELNS1_11target_archE1100ELNS1_3gpuE3ELNS1_3repE0EEENS1_30default_config_static_selectorELNS0_4arch9wavefront6targetE0EEEvS10_ ; -- Begin function _ZN7rocprim17ROCPRIM_400000_NS6detail17trampoline_kernelINS0_14default_configENS1_21merge_config_selectorINS0_5tupleIJxxEEENS0_10empty_typeEEEZNS1_10merge_implIS3_NS0_12zip_iteratorINS5_IJN6thrust23THRUST_200600_302600_NS6detail15normal_iteratorINSC_10device_ptrIKxEEEESI_EEEEESK_NSA_INS5_IJNSE_INSF_IxEEEESM_EEEEEPS7_SP_SP_NSC_11hip_rocprim7__merge17predicate_wrapperIxxNSC_4lessIxEEEEEE10hipError_tPvRmT0_T1_T2_T3_T4_T5_mmT6_P12ihipStream_tbEUlT_E0_NS1_11comp_targetILNS1_3genE9ELNS1_11target_archE1100ELNS1_3gpuE3ELNS1_3repE0EEENS1_30default_config_static_selectorELNS0_4arch9wavefront6targetE0EEEvS10_
	.globl	_ZN7rocprim17ROCPRIM_400000_NS6detail17trampoline_kernelINS0_14default_configENS1_21merge_config_selectorINS0_5tupleIJxxEEENS0_10empty_typeEEEZNS1_10merge_implIS3_NS0_12zip_iteratorINS5_IJN6thrust23THRUST_200600_302600_NS6detail15normal_iteratorINSC_10device_ptrIKxEEEESI_EEEEESK_NSA_INS5_IJNSE_INSF_IxEEEESM_EEEEEPS7_SP_SP_NSC_11hip_rocprim7__merge17predicate_wrapperIxxNSC_4lessIxEEEEEE10hipError_tPvRmT0_T1_T2_T3_T4_T5_mmT6_P12ihipStream_tbEUlT_E0_NS1_11comp_targetILNS1_3genE9ELNS1_11target_archE1100ELNS1_3gpuE3ELNS1_3repE0EEENS1_30default_config_static_selectorELNS0_4arch9wavefront6targetE0EEEvS10_
	.p2align	8
	.type	_ZN7rocprim17ROCPRIM_400000_NS6detail17trampoline_kernelINS0_14default_configENS1_21merge_config_selectorINS0_5tupleIJxxEEENS0_10empty_typeEEEZNS1_10merge_implIS3_NS0_12zip_iteratorINS5_IJN6thrust23THRUST_200600_302600_NS6detail15normal_iteratorINSC_10device_ptrIKxEEEESI_EEEEESK_NSA_INS5_IJNSE_INSF_IxEEEESM_EEEEEPS7_SP_SP_NSC_11hip_rocprim7__merge17predicate_wrapperIxxNSC_4lessIxEEEEEE10hipError_tPvRmT0_T1_T2_T3_T4_T5_mmT6_P12ihipStream_tbEUlT_E0_NS1_11comp_targetILNS1_3genE9ELNS1_11target_archE1100ELNS1_3gpuE3ELNS1_3repE0EEENS1_30default_config_static_selectorELNS0_4arch9wavefront6targetE0EEEvS10_,@function
_ZN7rocprim17ROCPRIM_400000_NS6detail17trampoline_kernelINS0_14default_configENS1_21merge_config_selectorINS0_5tupleIJxxEEENS0_10empty_typeEEEZNS1_10merge_implIS3_NS0_12zip_iteratorINS5_IJN6thrust23THRUST_200600_302600_NS6detail15normal_iteratorINSC_10device_ptrIKxEEEESI_EEEEESK_NSA_INS5_IJNSE_INSF_IxEEEESM_EEEEEPS7_SP_SP_NSC_11hip_rocprim7__merge17predicate_wrapperIxxNSC_4lessIxEEEEEE10hipError_tPvRmT0_T1_T2_T3_T4_T5_mmT6_P12ihipStream_tbEUlT_E0_NS1_11comp_targetILNS1_3genE9ELNS1_11target_archE1100ELNS1_3gpuE3ELNS1_3repE0EEENS1_30default_config_static_selectorELNS0_4arch9wavefront6targetE0EEEvS10_: ; @_ZN7rocprim17ROCPRIM_400000_NS6detail17trampoline_kernelINS0_14default_configENS1_21merge_config_selectorINS0_5tupleIJxxEEENS0_10empty_typeEEEZNS1_10merge_implIS3_NS0_12zip_iteratorINS5_IJN6thrust23THRUST_200600_302600_NS6detail15normal_iteratorINSC_10device_ptrIKxEEEESI_EEEEESK_NSA_INS5_IJNSE_INSF_IxEEEESM_EEEEEPS7_SP_SP_NSC_11hip_rocprim7__merge17predicate_wrapperIxxNSC_4lessIxEEEEEE10hipError_tPvRmT0_T1_T2_T3_T4_T5_mmT6_P12ihipStream_tbEUlT_E0_NS1_11comp_targetILNS1_3genE9ELNS1_11target_archE1100ELNS1_3gpuE3ELNS1_3repE0EEENS1_30default_config_static_selectorELNS0_4arch9wavefront6targetE0EEEvS10_
; %bb.0:
	.section	.rodata,"a",@progbits
	.p2align	6, 0x0
	.amdhsa_kernel _ZN7rocprim17ROCPRIM_400000_NS6detail17trampoline_kernelINS0_14default_configENS1_21merge_config_selectorINS0_5tupleIJxxEEENS0_10empty_typeEEEZNS1_10merge_implIS3_NS0_12zip_iteratorINS5_IJN6thrust23THRUST_200600_302600_NS6detail15normal_iteratorINSC_10device_ptrIKxEEEESI_EEEEESK_NSA_INS5_IJNSE_INSF_IxEEEESM_EEEEEPS7_SP_SP_NSC_11hip_rocprim7__merge17predicate_wrapperIxxNSC_4lessIxEEEEEE10hipError_tPvRmT0_T1_T2_T3_T4_T5_mmT6_P12ihipStream_tbEUlT_E0_NS1_11comp_targetILNS1_3genE9ELNS1_11target_archE1100ELNS1_3gpuE3ELNS1_3repE0EEENS1_30default_config_static_selectorELNS0_4arch9wavefront6targetE0EEEvS10_
		.amdhsa_group_segment_fixed_size 0
		.amdhsa_private_segment_fixed_size 0
		.amdhsa_kernarg_size 112
		.amdhsa_user_sgpr_count 2
		.amdhsa_user_sgpr_dispatch_ptr 0
		.amdhsa_user_sgpr_queue_ptr 0
		.amdhsa_user_sgpr_kernarg_segment_ptr 1
		.amdhsa_user_sgpr_dispatch_id 0
		.amdhsa_user_sgpr_kernarg_preload_length 0
		.amdhsa_user_sgpr_kernarg_preload_offset 0
		.amdhsa_user_sgpr_private_segment_size 0
		.amdhsa_wavefront_size32 1
		.amdhsa_uses_dynamic_stack 0
		.amdhsa_enable_private_segment 0
		.amdhsa_system_sgpr_workgroup_id_x 1
		.amdhsa_system_sgpr_workgroup_id_y 0
		.amdhsa_system_sgpr_workgroup_id_z 0
		.amdhsa_system_sgpr_workgroup_info 0
		.amdhsa_system_vgpr_workitem_id 0
		.amdhsa_next_free_vgpr 1
		.amdhsa_next_free_sgpr 1
		.amdhsa_named_barrier_count 0
		.amdhsa_reserve_vcc 0
		.amdhsa_float_round_mode_32 0
		.amdhsa_float_round_mode_16_64 0
		.amdhsa_float_denorm_mode_32 3
		.amdhsa_float_denorm_mode_16_64 3
		.amdhsa_fp16_overflow 0
		.amdhsa_memory_ordered 1
		.amdhsa_forward_progress 1
		.amdhsa_inst_pref_size 0
		.amdhsa_round_robin_scheduling 0
		.amdhsa_exception_fp_ieee_invalid_op 0
		.amdhsa_exception_fp_denorm_src 0
		.amdhsa_exception_fp_ieee_div_zero 0
		.amdhsa_exception_fp_ieee_overflow 0
		.amdhsa_exception_fp_ieee_underflow 0
		.amdhsa_exception_fp_ieee_inexact 0
		.amdhsa_exception_int_div_zero 0
	.end_amdhsa_kernel
	.section	.text._ZN7rocprim17ROCPRIM_400000_NS6detail17trampoline_kernelINS0_14default_configENS1_21merge_config_selectorINS0_5tupleIJxxEEENS0_10empty_typeEEEZNS1_10merge_implIS3_NS0_12zip_iteratorINS5_IJN6thrust23THRUST_200600_302600_NS6detail15normal_iteratorINSC_10device_ptrIKxEEEESI_EEEEESK_NSA_INS5_IJNSE_INSF_IxEEEESM_EEEEEPS7_SP_SP_NSC_11hip_rocprim7__merge17predicate_wrapperIxxNSC_4lessIxEEEEEE10hipError_tPvRmT0_T1_T2_T3_T4_T5_mmT6_P12ihipStream_tbEUlT_E0_NS1_11comp_targetILNS1_3genE9ELNS1_11target_archE1100ELNS1_3gpuE3ELNS1_3repE0EEENS1_30default_config_static_selectorELNS0_4arch9wavefront6targetE0EEEvS10_,"axG",@progbits,_ZN7rocprim17ROCPRIM_400000_NS6detail17trampoline_kernelINS0_14default_configENS1_21merge_config_selectorINS0_5tupleIJxxEEENS0_10empty_typeEEEZNS1_10merge_implIS3_NS0_12zip_iteratorINS5_IJN6thrust23THRUST_200600_302600_NS6detail15normal_iteratorINSC_10device_ptrIKxEEEESI_EEEEESK_NSA_INS5_IJNSE_INSF_IxEEEESM_EEEEEPS7_SP_SP_NSC_11hip_rocprim7__merge17predicate_wrapperIxxNSC_4lessIxEEEEEE10hipError_tPvRmT0_T1_T2_T3_T4_T5_mmT6_P12ihipStream_tbEUlT_E0_NS1_11comp_targetILNS1_3genE9ELNS1_11target_archE1100ELNS1_3gpuE3ELNS1_3repE0EEENS1_30default_config_static_selectorELNS0_4arch9wavefront6targetE0EEEvS10_,comdat
.Lfunc_end223:
	.size	_ZN7rocprim17ROCPRIM_400000_NS6detail17trampoline_kernelINS0_14default_configENS1_21merge_config_selectorINS0_5tupleIJxxEEENS0_10empty_typeEEEZNS1_10merge_implIS3_NS0_12zip_iteratorINS5_IJN6thrust23THRUST_200600_302600_NS6detail15normal_iteratorINSC_10device_ptrIKxEEEESI_EEEEESK_NSA_INS5_IJNSE_INSF_IxEEEESM_EEEEEPS7_SP_SP_NSC_11hip_rocprim7__merge17predicate_wrapperIxxNSC_4lessIxEEEEEE10hipError_tPvRmT0_T1_T2_T3_T4_T5_mmT6_P12ihipStream_tbEUlT_E0_NS1_11comp_targetILNS1_3genE9ELNS1_11target_archE1100ELNS1_3gpuE3ELNS1_3repE0EEENS1_30default_config_static_selectorELNS0_4arch9wavefront6targetE0EEEvS10_, .Lfunc_end223-_ZN7rocprim17ROCPRIM_400000_NS6detail17trampoline_kernelINS0_14default_configENS1_21merge_config_selectorINS0_5tupleIJxxEEENS0_10empty_typeEEEZNS1_10merge_implIS3_NS0_12zip_iteratorINS5_IJN6thrust23THRUST_200600_302600_NS6detail15normal_iteratorINSC_10device_ptrIKxEEEESI_EEEEESK_NSA_INS5_IJNSE_INSF_IxEEEESM_EEEEEPS7_SP_SP_NSC_11hip_rocprim7__merge17predicate_wrapperIxxNSC_4lessIxEEEEEE10hipError_tPvRmT0_T1_T2_T3_T4_T5_mmT6_P12ihipStream_tbEUlT_E0_NS1_11comp_targetILNS1_3genE9ELNS1_11target_archE1100ELNS1_3gpuE3ELNS1_3repE0EEENS1_30default_config_static_selectorELNS0_4arch9wavefront6targetE0EEEvS10_
                                        ; -- End function
	.set _ZN7rocprim17ROCPRIM_400000_NS6detail17trampoline_kernelINS0_14default_configENS1_21merge_config_selectorINS0_5tupleIJxxEEENS0_10empty_typeEEEZNS1_10merge_implIS3_NS0_12zip_iteratorINS5_IJN6thrust23THRUST_200600_302600_NS6detail15normal_iteratorINSC_10device_ptrIKxEEEESI_EEEEESK_NSA_INS5_IJNSE_INSF_IxEEEESM_EEEEEPS7_SP_SP_NSC_11hip_rocprim7__merge17predicate_wrapperIxxNSC_4lessIxEEEEEE10hipError_tPvRmT0_T1_T2_T3_T4_T5_mmT6_P12ihipStream_tbEUlT_E0_NS1_11comp_targetILNS1_3genE9ELNS1_11target_archE1100ELNS1_3gpuE3ELNS1_3repE0EEENS1_30default_config_static_selectorELNS0_4arch9wavefront6targetE0EEEvS10_.num_vgpr, 0
	.set _ZN7rocprim17ROCPRIM_400000_NS6detail17trampoline_kernelINS0_14default_configENS1_21merge_config_selectorINS0_5tupleIJxxEEENS0_10empty_typeEEEZNS1_10merge_implIS3_NS0_12zip_iteratorINS5_IJN6thrust23THRUST_200600_302600_NS6detail15normal_iteratorINSC_10device_ptrIKxEEEESI_EEEEESK_NSA_INS5_IJNSE_INSF_IxEEEESM_EEEEEPS7_SP_SP_NSC_11hip_rocprim7__merge17predicate_wrapperIxxNSC_4lessIxEEEEEE10hipError_tPvRmT0_T1_T2_T3_T4_T5_mmT6_P12ihipStream_tbEUlT_E0_NS1_11comp_targetILNS1_3genE9ELNS1_11target_archE1100ELNS1_3gpuE3ELNS1_3repE0EEENS1_30default_config_static_selectorELNS0_4arch9wavefront6targetE0EEEvS10_.num_agpr, 0
	.set _ZN7rocprim17ROCPRIM_400000_NS6detail17trampoline_kernelINS0_14default_configENS1_21merge_config_selectorINS0_5tupleIJxxEEENS0_10empty_typeEEEZNS1_10merge_implIS3_NS0_12zip_iteratorINS5_IJN6thrust23THRUST_200600_302600_NS6detail15normal_iteratorINSC_10device_ptrIKxEEEESI_EEEEESK_NSA_INS5_IJNSE_INSF_IxEEEESM_EEEEEPS7_SP_SP_NSC_11hip_rocprim7__merge17predicate_wrapperIxxNSC_4lessIxEEEEEE10hipError_tPvRmT0_T1_T2_T3_T4_T5_mmT6_P12ihipStream_tbEUlT_E0_NS1_11comp_targetILNS1_3genE9ELNS1_11target_archE1100ELNS1_3gpuE3ELNS1_3repE0EEENS1_30default_config_static_selectorELNS0_4arch9wavefront6targetE0EEEvS10_.numbered_sgpr, 0
	.set _ZN7rocprim17ROCPRIM_400000_NS6detail17trampoline_kernelINS0_14default_configENS1_21merge_config_selectorINS0_5tupleIJxxEEENS0_10empty_typeEEEZNS1_10merge_implIS3_NS0_12zip_iteratorINS5_IJN6thrust23THRUST_200600_302600_NS6detail15normal_iteratorINSC_10device_ptrIKxEEEESI_EEEEESK_NSA_INS5_IJNSE_INSF_IxEEEESM_EEEEEPS7_SP_SP_NSC_11hip_rocprim7__merge17predicate_wrapperIxxNSC_4lessIxEEEEEE10hipError_tPvRmT0_T1_T2_T3_T4_T5_mmT6_P12ihipStream_tbEUlT_E0_NS1_11comp_targetILNS1_3genE9ELNS1_11target_archE1100ELNS1_3gpuE3ELNS1_3repE0EEENS1_30default_config_static_selectorELNS0_4arch9wavefront6targetE0EEEvS10_.num_named_barrier, 0
	.set _ZN7rocprim17ROCPRIM_400000_NS6detail17trampoline_kernelINS0_14default_configENS1_21merge_config_selectorINS0_5tupleIJxxEEENS0_10empty_typeEEEZNS1_10merge_implIS3_NS0_12zip_iteratorINS5_IJN6thrust23THRUST_200600_302600_NS6detail15normal_iteratorINSC_10device_ptrIKxEEEESI_EEEEESK_NSA_INS5_IJNSE_INSF_IxEEEESM_EEEEEPS7_SP_SP_NSC_11hip_rocprim7__merge17predicate_wrapperIxxNSC_4lessIxEEEEEE10hipError_tPvRmT0_T1_T2_T3_T4_T5_mmT6_P12ihipStream_tbEUlT_E0_NS1_11comp_targetILNS1_3genE9ELNS1_11target_archE1100ELNS1_3gpuE3ELNS1_3repE0EEENS1_30default_config_static_selectorELNS0_4arch9wavefront6targetE0EEEvS10_.private_seg_size, 0
	.set _ZN7rocprim17ROCPRIM_400000_NS6detail17trampoline_kernelINS0_14default_configENS1_21merge_config_selectorINS0_5tupleIJxxEEENS0_10empty_typeEEEZNS1_10merge_implIS3_NS0_12zip_iteratorINS5_IJN6thrust23THRUST_200600_302600_NS6detail15normal_iteratorINSC_10device_ptrIKxEEEESI_EEEEESK_NSA_INS5_IJNSE_INSF_IxEEEESM_EEEEEPS7_SP_SP_NSC_11hip_rocprim7__merge17predicate_wrapperIxxNSC_4lessIxEEEEEE10hipError_tPvRmT0_T1_T2_T3_T4_T5_mmT6_P12ihipStream_tbEUlT_E0_NS1_11comp_targetILNS1_3genE9ELNS1_11target_archE1100ELNS1_3gpuE3ELNS1_3repE0EEENS1_30default_config_static_selectorELNS0_4arch9wavefront6targetE0EEEvS10_.uses_vcc, 0
	.set _ZN7rocprim17ROCPRIM_400000_NS6detail17trampoline_kernelINS0_14default_configENS1_21merge_config_selectorINS0_5tupleIJxxEEENS0_10empty_typeEEEZNS1_10merge_implIS3_NS0_12zip_iteratorINS5_IJN6thrust23THRUST_200600_302600_NS6detail15normal_iteratorINSC_10device_ptrIKxEEEESI_EEEEESK_NSA_INS5_IJNSE_INSF_IxEEEESM_EEEEEPS7_SP_SP_NSC_11hip_rocprim7__merge17predicate_wrapperIxxNSC_4lessIxEEEEEE10hipError_tPvRmT0_T1_T2_T3_T4_T5_mmT6_P12ihipStream_tbEUlT_E0_NS1_11comp_targetILNS1_3genE9ELNS1_11target_archE1100ELNS1_3gpuE3ELNS1_3repE0EEENS1_30default_config_static_selectorELNS0_4arch9wavefront6targetE0EEEvS10_.uses_flat_scratch, 0
	.set _ZN7rocprim17ROCPRIM_400000_NS6detail17trampoline_kernelINS0_14default_configENS1_21merge_config_selectorINS0_5tupleIJxxEEENS0_10empty_typeEEEZNS1_10merge_implIS3_NS0_12zip_iteratorINS5_IJN6thrust23THRUST_200600_302600_NS6detail15normal_iteratorINSC_10device_ptrIKxEEEESI_EEEEESK_NSA_INS5_IJNSE_INSF_IxEEEESM_EEEEEPS7_SP_SP_NSC_11hip_rocprim7__merge17predicate_wrapperIxxNSC_4lessIxEEEEEE10hipError_tPvRmT0_T1_T2_T3_T4_T5_mmT6_P12ihipStream_tbEUlT_E0_NS1_11comp_targetILNS1_3genE9ELNS1_11target_archE1100ELNS1_3gpuE3ELNS1_3repE0EEENS1_30default_config_static_selectorELNS0_4arch9wavefront6targetE0EEEvS10_.has_dyn_sized_stack, 0
	.set _ZN7rocprim17ROCPRIM_400000_NS6detail17trampoline_kernelINS0_14default_configENS1_21merge_config_selectorINS0_5tupleIJxxEEENS0_10empty_typeEEEZNS1_10merge_implIS3_NS0_12zip_iteratorINS5_IJN6thrust23THRUST_200600_302600_NS6detail15normal_iteratorINSC_10device_ptrIKxEEEESI_EEEEESK_NSA_INS5_IJNSE_INSF_IxEEEESM_EEEEEPS7_SP_SP_NSC_11hip_rocprim7__merge17predicate_wrapperIxxNSC_4lessIxEEEEEE10hipError_tPvRmT0_T1_T2_T3_T4_T5_mmT6_P12ihipStream_tbEUlT_E0_NS1_11comp_targetILNS1_3genE9ELNS1_11target_archE1100ELNS1_3gpuE3ELNS1_3repE0EEENS1_30default_config_static_selectorELNS0_4arch9wavefront6targetE0EEEvS10_.has_recursion, 0
	.set _ZN7rocprim17ROCPRIM_400000_NS6detail17trampoline_kernelINS0_14default_configENS1_21merge_config_selectorINS0_5tupleIJxxEEENS0_10empty_typeEEEZNS1_10merge_implIS3_NS0_12zip_iteratorINS5_IJN6thrust23THRUST_200600_302600_NS6detail15normal_iteratorINSC_10device_ptrIKxEEEESI_EEEEESK_NSA_INS5_IJNSE_INSF_IxEEEESM_EEEEEPS7_SP_SP_NSC_11hip_rocprim7__merge17predicate_wrapperIxxNSC_4lessIxEEEEEE10hipError_tPvRmT0_T1_T2_T3_T4_T5_mmT6_P12ihipStream_tbEUlT_E0_NS1_11comp_targetILNS1_3genE9ELNS1_11target_archE1100ELNS1_3gpuE3ELNS1_3repE0EEENS1_30default_config_static_selectorELNS0_4arch9wavefront6targetE0EEEvS10_.has_indirect_call, 0
	.section	.AMDGPU.csdata,"",@progbits
; Kernel info:
; codeLenInByte = 0
; TotalNumSgprs: 0
; NumVgprs: 0
; ScratchSize: 0
; MemoryBound: 0
; FloatMode: 240
; IeeeMode: 1
; LDSByteSize: 0 bytes/workgroup (compile time only)
; SGPRBlocks: 0
; VGPRBlocks: 0
; NumSGPRsForWavesPerEU: 1
; NumVGPRsForWavesPerEU: 1
; NamedBarCnt: 0
; Occupancy: 16
; WaveLimiterHint : 0
; COMPUTE_PGM_RSRC2:SCRATCH_EN: 0
; COMPUTE_PGM_RSRC2:USER_SGPR: 2
; COMPUTE_PGM_RSRC2:TRAP_HANDLER: 0
; COMPUTE_PGM_RSRC2:TGID_X_EN: 1
; COMPUTE_PGM_RSRC2:TGID_Y_EN: 0
; COMPUTE_PGM_RSRC2:TGID_Z_EN: 0
; COMPUTE_PGM_RSRC2:TIDIG_COMP_CNT: 0
	.section	.text._ZN7rocprim17ROCPRIM_400000_NS6detail17trampoline_kernelINS0_14default_configENS1_21merge_config_selectorINS0_5tupleIJxxEEENS0_10empty_typeEEEZNS1_10merge_implIS3_NS0_12zip_iteratorINS5_IJN6thrust23THRUST_200600_302600_NS6detail15normal_iteratorINSC_10device_ptrIKxEEEESI_EEEEESK_NSA_INS5_IJNSE_INSF_IxEEEESM_EEEEEPS7_SP_SP_NSC_11hip_rocprim7__merge17predicate_wrapperIxxNSC_4lessIxEEEEEE10hipError_tPvRmT0_T1_T2_T3_T4_T5_mmT6_P12ihipStream_tbEUlT_E0_NS1_11comp_targetILNS1_3genE8ELNS1_11target_archE1030ELNS1_3gpuE2ELNS1_3repE0EEENS1_30default_config_static_selectorELNS0_4arch9wavefront6targetE0EEEvS10_,"axG",@progbits,_ZN7rocprim17ROCPRIM_400000_NS6detail17trampoline_kernelINS0_14default_configENS1_21merge_config_selectorINS0_5tupleIJxxEEENS0_10empty_typeEEEZNS1_10merge_implIS3_NS0_12zip_iteratorINS5_IJN6thrust23THRUST_200600_302600_NS6detail15normal_iteratorINSC_10device_ptrIKxEEEESI_EEEEESK_NSA_INS5_IJNSE_INSF_IxEEEESM_EEEEEPS7_SP_SP_NSC_11hip_rocprim7__merge17predicate_wrapperIxxNSC_4lessIxEEEEEE10hipError_tPvRmT0_T1_T2_T3_T4_T5_mmT6_P12ihipStream_tbEUlT_E0_NS1_11comp_targetILNS1_3genE8ELNS1_11target_archE1030ELNS1_3gpuE2ELNS1_3repE0EEENS1_30default_config_static_selectorELNS0_4arch9wavefront6targetE0EEEvS10_,comdat
	.protected	_ZN7rocprim17ROCPRIM_400000_NS6detail17trampoline_kernelINS0_14default_configENS1_21merge_config_selectorINS0_5tupleIJxxEEENS0_10empty_typeEEEZNS1_10merge_implIS3_NS0_12zip_iteratorINS5_IJN6thrust23THRUST_200600_302600_NS6detail15normal_iteratorINSC_10device_ptrIKxEEEESI_EEEEESK_NSA_INS5_IJNSE_INSF_IxEEEESM_EEEEEPS7_SP_SP_NSC_11hip_rocprim7__merge17predicate_wrapperIxxNSC_4lessIxEEEEEE10hipError_tPvRmT0_T1_T2_T3_T4_T5_mmT6_P12ihipStream_tbEUlT_E0_NS1_11comp_targetILNS1_3genE8ELNS1_11target_archE1030ELNS1_3gpuE2ELNS1_3repE0EEENS1_30default_config_static_selectorELNS0_4arch9wavefront6targetE0EEEvS10_ ; -- Begin function _ZN7rocprim17ROCPRIM_400000_NS6detail17trampoline_kernelINS0_14default_configENS1_21merge_config_selectorINS0_5tupleIJxxEEENS0_10empty_typeEEEZNS1_10merge_implIS3_NS0_12zip_iteratorINS5_IJN6thrust23THRUST_200600_302600_NS6detail15normal_iteratorINSC_10device_ptrIKxEEEESI_EEEEESK_NSA_INS5_IJNSE_INSF_IxEEEESM_EEEEEPS7_SP_SP_NSC_11hip_rocprim7__merge17predicate_wrapperIxxNSC_4lessIxEEEEEE10hipError_tPvRmT0_T1_T2_T3_T4_T5_mmT6_P12ihipStream_tbEUlT_E0_NS1_11comp_targetILNS1_3genE8ELNS1_11target_archE1030ELNS1_3gpuE2ELNS1_3repE0EEENS1_30default_config_static_selectorELNS0_4arch9wavefront6targetE0EEEvS10_
	.globl	_ZN7rocprim17ROCPRIM_400000_NS6detail17trampoline_kernelINS0_14default_configENS1_21merge_config_selectorINS0_5tupleIJxxEEENS0_10empty_typeEEEZNS1_10merge_implIS3_NS0_12zip_iteratorINS5_IJN6thrust23THRUST_200600_302600_NS6detail15normal_iteratorINSC_10device_ptrIKxEEEESI_EEEEESK_NSA_INS5_IJNSE_INSF_IxEEEESM_EEEEEPS7_SP_SP_NSC_11hip_rocprim7__merge17predicate_wrapperIxxNSC_4lessIxEEEEEE10hipError_tPvRmT0_T1_T2_T3_T4_T5_mmT6_P12ihipStream_tbEUlT_E0_NS1_11comp_targetILNS1_3genE8ELNS1_11target_archE1030ELNS1_3gpuE2ELNS1_3repE0EEENS1_30default_config_static_selectorELNS0_4arch9wavefront6targetE0EEEvS10_
	.p2align	8
	.type	_ZN7rocprim17ROCPRIM_400000_NS6detail17trampoline_kernelINS0_14default_configENS1_21merge_config_selectorINS0_5tupleIJxxEEENS0_10empty_typeEEEZNS1_10merge_implIS3_NS0_12zip_iteratorINS5_IJN6thrust23THRUST_200600_302600_NS6detail15normal_iteratorINSC_10device_ptrIKxEEEESI_EEEEESK_NSA_INS5_IJNSE_INSF_IxEEEESM_EEEEEPS7_SP_SP_NSC_11hip_rocprim7__merge17predicate_wrapperIxxNSC_4lessIxEEEEEE10hipError_tPvRmT0_T1_T2_T3_T4_T5_mmT6_P12ihipStream_tbEUlT_E0_NS1_11comp_targetILNS1_3genE8ELNS1_11target_archE1030ELNS1_3gpuE2ELNS1_3repE0EEENS1_30default_config_static_selectorELNS0_4arch9wavefront6targetE0EEEvS10_,@function
_ZN7rocprim17ROCPRIM_400000_NS6detail17trampoline_kernelINS0_14default_configENS1_21merge_config_selectorINS0_5tupleIJxxEEENS0_10empty_typeEEEZNS1_10merge_implIS3_NS0_12zip_iteratorINS5_IJN6thrust23THRUST_200600_302600_NS6detail15normal_iteratorINSC_10device_ptrIKxEEEESI_EEEEESK_NSA_INS5_IJNSE_INSF_IxEEEESM_EEEEEPS7_SP_SP_NSC_11hip_rocprim7__merge17predicate_wrapperIxxNSC_4lessIxEEEEEE10hipError_tPvRmT0_T1_T2_T3_T4_T5_mmT6_P12ihipStream_tbEUlT_E0_NS1_11comp_targetILNS1_3genE8ELNS1_11target_archE1030ELNS1_3gpuE2ELNS1_3repE0EEENS1_30default_config_static_selectorELNS0_4arch9wavefront6targetE0EEEvS10_: ; @_ZN7rocprim17ROCPRIM_400000_NS6detail17trampoline_kernelINS0_14default_configENS1_21merge_config_selectorINS0_5tupleIJxxEEENS0_10empty_typeEEEZNS1_10merge_implIS3_NS0_12zip_iteratorINS5_IJN6thrust23THRUST_200600_302600_NS6detail15normal_iteratorINSC_10device_ptrIKxEEEESI_EEEEESK_NSA_INS5_IJNSE_INSF_IxEEEESM_EEEEEPS7_SP_SP_NSC_11hip_rocprim7__merge17predicate_wrapperIxxNSC_4lessIxEEEEEE10hipError_tPvRmT0_T1_T2_T3_T4_T5_mmT6_P12ihipStream_tbEUlT_E0_NS1_11comp_targetILNS1_3genE8ELNS1_11target_archE1030ELNS1_3gpuE2ELNS1_3repE0EEENS1_30default_config_static_selectorELNS0_4arch9wavefront6targetE0EEEvS10_
; %bb.0:
	.section	.rodata,"a",@progbits
	.p2align	6, 0x0
	.amdhsa_kernel _ZN7rocprim17ROCPRIM_400000_NS6detail17trampoline_kernelINS0_14default_configENS1_21merge_config_selectorINS0_5tupleIJxxEEENS0_10empty_typeEEEZNS1_10merge_implIS3_NS0_12zip_iteratorINS5_IJN6thrust23THRUST_200600_302600_NS6detail15normal_iteratorINSC_10device_ptrIKxEEEESI_EEEEESK_NSA_INS5_IJNSE_INSF_IxEEEESM_EEEEEPS7_SP_SP_NSC_11hip_rocprim7__merge17predicate_wrapperIxxNSC_4lessIxEEEEEE10hipError_tPvRmT0_T1_T2_T3_T4_T5_mmT6_P12ihipStream_tbEUlT_E0_NS1_11comp_targetILNS1_3genE8ELNS1_11target_archE1030ELNS1_3gpuE2ELNS1_3repE0EEENS1_30default_config_static_selectorELNS0_4arch9wavefront6targetE0EEEvS10_
		.amdhsa_group_segment_fixed_size 0
		.amdhsa_private_segment_fixed_size 0
		.amdhsa_kernarg_size 112
		.amdhsa_user_sgpr_count 2
		.amdhsa_user_sgpr_dispatch_ptr 0
		.amdhsa_user_sgpr_queue_ptr 0
		.amdhsa_user_sgpr_kernarg_segment_ptr 1
		.amdhsa_user_sgpr_dispatch_id 0
		.amdhsa_user_sgpr_kernarg_preload_length 0
		.amdhsa_user_sgpr_kernarg_preload_offset 0
		.amdhsa_user_sgpr_private_segment_size 0
		.amdhsa_wavefront_size32 1
		.amdhsa_uses_dynamic_stack 0
		.amdhsa_enable_private_segment 0
		.amdhsa_system_sgpr_workgroup_id_x 1
		.amdhsa_system_sgpr_workgroup_id_y 0
		.amdhsa_system_sgpr_workgroup_id_z 0
		.amdhsa_system_sgpr_workgroup_info 0
		.amdhsa_system_vgpr_workitem_id 0
		.amdhsa_next_free_vgpr 1
		.amdhsa_next_free_sgpr 1
		.amdhsa_named_barrier_count 0
		.amdhsa_reserve_vcc 0
		.amdhsa_float_round_mode_32 0
		.amdhsa_float_round_mode_16_64 0
		.amdhsa_float_denorm_mode_32 3
		.amdhsa_float_denorm_mode_16_64 3
		.amdhsa_fp16_overflow 0
		.amdhsa_memory_ordered 1
		.amdhsa_forward_progress 1
		.amdhsa_inst_pref_size 0
		.amdhsa_round_robin_scheduling 0
		.amdhsa_exception_fp_ieee_invalid_op 0
		.amdhsa_exception_fp_denorm_src 0
		.amdhsa_exception_fp_ieee_div_zero 0
		.amdhsa_exception_fp_ieee_overflow 0
		.amdhsa_exception_fp_ieee_underflow 0
		.amdhsa_exception_fp_ieee_inexact 0
		.amdhsa_exception_int_div_zero 0
	.end_amdhsa_kernel
	.section	.text._ZN7rocprim17ROCPRIM_400000_NS6detail17trampoline_kernelINS0_14default_configENS1_21merge_config_selectorINS0_5tupleIJxxEEENS0_10empty_typeEEEZNS1_10merge_implIS3_NS0_12zip_iteratorINS5_IJN6thrust23THRUST_200600_302600_NS6detail15normal_iteratorINSC_10device_ptrIKxEEEESI_EEEEESK_NSA_INS5_IJNSE_INSF_IxEEEESM_EEEEEPS7_SP_SP_NSC_11hip_rocprim7__merge17predicate_wrapperIxxNSC_4lessIxEEEEEE10hipError_tPvRmT0_T1_T2_T3_T4_T5_mmT6_P12ihipStream_tbEUlT_E0_NS1_11comp_targetILNS1_3genE8ELNS1_11target_archE1030ELNS1_3gpuE2ELNS1_3repE0EEENS1_30default_config_static_selectorELNS0_4arch9wavefront6targetE0EEEvS10_,"axG",@progbits,_ZN7rocprim17ROCPRIM_400000_NS6detail17trampoline_kernelINS0_14default_configENS1_21merge_config_selectorINS0_5tupleIJxxEEENS0_10empty_typeEEEZNS1_10merge_implIS3_NS0_12zip_iteratorINS5_IJN6thrust23THRUST_200600_302600_NS6detail15normal_iteratorINSC_10device_ptrIKxEEEESI_EEEEESK_NSA_INS5_IJNSE_INSF_IxEEEESM_EEEEEPS7_SP_SP_NSC_11hip_rocprim7__merge17predicate_wrapperIxxNSC_4lessIxEEEEEE10hipError_tPvRmT0_T1_T2_T3_T4_T5_mmT6_P12ihipStream_tbEUlT_E0_NS1_11comp_targetILNS1_3genE8ELNS1_11target_archE1030ELNS1_3gpuE2ELNS1_3repE0EEENS1_30default_config_static_selectorELNS0_4arch9wavefront6targetE0EEEvS10_,comdat
.Lfunc_end224:
	.size	_ZN7rocprim17ROCPRIM_400000_NS6detail17trampoline_kernelINS0_14default_configENS1_21merge_config_selectorINS0_5tupleIJxxEEENS0_10empty_typeEEEZNS1_10merge_implIS3_NS0_12zip_iteratorINS5_IJN6thrust23THRUST_200600_302600_NS6detail15normal_iteratorINSC_10device_ptrIKxEEEESI_EEEEESK_NSA_INS5_IJNSE_INSF_IxEEEESM_EEEEEPS7_SP_SP_NSC_11hip_rocprim7__merge17predicate_wrapperIxxNSC_4lessIxEEEEEE10hipError_tPvRmT0_T1_T2_T3_T4_T5_mmT6_P12ihipStream_tbEUlT_E0_NS1_11comp_targetILNS1_3genE8ELNS1_11target_archE1030ELNS1_3gpuE2ELNS1_3repE0EEENS1_30default_config_static_selectorELNS0_4arch9wavefront6targetE0EEEvS10_, .Lfunc_end224-_ZN7rocprim17ROCPRIM_400000_NS6detail17trampoline_kernelINS0_14default_configENS1_21merge_config_selectorINS0_5tupleIJxxEEENS0_10empty_typeEEEZNS1_10merge_implIS3_NS0_12zip_iteratorINS5_IJN6thrust23THRUST_200600_302600_NS6detail15normal_iteratorINSC_10device_ptrIKxEEEESI_EEEEESK_NSA_INS5_IJNSE_INSF_IxEEEESM_EEEEEPS7_SP_SP_NSC_11hip_rocprim7__merge17predicate_wrapperIxxNSC_4lessIxEEEEEE10hipError_tPvRmT0_T1_T2_T3_T4_T5_mmT6_P12ihipStream_tbEUlT_E0_NS1_11comp_targetILNS1_3genE8ELNS1_11target_archE1030ELNS1_3gpuE2ELNS1_3repE0EEENS1_30default_config_static_selectorELNS0_4arch9wavefront6targetE0EEEvS10_
                                        ; -- End function
	.set _ZN7rocprim17ROCPRIM_400000_NS6detail17trampoline_kernelINS0_14default_configENS1_21merge_config_selectorINS0_5tupleIJxxEEENS0_10empty_typeEEEZNS1_10merge_implIS3_NS0_12zip_iteratorINS5_IJN6thrust23THRUST_200600_302600_NS6detail15normal_iteratorINSC_10device_ptrIKxEEEESI_EEEEESK_NSA_INS5_IJNSE_INSF_IxEEEESM_EEEEEPS7_SP_SP_NSC_11hip_rocprim7__merge17predicate_wrapperIxxNSC_4lessIxEEEEEE10hipError_tPvRmT0_T1_T2_T3_T4_T5_mmT6_P12ihipStream_tbEUlT_E0_NS1_11comp_targetILNS1_3genE8ELNS1_11target_archE1030ELNS1_3gpuE2ELNS1_3repE0EEENS1_30default_config_static_selectorELNS0_4arch9wavefront6targetE0EEEvS10_.num_vgpr, 0
	.set _ZN7rocprim17ROCPRIM_400000_NS6detail17trampoline_kernelINS0_14default_configENS1_21merge_config_selectorINS0_5tupleIJxxEEENS0_10empty_typeEEEZNS1_10merge_implIS3_NS0_12zip_iteratorINS5_IJN6thrust23THRUST_200600_302600_NS6detail15normal_iteratorINSC_10device_ptrIKxEEEESI_EEEEESK_NSA_INS5_IJNSE_INSF_IxEEEESM_EEEEEPS7_SP_SP_NSC_11hip_rocprim7__merge17predicate_wrapperIxxNSC_4lessIxEEEEEE10hipError_tPvRmT0_T1_T2_T3_T4_T5_mmT6_P12ihipStream_tbEUlT_E0_NS1_11comp_targetILNS1_3genE8ELNS1_11target_archE1030ELNS1_3gpuE2ELNS1_3repE0EEENS1_30default_config_static_selectorELNS0_4arch9wavefront6targetE0EEEvS10_.num_agpr, 0
	.set _ZN7rocprim17ROCPRIM_400000_NS6detail17trampoline_kernelINS0_14default_configENS1_21merge_config_selectorINS0_5tupleIJxxEEENS0_10empty_typeEEEZNS1_10merge_implIS3_NS0_12zip_iteratorINS5_IJN6thrust23THRUST_200600_302600_NS6detail15normal_iteratorINSC_10device_ptrIKxEEEESI_EEEEESK_NSA_INS5_IJNSE_INSF_IxEEEESM_EEEEEPS7_SP_SP_NSC_11hip_rocprim7__merge17predicate_wrapperIxxNSC_4lessIxEEEEEE10hipError_tPvRmT0_T1_T2_T3_T4_T5_mmT6_P12ihipStream_tbEUlT_E0_NS1_11comp_targetILNS1_3genE8ELNS1_11target_archE1030ELNS1_3gpuE2ELNS1_3repE0EEENS1_30default_config_static_selectorELNS0_4arch9wavefront6targetE0EEEvS10_.numbered_sgpr, 0
	.set _ZN7rocprim17ROCPRIM_400000_NS6detail17trampoline_kernelINS0_14default_configENS1_21merge_config_selectorINS0_5tupleIJxxEEENS0_10empty_typeEEEZNS1_10merge_implIS3_NS0_12zip_iteratorINS5_IJN6thrust23THRUST_200600_302600_NS6detail15normal_iteratorINSC_10device_ptrIKxEEEESI_EEEEESK_NSA_INS5_IJNSE_INSF_IxEEEESM_EEEEEPS7_SP_SP_NSC_11hip_rocprim7__merge17predicate_wrapperIxxNSC_4lessIxEEEEEE10hipError_tPvRmT0_T1_T2_T3_T4_T5_mmT6_P12ihipStream_tbEUlT_E0_NS1_11comp_targetILNS1_3genE8ELNS1_11target_archE1030ELNS1_3gpuE2ELNS1_3repE0EEENS1_30default_config_static_selectorELNS0_4arch9wavefront6targetE0EEEvS10_.num_named_barrier, 0
	.set _ZN7rocprim17ROCPRIM_400000_NS6detail17trampoline_kernelINS0_14default_configENS1_21merge_config_selectorINS0_5tupleIJxxEEENS0_10empty_typeEEEZNS1_10merge_implIS3_NS0_12zip_iteratorINS5_IJN6thrust23THRUST_200600_302600_NS6detail15normal_iteratorINSC_10device_ptrIKxEEEESI_EEEEESK_NSA_INS5_IJNSE_INSF_IxEEEESM_EEEEEPS7_SP_SP_NSC_11hip_rocprim7__merge17predicate_wrapperIxxNSC_4lessIxEEEEEE10hipError_tPvRmT0_T1_T2_T3_T4_T5_mmT6_P12ihipStream_tbEUlT_E0_NS1_11comp_targetILNS1_3genE8ELNS1_11target_archE1030ELNS1_3gpuE2ELNS1_3repE0EEENS1_30default_config_static_selectorELNS0_4arch9wavefront6targetE0EEEvS10_.private_seg_size, 0
	.set _ZN7rocprim17ROCPRIM_400000_NS6detail17trampoline_kernelINS0_14default_configENS1_21merge_config_selectorINS0_5tupleIJxxEEENS0_10empty_typeEEEZNS1_10merge_implIS3_NS0_12zip_iteratorINS5_IJN6thrust23THRUST_200600_302600_NS6detail15normal_iteratorINSC_10device_ptrIKxEEEESI_EEEEESK_NSA_INS5_IJNSE_INSF_IxEEEESM_EEEEEPS7_SP_SP_NSC_11hip_rocprim7__merge17predicate_wrapperIxxNSC_4lessIxEEEEEE10hipError_tPvRmT0_T1_T2_T3_T4_T5_mmT6_P12ihipStream_tbEUlT_E0_NS1_11comp_targetILNS1_3genE8ELNS1_11target_archE1030ELNS1_3gpuE2ELNS1_3repE0EEENS1_30default_config_static_selectorELNS0_4arch9wavefront6targetE0EEEvS10_.uses_vcc, 0
	.set _ZN7rocprim17ROCPRIM_400000_NS6detail17trampoline_kernelINS0_14default_configENS1_21merge_config_selectorINS0_5tupleIJxxEEENS0_10empty_typeEEEZNS1_10merge_implIS3_NS0_12zip_iteratorINS5_IJN6thrust23THRUST_200600_302600_NS6detail15normal_iteratorINSC_10device_ptrIKxEEEESI_EEEEESK_NSA_INS5_IJNSE_INSF_IxEEEESM_EEEEEPS7_SP_SP_NSC_11hip_rocprim7__merge17predicate_wrapperIxxNSC_4lessIxEEEEEE10hipError_tPvRmT0_T1_T2_T3_T4_T5_mmT6_P12ihipStream_tbEUlT_E0_NS1_11comp_targetILNS1_3genE8ELNS1_11target_archE1030ELNS1_3gpuE2ELNS1_3repE0EEENS1_30default_config_static_selectorELNS0_4arch9wavefront6targetE0EEEvS10_.uses_flat_scratch, 0
	.set _ZN7rocprim17ROCPRIM_400000_NS6detail17trampoline_kernelINS0_14default_configENS1_21merge_config_selectorINS0_5tupleIJxxEEENS0_10empty_typeEEEZNS1_10merge_implIS3_NS0_12zip_iteratorINS5_IJN6thrust23THRUST_200600_302600_NS6detail15normal_iteratorINSC_10device_ptrIKxEEEESI_EEEEESK_NSA_INS5_IJNSE_INSF_IxEEEESM_EEEEEPS7_SP_SP_NSC_11hip_rocprim7__merge17predicate_wrapperIxxNSC_4lessIxEEEEEE10hipError_tPvRmT0_T1_T2_T3_T4_T5_mmT6_P12ihipStream_tbEUlT_E0_NS1_11comp_targetILNS1_3genE8ELNS1_11target_archE1030ELNS1_3gpuE2ELNS1_3repE0EEENS1_30default_config_static_selectorELNS0_4arch9wavefront6targetE0EEEvS10_.has_dyn_sized_stack, 0
	.set _ZN7rocprim17ROCPRIM_400000_NS6detail17trampoline_kernelINS0_14default_configENS1_21merge_config_selectorINS0_5tupleIJxxEEENS0_10empty_typeEEEZNS1_10merge_implIS3_NS0_12zip_iteratorINS5_IJN6thrust23THRUST_200600_302600_NS6detail15normal_iteratorINSC_10device_ptrIKxEEEESI_EEEEESK_NSA_INS5_IJNSE_INSF_IxEEEESM_EEEEEPS7_SP_SP_NSC_11hip_rocprim7__merge17predicate_wrapperIxxNSC_4lessIxEEEEEE10hipError_tPvRmT0_T1_T2_T3_T4_T5_mmT6_P12ihipStream_tbEUlT_E0_NS1_11comp_targetILNS1_3genE8ELNS1_11target_archE1030ELNS1_3gpuE2ELNS1_3repE0EEENS1_30default_config_static_selectorELNS0_4arch9wavefront6targetE0EEEvS10_.has_recursion, 0
	.set _ZN7rocprim17ROCPRIM_400000_NS6detail17trampoline_kernelINS0_14default_configENS1_21merge_config_selectorINS0_5tupleIJxxEEENS0_10empty_typeEEEZNS1_10merge_implIS3_NS0_12zip_iteratorINS5_IJN6thrust23THRUST_200600_302600_NS6detail15normal_iteratorINSC_10device_ptrIKxEEEESI_EEEEESK_NSA_INS5_IJNSE_INSF_IxEEEESM_EEEEEPS7_SP_SP_NSC_11hip_rocprim7__merge17predicate_wrapperIxxNSC_4lessIxEEEEEE10hipError_tPvRmT0_T1_T2_T3_T4_T5_mmT6_P12ihipStream_tbEUlT_E0_NS1_11comp_targetILNS1_3genE8ELNS1_11target_archE1030ELNS1_3gpuE2ELNS1_3repE0EEENS1_30default_config_static_selectorELNS0_4arch9wavefront6targetE0EEEvS10_.has_indirect_call, 0
	.section	.AMDGPU.csdata,"",@progbits
; Kernel info:
; codeLenInByte = 0
; TotalNumSgprs: 0
; NumVgprs: 0
; ScratchSize: 0
; MemoryBound: 0
; FloatMode: 240
; IeeeMode: 1
; LDSByteSize: 0 bytes/workgroup (compile time only)
; SGPRBlocks: 0
; VGPRBlocks: 0
; NumSGPRsForWavesPerEU: 1
; NumVGPRsForWavesPerEU: 1
; NamedBarCnt: 0
; Occupancy: 16
; WaveLimiterHint : 0
; COMPUTE_PGM_RSRC2:SCRATCH_EN: 0
; COMPUTE_PGM_RSRC2:USER_SGPR: 2
; COMPUTE_PGM_RSRC2:TRAP_HANDLER: 0
; COMPUTE_PGM_RSRC2:TGID_X_EN: 1
; COMPUTE_PGM_RSRC2:TGID_Y_EN: 0
; COMPUTE_PGM_RSRC2:TGID_Z_EN: 0
; COMPUTE_PGM_RSRC2:TIDIG_COMP_CNT: 0
	.section	.text._ZN7rocprim17ROCPRIM_400000_NS6detail17trampoline_kernelINS0_14default_configENS1_22reduce_config_selectorIN6thrust23THRUST_200600_302600_NS5tupleIblNS6_9null_typeES8_S8_S8_S8_S8_S8_S8_EEEEZNS1_11reduce_implILb1ES3_NS6_12zip_iteratorINS7_INS6_11hip_rocprim26transform_input_iterator_tIbNSD_35transform_pair_of_input_iterators_tIbNS6_6detail15normal_iteratorINS6_10device_ptrIKxEEEESL_NS6_8equal_toIxEEEENSG_9not_fun_tINSD_8identityEEEEENSD_19counting_iterator_tIlEES8_S8_S8_S8_S8_S8_S8_S8_EEEEPS9_S9_NSD_9__find_if7functorIS9_EEEE10hipError_tPvRmT1_T2_T3_mT4_P12ihipStream_tbEUlT_E0_NS1_11comp_targetILNS1_3genE0ELNS1_11target_archE4294967295ELNS1_3gpuE0ELNS1_3repE0EEENS1_30default_config_static_selectorELNS0_4arch9wavefront6targetE0EEEvS14_,"axG",@progbits,_ZN7rocprim17ROCPRIM_400000_NS6detail17trampoline_kernelINS0_14default_configENS1_22reduce_config_selectorIN6thrust23THRUST_200600_302600_NS5tupleIblNS6_9null_typeES8_S8_S8_S8_S8_S8_S8_EEEEZNS1_11reduce_implILb1ES3_NS6_12zip_iteratorINS7_INS6_11hip_rocprim26transform_input_iterator_tIbNSD_35transform_pair_of_input_iterators_tIbNS6_6detail15normal_iteratorINS6_10device_ptrIKxEEEESL_NS6_8equal_toIxEEEENSG_9not_fun_tINSD_8identityEEEEENSD_19counting_iterator_tIlEES8_S8_S8_S8_S8_S8_S8_S8_EEEEPS9_S9_NSD_9__find_if7functorIS9_EEEE10hipError_tPvRmT1_T2_T3_mT4_P12ihipStream_tbEUlT_E0_NS1_11comp_targetILNS1_3genE0ELNS1_11target_archE4294967295ELNS1_3gpuE0ELNS1_3repE0EEENS1_30default_config_static_selectorELNS0_4arch9wavefront6targetE0EEEvS14_,comdat
	.protected	_ZN7rocprim17ROCPRIM_400000_NS6detail17trampoline_kernelINS0_14default_configENS1_22reduce_config_selectorIN6thrust23THRUST_200600_302600_NS5tupleIblNS6_9null_typeES8_S8_S8_S8_S8_S8_S8_EEEEZNS1_11reduce_implILb1ES3_NS6_12zip_iteratorINS7_INS6_11hip_rocprim26transform_input_iterator_tIbNSD_35transform_pair_of_input_iterators_tIbNS6_6detail15normal_iteratorINS6_10device_ptrIKxEEEESL_NS6_8equal_toIxEEEENSG_9not_fun_tINSD_8identityEEEEENSD_19counting_iterator_tIlEES8_S8_S8_S8_S8_S8_S8_S8_EEEEPS9_S9_NSD_9__find_if7functorIS9_EEEE10hipError_tPvRmT1_T2_T3_mT4_P12ihipStream_tbEUlT_E0_NS1_11comp_targetILNS1_3genE0ELNS1_11target_archE4294967295ELNS1_3gpuE0ELNS1_3repE0EEENS1_30default_config_static_selectorELNS0_4arch9wavefront6targetE0EEEvS14_ ; -- Begin function _ZN7rocprim17ROCPRIM_400000_NS6detail17trampoline_kernelINS0_14default_configENS1_22reduce_config_selectorIN6thrust23THRUST_200600_302600_NS5tupleIblNS6_9null_typeES8_S8_S8_S8_S8_S8_S8_EEEEZNS1_11reduce_implILb1ES3_NS6_12zip_iteratorINS7_INS6_11hip_rocprim26transform_input_iterator_tIbNSD_35transform_pair_of_input_iterators_tIbNS6_6detail15normal_iteratorINS6_10device_ptrIKxEEEESL_NS6_8equal_toIxEEEENSG_9not_fun_tINSD_8identityEEEEENSD_19counting_iterator_tIlEES8_S8_S8_S8_S8_S8_S8_S8_EEEEPS9_S9_NSD_9__find_if7functorIS9_EEEE10hipError_tPvRmT1_T2_T3_mT4_P12ihipStream_tbEUlT_E0_NS1_11comp_targetILNS1_3genE0ELNS1_11target_archE4294967295ELNS1_3gpuE0ELNS1_3repE0EEENS1_30default_config_static_selectorELNS0_4arch9wavefront6targetE0EEEvS14_
	.globl	_ZN7rocprim17ROCPRIM_400000_NS6detail17trampoline_kernelINS0_14default_configENS1_22reduce_config_selectorIN6thrust23THRUST_200600_302600_NS5tupleIblNS6_9null_typeES8_S8_S8_S8_S8_S8_S8_EEEEZNS1_11reduce_implILb1ES3_NS6_12zip_iteratorINS7_INS6_11hip_rocprim26transform_input_iterator_tIbNSD_35transform_pair_of_input_iterators_tIbNS6_6detail15normal_iteratorINS6_10device_ptrIKxEEEESL_NS6_8equal_toIxEEEENSG_9not_fun_tINSD_8identityEEEEENSD_19counting_iterator_tIlEES8_S8_S8_S8_S8_S8_S8_S8_EEEEPS9_S9_NSD_9__find_if7functorIS9_EEEE10hipError_tPvRmT1_T2_T3_mT4_P12ihipStream_tbEUlT_E0_NS1_11comp_targetILNS1_3genE0ELNS1_11target_archE4294967295ELNS1_3gpuE0ELNS1_3repE0EEENS1_30default_config_static_selectorELNS0_4arch9wavefront6targetE0EEEvS14_
	.p2align	8
	.type	_ZN7rocprim17ROCPRIM_400000_NS6detail17trampoline_kernelINS0_14default_configENS1_22reduce_config_selectorIN6thrust23THRUST_200600_302600_NS5tupleIblNS6_9null_typeES8_S8_S8_S8_S8_S8_S8_EEEEZNS1_11reduce_implILb1ES3_NS6_12zip_iteratorINS7_INS6_11hip_rocprim26transform_input_iterator_tIbNSD_35transform_pair_of_input_iterators_tIbNS6_6detail15normal_iteratorINS6_10device_ptrIKxEEEESL_NS6_8equal_toIxEEEENSG_9not_fun_tINSD_8identityEEEEENSD_19counting_iterator_tIlEES8_S8_S8_S8_S8_S8_S8_S8_EEEEPS9_S9_NSD_9__find_if7functorIS9_EEEE10hipError_tPvRmT1_T2_T3_mT4_P12ihipStream_tbEUlT_E0_NS1_11comp_targetILNS1_3genE0ELNS1_11target_archE4294967295ELNS1_3gpuE0ELNS1_3repE0EEENS1_30default_config_static_selectorELNS0_4arch9wavefront6targetE0EEEvS14_,@function
_ZN7rocprim17ROCPRIM_400000_NS6detail17trampoline_kernelINS0_14default_configENS1_22reduce_config_selectorIN6thrust23THRUST_200600_302600_NS5tupleIblNS6_9null_typeES8_S8_S8_S8_S8_S8_S8_EEEEZNS1_11reduce_implILb1ES3_NS6_12zip_iteratorINS7_INS6_11hip_rocprim26transform_input_iterator_tIbNSD_35transform_pair_of_input_iterators_tIbNS6_6detail15normal_iteratorINS6_10device_ptrIKxEEEESL_NS6_8equal_toIxEEEENSG_9not_fun_tINSD_8identityEEEEENSD_19counting_iterator_tIlEES8_S8_S8_S8_S8_S8_S8_S8_EEEEPS9_S9_NSD_9__find_if7functorIS9_EEEE10hipError_tPvRmT1_T2_T3_mT4_P12ihipStream_tbEUlT_E0_NS1_11comp_targetILNS1_3genE0ELNS1_11target_archE4294967295ELNS1_3gpuE0ELNS1_3repE0EEENS1_30default_config_static_selectorELNS0_4arch9wavefront6targetE0EEEvS14_: ; @_ZN7rocprim17ROCPRIM_400000_NS6detail17trampoline_kernelINS0_14default_configENS1_22reduce_config_selectorIN6thrust23THRUST_200600_302600_NS5tupleIblNS6_9null_typeES8_S8_S8_S8_S8_S8_S8_EEEEZNS1_11reduce_implILb1ES3_NS6_12zip_iteratorINS7_INS6_11hip_rocprim26transform_input_iterator_tIbNSD_35transform_pair_of_input_iterators_tIbNS6_6detail15normal_iteratorINS6_10device_ptrIKxEEEESL_NS6_8equal_toIxEEEENSG_9not_fun_tINSD_8identityEEEEENSD_19counting_iterator_tIlEES8_S8_S8_S8_S8_S8_S8_S8_EEEEPS9_S9_NSD_9__find_if7functorIS9_EEEE10hipError_tPvRmT1_T2_T3_mT4_P12ihipStream_tbEUlT_E0_NS1_11comp_targetILNS1_3genE0ELNS1_11target_archE4294967295ELNS1_3gpuE0ELNS1_3repE0EEENS1_30default_config_static_selectorELNS0_4arch9wavefront6targetE0EEEvS14_
; %bb.0:
	s_clause 0x2
	s_load_b256 s[4:11], s[0:1], 0x20
	s_load_b128 s[24:27], s[0:1], 0x0
	s_load_b128 s[12:15], s[0:1], 0x40
	s_bfe_u32 s3, ttmp6, 0x4000c
	s_and_b32 s2, ttmp6, 15
	s_add_co_i32 s3, s3, 1
	s_getreg_b32 s16, hwreg(HW_REG_IB_STS2, 6, 4)
	s_mul_i32 s3, ttmp9, s3
	s_mov_b32 s23, 0
	s_add_co_i32 s20, s2, s3
	v_mbcnt_lo_u32_b32 v8, -1, 0
	s_mov_b32 s17, s23
	s_wait_kmcnt 0x0
	s_lshl_b64 s[2:3], s[6:7], 3
	s_cmp_eq_u32 s16, 0
	s_add_nc_u64 s[18:19], s[24:25], s[2:3]
	s_cselect_b32 s16, ttmp9, s20
	s_add_nc_u64 s[2:3], s[26:27], s[2:3]
	s_lshl_b32 s22, s16, 8
	s_lshr_b64 s[20:21], s[8:9], 8
	s_lshl_b64 s[24:25], s[22:23], 3
	s_add_nc_u64 s[4:5], s[4:5], s[22:23]
	s_cmp_lg_u64 s[20:21], s[16:17]
	s_add_nc_u64 s[18:19], s[18:19], s[24:25]
	s_add_nc_u64 s[20:21], s[2:3], s[24:25]
	;; [unrolled: 1-line block ×3, first 2 shown]
	s_cbranch_scc0 .LBB225_10
; %bb.1:
	s_clause 0x3
	global_load_b64 v[2:3], v0, s[18:19] scale_offset
	global_load_b64 v[4:5], v0, s[20:21] scale_offset
	global_load_b64 v[6:7], v0, s[20:21] offset:1024 scale_offset
	global_load_b64 v[10:11], v0, s[18:19] offset:1024 scale_offset
	s_wait_loadcnt 0x2
	v_cmp_ne_u64_e32 vcc_lo, v[2:3], v[4:5]
	v_mov_b32_e32 v1, 0
	s_wait_loadcnt 0x0
	v_cmp_ne_u64_e64 s2, v[10:11], v[6:7]
	s_delay_alu instid0(VALU_DEP_2) | instskip(NEXT) | instid1(VALU_DEP_1)
	v_add_nc_u64_e32 v[12:13], s[6:7], v[0:1]
	v_add_nc_u64_e32 v[14:15], 0x80, v[12:13]
	s_delay_alu instid0(VALU_DEP_1) | instskip(SKIP_3) | instid1(VALU_DEP_2)
	v_dual_cndmask_b32 v3, v15, v13 :: v_dual_cndmask_b32 v2, v14, v12
	s_or_b32 vcc_lo, vcc_lo, s2
	s_mov_b32 s2, exec_lo
	v_cndmask_b32_e64 v9, 0, 1, vcc_lo
	v_mov_b32_dpp v5, v3 quad_perm:[1,0,3,2] row_mask:0xf bank_mask:0xf
	s_delay_alu instid0(VALU_DEP_2) | instskip(NEXT) | instid1(VALU_DEP_1)
	v_mov_b32_dpp v6, v9 quad_perm:[1,0,3,2] row_mask:0xf bank_mask:0xf
	v_and_b32_e32 v6, 1, v6
	v_mov_b32_dpp v4, v2 quad_perm:[1,0,3,2] row_mask:0xf bank_mask:0xf
	s_delay_alu instid0(VALU_DEP_1) | instskip(NEXT) | instid1(VALU_DEP_1)
	v_min_i64 v[12:13], v[2:3], v[4:5]
	v_dual_cndmask_b32 v4, v4, v12 :: v_dual_cndmask_b32 v5, v5, v13
	s_delay_alu instid0(VALU_DEP_4) | instskip(NEXT) | instid1(VALU_DEP_2)
	v_cmp_eq_u32_e32 vcc_lo, 1, v6
	v_dual_cndmask_b32 v3, v3, v5 :: v_dual_cndmask_b32 v2, v2, v4
	v_cndmask_b32_e64 v9, v9, 1, vcc_lo
	s_delay_alu instid0(VALU_DEP_2) | instskip(NEXT) | instid1(VALU_DEP_3)
	v_mov_b32_dpp v5, v3 quad_perm:[2,3,0,1] row_mask:0xf bank_mask:0xf
	v_mov_b32_dpp v4, v2 quad_perm:[2,3,0,1] row_mask:0xf bank_mask:0xf
	s_delay_alu instid0(VALU_DEP_3) | instskip(NEXT) | instid1(VALU_DEP_2)
	v_mov_b32_dpp v11, v9 quad_perm:[2,3,0,1] row_mask:0xf bank_mask:0xf
	v_min_i64 v[6:7], v[2:3], v[4:5]
	v_and_b32_e32 v10, 1, v9
	s_delay_alu instid0(VALU_DEP_1) | instskip(NEXT) | instid1(VALU_DEP_3)
	v_cmp_eq_u32_e32 vcc_lo, 1, v10
	v_dual_cndmask_b32 v4, v4, v6 :: v_dual_cndmask_b32 v5, v5, v7
	v_and_b32_e32 v10, 1, v11
	s_delay_alu instid0(VALU_DEP_1) | instskip(NEXT) | instid1(VALU_DEP_3)
	v_cmp_eq_u32_e32 vcc_lo, 1, v10
	v_dual_cndmask_b32 v2, v2, v4 :: v_dual_cndmask_b32 v3, v3, v5
	v_cndmask_b32_e64 v9, v9, 1, vcc_lo
	s_delay_alu instid0(VALU_DEP_2) | instskip(NEXT) | instid1(VALU_DEP_3)
	v_mov_b32_dpp v4, v2 row_ror:4 row_mask:0xf bank_mask:0xf
	v_mov_b32_dpp v5, v3 row_ror:4 row_mask:0xf bank_mask:0xf
	s_delay_alu instid0(VALU_DEP_3) | instskip(NEXT) | instid1(VALU_DEP_2)
	v_mov_b32_dpp v11, v9 row_ror:4 row_mask:0xf bank_mask:0xf
	v_min_i64 v[6:7], v[2:3], v[4:5]
	v_and_b32_e32 v10, 1, v9
	s_delay_alu instid0(VALU_DEP_1) | instskip(NEXT) | instid1(VALU_DEP_3)
	v_cmp_eq_u32_e32 vcc_lo, 1, v10
	v_dual_cndmask_b32 v4, v4, v6 :: v_dual_cndmask_b32 v5, v5, v7
	v_and_b32_e32 v10, 1, v11
	s_delay_alu instid0(VALU_DEP_1) | instskip(NEXT) | instid1(VALU_DEP_3)
	v_cmp_eq_u32_e32 vcc_lo, 1, v10
	v_dual_cndmask_b32 v2, v2, v4 :: v_dual_cndmask_b32 v3, v3, v5
	v_cndmask_b32_e64 v9, v9, 1, vcc_lo
	s_delay_alu instid0(VALU_DEP_2) | instskip(NEXT) | instid1(VALU_DEP_3)
	v_mov_b32_dpp v4, v2 row_ror:8 row_mask:0xf bank_mask:0xf
	v_mov_b32_dpp v5, v3 row_ror:8 row_mask:0xf bank_mask:0xf
	s_delay_alu instid0(VALU_DEP_3) | instskip(NEXT) | instid1(VALU_DEP_2)
	v_mov_b32_dpp v11, v9 row_ror:8 row_mask:0xf bank_mask:0xf
	v_min_i64 v[6:7], v[2:3], v[4:5]
	v_and_b32_e32 v10, 1, v9
	s_delay_alu instid0(VALU_DEP_1) | instskip(NEXT) | instid1(VALU_DEP_3)
	v_cmp_eq_u32_e32 vcc_lo, 1, v10
	v_dual_cndmask_b32 v4, v4, v6 :: v_dual_cndmask_b32 v5, v5, v7
	v_and_b32_e32 v10, 1, v11
	s_delay_alu instid0(VALU_DEP_1) | instskip(NEXT) | instid1(VALU_DEP_3)
	v_cmp_eq_u32_e32 vcc_lo, 1, v10
	v_dual_cndmask_b32 v2, v2, v4 :: v_dual_cndmask_b32 v3, v3, v5
	v_cndmask_b32_e64 v9, v9, 1, vcc_lo
	ds_swizzle_b32 v4, v2 offset:swizzle(BROADCAST,32,15)
	ds_swizzle_b32 v5, v3 offset:swizzle(BROADCAST,32,15)
	;; [unrolled: 1-line block ×3, first 2 shown]
	s_wait_dscnt 0x1
	v_min_i64 v[6:7], v[2:3], v[4:5]
	v_and_b32_e32 v11, 1, v9
	s_delay_alu instid0(VALU_DEP_1) | instskip(SKIP_1) | instid1(VALU_DEP_3)
	v_cmp_eq_u32_e32 vcc_lo, 1, v11
	s_wait_dscnt 0x0
	v_dual_cndmask_b32 v5, v5, v7, vcc_lo :: v_dual_bitop2_b32 v10, 1, v10 bitop3:0x40
	s_delay_alu instid0(VALU_DEP_4) | instskip(NEXT) | instid1(VALU_DEP_2)
	v_cndmask_b32_e32 v4, v4, v6, vcc_lo
	v_cmp_eq_u32_e32 vcc_lo, 1, v10
	s_delay_alu instid0(VALU_DEP_2)
	v_dual_cndmask_b32 v3, v3, v5 :: v_dual_cndmask_b32 v2, v2, v4
	v_cndmask_b32_e64 v5, v9, 1, vcc_lo
	ds_bpermute_b32 v3, v1, v3 offset:124
	ds_bpermute_b32 v2, v1, v2 offset:124
	;; [unrolled: 1-line block ×3, first 2 shown]
	v_cmpx_eq_u32_e32 0, v8
	s_cbranch_execz .LBB225_3
; %bb.2:
	v_lshrrev_b32_e32 v1, 1, v0
	s_delay_alu instid0(VALU_DEP_1)
	v_and_b32_e32 v1, 48, v1
	s_wait_dscnt 0x0
	ds_store_b8 v1, v6
	ds_store_b64 v1, v[2:3] offset:8
.LBB225_3:
	s_or_b32 exec_lo, exec_lo, s2
	s_delay_alu instid0(SALU_CYCLE_1)
	s_mov_b32 s2, exec_lo
	s_wait_dscnt 0x0
	s_barrier_signal -1
	s_barrier_wait -1
	v_cmpx_gt_u32_e32 32, v0
	s_cbranch_execz .LBB225_9
; %bb.4:
	v_and_b32_e32 v2, 3, v8
	s_delay_alu instid0(VALU_DEP_1) | instskip(SKIP_2) | instid1(VALU_DEP_1)
	v_cmp_ne_u32_e32 vcc_lo, 3, v2
	v_lshlrev_b32_e32 v3, 4, v2
	v_add_co_ci_u32_e64 v2, null, 0, v8, vcc_lo
	v_lshlrev_b32_e32 v2, 2, v2
	ds_load_u8 v1, v3
	ds_load_b64 v[4:5], v3 offset:8
	s_wait_dscnt 0x1
	v_and_b32_e32 v3, 0xff, v1
	s_wait_dscnt 0x0
	ds_bpermute_b32 v6, v2, v4
	ds_bpermute_b32 v7, v2, v5
	;; [unrolled: 1-line block ×3, first 2 shown]
	s_wait_dscnt 0x0
	v_and_b32_e32 v2, v1, v9
	s_delay_alu instid0(VALU_DEP_1) | instskip(NEXT) | instid1(VALU_DEP_1)
	v_and_b32_e32 v2, 1, v2
	v_cmp_eq_u32_e32 vcc_lo, 1, v2
                                        ; implicit-def: $vgpr2_vgpr3
	s_and_saveexec_b32 s3, vcc_lo
	s_delay_alu instid0(SALU_CYCLE_1)
	s_xor_b32 s3, exec_lo, s3
; %bb.5:
	v_min_i64 v[2:3], v[6:7], v[4:5]
                                        ; implicit-def: $vgpr1
                                        ; implicit-def: $vgpr6_vgpr7
                                        ; implicit-def: $vgpr4_vgpr5
                                        ; implicit-def: $vgpr9
; %bb.6:
	s_or_saveexec_b32 s3, s3
	v_dual_mov_b32 v11, 1 :: v_dual_lshlrev_b32 v10, 2, v8
	s_xor_b32 exec_lo, exec_lo, s3
; %bb.7:
	v_and_b32_e32 v1, 1, v1
	s_delay_alu instid0(VALU_DEP_1) | instskip(SKIP_2) | instid1(VALU_DEP_2)
	v_cmp_eq_u32_e32 vcc_lo, 1, v1
	v_and_b32_e32 v1, 0xff, v9
	v_dual_cndmask_b32 v3, v7, v5 :: v_dual_cndmask_b32 v2, v6, v4
	v_cndmask_b32_e64 v11, v1, 1, vcc_lo
; %bb.8:
	s_or_b32 exec_lo, exec_lo, s3
	s_delay_alu instid0(VALU_DEP_1) | instskip(NEXT) | instid1(VALU_DEP_1)
	v_and_b32_e32 v6, 1, v11
	v_cmp_eq_u32_e32 vcc_lo, 1, v6
	v_or_b32_e32 v1, 8, v10
	ds_bpermute_b32 v4, v1, v2
	ds_bpermute_b32 v5, v1, v3
	s_wait_dscnt 0x0
	v_min_i64 v[12:13], v[4:5], v[2:3]
	v_cndmask_b32_e32 v3, v5, v3, vcc_lo
	ds_bpermute_b32 v1, v1, v11
	v_cndmask_b32_e32 v2, v4, v2, vcc_lo
	s_wait_dscnt 0x0
	v_bitop3_b32 v6, v11, 1, v1 bitop3:0x80
	v_cndmask_b32_e64 v1, v1, 1, vcc_lo
	s_delay_alu instid0(VALU_DEP_2) | instskip(NEXT) | instid1(VALU_DEP_2)
	v_cmp_eq_u32_e32 vcc_lo, 0, v6
	v_dual_cndmask_b32 v6, 1, v1 :: v_dual_cndmask_b32 v3, v13, v3
	v_cndmask_b32_e32 v2, v12, v2, vcc_lo
.LBB225_9:
	s_or_b32 exec_lo, exec_lo, s2
	s_load_b64 s[4:5], s[0:1], 0x58
	s_branch .LBB225_34
.LBB225_10:
                                        ; implicit-def: $vgpr2_vgpr3
                                        ; implicit-def: $vgpr6
	s_load_b64 s[4:5], s[0:1], 0x58
	s_cbranch_execz .LBB225_34
; %bb.11:
	v_mov_b64_e32 v[4:5], 0
	v_mov_b64_e32 v[2:3], 0
	v_dual_mov_b32 v7, 0 :: v_dual_mov_b32 v1, 0
	s_sub_co_i32 s22, s8, s22
	s_mov_b32 s2, exec_lo
	v_cmpx_gt_u32_e64 s22, v0
	s_cbranch_execz .LBB225_13
; %bb.12:
	s_clause 0x1
	global_load_b64 v[10:11], v0, s[18:19] scale_offset
	global_load_b64 v[12:13], v0, s[20:21] scale_offset
	v_mov_b32_e32 v1, 0
	s_delay_alu instid0(VALU_DEP_1)
	v_add_nc_u64_e32 v[2:3], s[6:7], v[0:1]
	s_wait_loadcnt 0x0
	v_cmp_ne_u64_e32 vcc_lo, v[10:11], v[12:13]
	v_cndmask_b32_e64 v1, 0, 1, vcc_lo
.LBB225_13:
	s_or_b32 exec_lo, exec_lo, s2
	v_or_b32_e32 v6, 0x80, v0
	s_delay_alu instid0(VALU_DEP_1)
	v_cmp_gt_u32_e32 vcc_lo, s22, v6
	s_and_saveexec_b32 s3, vcc_lo
	s_cbranch_execz .LBB225_15
; %bb.14:
	s_clause 0x1
	global_load_b64 v[10:11], v0, s[18:19] offset:1024 scale_offset
	global_load_b64 v[12:13], v0, s[20:21] offset:1024 scale_offset
	v_mov_b32_e32 v7, 0
	s_delay_alu instid0(VALU_DEP_1) | instskip(SKIP_2) | instid1(VALU_DEP_1)
	v_add_nc_u64_e32 v[4:5], s[6:7], v[6:7]
	s_wait_loadcnt 0x0
	v_cmp_ne_u64_e64 s2, v[10:11], v[12:13]
	v_cndmask_b32_e64 v7, 0, 1, s2
.LBB225_15:
	s_or_b32 exec_lo, exec_lo, s3
	s_delay_alu instid0(VALU_DEP_3) | instskip(NEXT) | instid1(VALU_DEP_2)
	v_min_i64 v[10:11], v[4:5], v[2:3]
	v_and_b32_e32 v6, 1, v7
	s_mov_b32 s6, exec_lo
	s_delay_alu instid0(VALU_DEP_1) | instskip(SKIP_3) | instid1(VALU_DEP_4)
	v_cmp_eq_u32_e64 s2, 1, v6
	v_and_b32_e32 v9, 1, v1
	v_and_b32_e32 v6, 0xffff, v7
	;; [unrolled: 1-line block ×3, first 2 shown]
	v_cndmask_b32_e64 v7, v3, v11, s2
	s_delay_alu instid0(VALU_DEP_4) | instskip(SKIP_2) | instid1(VALU_DEP_3)
	v_cmp_eq_u32_e64 s3, 1, v9
	v_cndmask_b32_e64 v9, v2, v10, s2
	v_cmp_ne_u32_e64 s2, 31, v8
	v_cndmask_b32_e64 v6, v6, 1, s3
	s_delay_alu instid0(VALU_DEP_3) | instskip(NEXT) | instid1(VALU_DEP_3)
	v_dual_cndmask_b32 v4, v4, v9, s3 :: v_dual_cndmask_b32 v5, v5, v7, s3
	v_add_co_ci_u32_e64 v10, null, 0, v8, s2
	s_delay_alu instid0(VALU_DEP_2) | instskip(NEXT) | instid1(VALU_DEP_2)
	v_dual_cndmask_b32 v6, v1, v6, vcc_lo :: v_dual_cndmask_b32 v2, v2, v4, vcc_lo
	v_dual_cndmask_b32 v3, v3, v5, vcc_lo :: v_dual_lshlrev_b32 v9, 2, v10
	v_and_b32_e32 v1, 0x60, v0
	s_min_u32 s3, s22, 0x80
	ds_bpermute_b32 v7, v9, v6
	ds_bpermute_b32 v4, v9, v2
	;; [unrolled: 1-line block ×3, first 2 shown]
	v_sub_nc_u32_e64 v1, s3, v1 clamp
	v_add_nc_u32_e32 v9, 1, v8
	s_delay_alu instid0(VALU_DEP_1)
	v_cmpx_lt_u32_e64 v9, v1
	s_cbranch_execz .LBB225_17
; %bb.16:
	s_wait_dscnt 0x0
	v_min_i64 v[10:11], v[4:5], v[2:3]
	v_and_b32_e32 v9, 1, v6
	s_delay_alu instid0(VALU_DEP_1) | instskip(SKIP_3) | instid1(VALU_DEP_3)
	v_cmp_eq_u32_e32 vcc_lo, 1, v9
	v_and_b32_e32 v6, v6, v7
	v_and_b32_e32 v7, 0xff, v7
	v_dual_cndmask_b32 v2, v4, v2 :: v_dual_cndmask_b32 v3, v5, v3
	v_cmp_eq_u32_e64 s2, 0, v6
	s_delay_alu instid0(VALU_DEP_3) | instskip(NEXT) | instid1(VALU_DEP_1)
	v_cndmask_b32_e64 v4, v7, 1, vcc_lo
	v_dual_cndmask_b32 v6, 1, v4, s2 :: v_dual_cndmask_b32 v3, v11, v3, s2
	s_delay_alu instid0(VALU_DEP_4)
	v_cndmask_b32_e64 v2, v10, v2, s2
.LBB225_17:
	s_or_b32 exec_lo, exec_lo, s6
	v_cmp_gt_u32_e32 vcc_lo, 30, v8
	v_add_nc_u32_e32 v9, 2, v8
	s_mov_b32 s6, exec_lo
	s_wait_dscnt 0x1
	v_cndmask_b32_e64 v4, 0, 2, vcc_lo
	s_wait_dscnt 0x0
	s_delay_alu instid0(VALU_DEP_1)
	v_add_lshl_u32 v5, v4, v8, 2
	ds_bpermute_b32 v7, v5, v6
	ds_bpermute_b32 v4, v5, v2
	ds_bpermute_b32 v5, v5, v3
	v_cmpx_lt_u32_e64 v9, v1
	s_cbranch_execz .LBB225_19
; %bb.18:
	s_wait_dscnt 0x0
	v_min_i64 v[10:11], v[4:5], v[2:3]
	v_and_b32_e32 v9, 1, v6
	v_bitop3_b32 v6, v6, 1, v7 bitop3:0x80
	v_and_b32_e32 v7, 0xff, v7
	s_delay_alu instid0(VALU_DEP_3) | instskip(NEXT) | instid1(VALU_DEP_3)
	v_cmp_eq_u32_e32 vcc_lo, 1, v9
	v_cmp_eq_u32_e64 s2, 0, v6
	v_dual_cndmask_b32 v3, v5, v3 :: v_dual_cndmask_b32 v2, v4, v2
	s_delay_alu instid0(VALU_DEP_4) | instskip(NEXT) | instid1(VALU_DEP_1)
	v_cndmask_b32_e64 v4, v7, 1, vcc_lo
	v_dual_cndmask_b32 v6, 1, v4, s2 :: v_dual_cndmask_b32 v3, v11, v3, s2
	s_delay_alu instid0(VALU_DEP_3)
	v_cndmask_b32_e64 v2, v10, v2, s2
.LBB225_19:
	s_or_b32 exec_lo, exec_lo, s6
	v_cmp_gt_u32_e32 vcc_lo, 28, v8
	v_add_nc_u32_e32 v9, 4, v8
	s_mov_b32 s6, exec_lo
	s_wait_dscnt 0x1
	v_cndmask_b32_e64 v4, 0, 4, vcc_lo
	s_wait_dscnt 0x0
	s_delay_alu instid0(VALU_DEP_1)
	v_add_lshl_u32 v5, v4, v8, 2
	ds_bpermute_b32 v7, v5, v6
	ds_bpermute_b32 v4, v5, v2
	ds_bpermute_b32 v5, v5, v3
	v_cmpx_lt_u32_e64 v9, v1
	s_cbranch_execz .LBB225_21
; %bb.20:
	s_wait_dscnt 0x0
	v_min_i64 v[10:11], v[4:5], v[2:3]
	v_and_b32_e32 v9, 1, v6
	v_bitop3_b32 v6, v6, 1, v7 bitop3:0x80
	v_and_b32_e32 v7, 0xff, v7
	s_delay_alu instid0(VALU_DEP_3) | instskip(NEXT) | instid1(VALU_DEP_3)
	v_cmp_eq_u32_e32 vcc_lo, 1, v9
	v_cmp_eq_u32_e64 s2, 0, v6
	v_dual_cndmask_b32 v3, v5, v3 :: v_dual_cndmask_b32 v2, v4, v2
	s_delay_alu instid0(VALU_DEP_4) | instskip(NEXT) | instid1(VALU_DEP_1)
	v_cndmask_b32_e64 v4, v7, 1, vcc_lo
	v_dual_cndmask_b32 v6, 1, v4, s2 :: v_dual_cndmask_b32 v3, v11, v3, s2
	s_delay_alu instid0(VALU_DEP_3)
	v_cndmask_b32_e64 v2, v10, v2, s2
.LBB225_21:
	;; [unrolled: 30-line block ×3, first 2 shown]
	s_or_b32 exec_lo, exec_lo, s6
	s_wait_dscnt 0x2
	v_dual_lshlrev_b32 v7, 2, v8 :: v_dual_add_nc_u32 v10, 16, v8
	s_wait_dscnt 0x0
	s_delay_alu instid0(VALU_DEP_1) | instskip(NEXT) | instid1(VALU_DEP_2)
	v_or_b32_e32 v5, 64, v7
	v_cmp_lt_u32_e32 vcc_lo, v10, v1
	v_mov_b32_e32 v1, v6
	ds_bpermute_b32 v9, v5, v6
	ds_bpermute_b32 v4, v5, v2
	ds_bpermute_b32 v5, v5, v3
	s_and_saveexec_b32 s6, vcc_lo
	s_cbranch_execz .LBB225_25
; %bb.24:
	s_wait_dscnt 0x0
	v_min_i64 v[10:11], v[4:5], v[2:3]
	v_and_b32_e32 v1, 1, v6
	v_bitop3_b32 v6, v6, 1, v9 bitop3:0x80
	s_delay_alu instid0(VALU_DEP_2) | instskip(NEXT) | instid1(VALU_DEP_2)
	v_cmp_eq_u32_e32 vcc_lo, 1, v1
	v_cmp_eq_u32_e64 s2, 0, v6
	v_cndmask_b32_e64 v1, v9, 1, vcc_lo
	v_dual_cndmask_b32 v3, v5, v3 :: v_dual_cndmask_b32 v2, v4, v2
	s_delay_alu instid0(VALU_DEP_2) | instskip(NEXT) | instid1(VALU_DEP_1)
	v_cndmask_b32_e64 v1, 1, v1, s2
	v_and_b32_e32 v6, 0xff, v1
	s_delay_alu instid0(VALU_DEP_3)
	v_dual_cndmask_b32 v3, v11, v3, s2 :: v_dual_cndmask_b32 v2, v10, v2, s2
.LBB225_25:
	s_or_b32 exec_lo, exec_lo, s6
	s_delay_alu instid0(SALU_CYCLE_1)
	s_mov_b32 s2, exec_lo
	v_cmpx_eq_u32_e32 0, v8
	s_cbranch_execz .LBB225_27
; %bb.26:
	s_wait_dscnt 0x1
	v_lshrrev_b32_e32 v4, 1, v0
	s_delay_alu instid0(VALU_DEP_1)
	v_and_b32_e32 v4, 48, v4
	ds_store_b8 v4, v1 offset:64
	ds_store_b64 v4, v[2:3] offset:72
.LBB225_27:
	s_or_b32 exec_lo, exec_lo, s2
	s_delay_alu instid0(SALU_CYCLE_1)
	s_mov_b32 s6, exec_lo
	s_wait_dscnt 0x0
	s_barrier_signal -1
	s_barrier_wait -1
	v_cmpx_gt_u32_e32 4, v0
	s_cbranch_execz .LBB225_33
; %bb.28:
	v_lshlrev_b32_e32 v1, 4, v8
	s_add_co_i32 s3, s3, 31
	s_mov_b32 s7, exec_lo
	s_lshr_b32 s3, s3, 5
	ds_load_u8 v9, v1 offset:64
	ds_load_b64 v[2:3], v1 offset:72
	v_and_b32_e32 v1, 3, v8
	s_delay_alu instid0(VALU_DEP_1) | instskip(SKIP_2) | instid1(VALU_DEP_1)
	v_cmp_ne_u32_e32 vcc_lo, 3, v1
	v_add_nc_u32_e32 v10, 1, v1
	v_add_co_ci_u32_e64 v4, null, 0, v8, vcc_lo
	v_lshlrev_b32_e32 v5, 2, v4
	s_wait_dscnt 0x1
	v_and_b32_e32 v6, 0xff, v9
	s_wait_dscnt 0x0
	ds_bpermute_b32 v4, v5, v2
	ds_bpermute_b32 v8, v5, v6
	ds_bpermute_b32 v5, v5, v3
	v_cmpx_gt_u32_e64 s3, v10
	s_cbranch_execz .LBB225_30
; %bb.29:
	s_wait_dscnt 0x0
	v_min_i64 v[10:11], v[4:5], v[2:3]
	v_and_b32_e32 v9, 1, v9
	v_bitop3_b32 v6, v6, 1, v8 bitop3:0x80
	v_and_b32_e32 v8, 0xff, v8
	s_delay_alu instid0(VALU_DEP_3) | instskip(NEXT) | instid1(VALU_DEP_3)
	v_cmp_eq_u32_e32 vcc_lo, 1, v9
	v_cmp_eq_u32_e64 s2, 0, v6
	v_dual_cndmask_b32 v2, v4, v2 :: v_dual_cndmask_b32 v3, v5, v3
	s_delay_alu instid0(VALU_DEP_4) | instskip(NEXT) | instid1(VALU_DEP_1)
	v_cndmask_b32_e64 v4, v8, 1, vcc_lo
	v_dual_cndmask_b32 v6, 1, v4, s2 :: v_dual_cndmask_b32 v2, v10, v2, s2
	s_delay_alu instid0(VALU_DEP_3)
	v_cndmask_b32_e64 v3, v11, v3, s2
.LBB225_30:
	s_or_b32 exec_lo, exec_lo, s7
	s_wait_dscnt 0x0
	v_dual_add_nc_u32 v1, 2, v1 :: v_dual_bitop2_b32 v5, 8, v7 bitop3:0x54
	ds_bpermute_b32 v7, v5, v6
	ds_bpermute_b32 v4, v5, v2
	;; [unrolled: 1-line block ×3, first 2 shown]
	v_cmp_gt_u32_e32 vcc_lo, s3, v1
	s_and_saveexec_b32 s3, vcc_lo
	s_cbranch_execz .LBB225_32
; %bb.31:
	s_wait_dscnt 0x0
	v_min_i64 v[8:9], v[4:5], v[2:3]
	v_and_b32_e32 v1, 1, v6
	s_delay_alu instid0(VALU_DEP_1) | instskip(SKIP_2) | instid1(VALU_DEP_2)
	v_cmp_eq_u32_e32 vcc_lo, 1, v1
	v_bitop3_b32 v1, v6, 1, v7 bitop3:0x80
	v_cndmask_b32_e32 v3, v5, v3, vcc_lo
	v_cmp_eq_u32_e64 s2, 0, v1
	v_cndmask_b32_e32 v2, v4, v2, vcc_lo
	v_cndmask_b32_e64 v1, v7, 1, vcc_lo
	s_delay_alu instid0(VALU_DEP_1) | instskip(NEXT) | instid1(VALU_DEP_3)
	v_dual_cndmask_b32 v6, 1, v1, s2 :: v_dual_cndmask_b32 v3, v9, v3, s2
	v_cndmask_b32_e64 v2, v8, v2, s2
.LBB225_32:
	s_or_b32 exec_lo, exec_lo, s3
.LBB225_33:
	s_delay_alu instid0(SALU_CYCLE_1)
	s_or_b32 exec_lo, exec_lo, s6
.LBB225_34:
	s_wait_xcnt 0x0
	s_load_b32 s0, s[0:1], 0x50
	s_wait_xcnt 0x0
	s_mov_b32 s1, exec_lo
	v_cmpx_eq_u32_e32 0, v0
	s_cbranch_execz .LBB225_36
; %bb.35:
	s_mul_u64 s[2:3], s[14:15], s[12:13]
	s_delay_alu instid0(SALU_CYCLE_1)
	s_lshl_b64 s[2:3], s[2:3], 4
	s_cmp_eq_u64 s[8:9], 0
	s_add_nc_u64 s[2:3], s[10:11], s[2:3]
	s_cselect_b32 s1, -1, 0
	s_wait_kmcnt 0x0
	v_cndmask_b32_e64 v1, v3, s5, s1
	v_cndmask_b32_e64 v0, v2, s4, s1
	;; [unrolled: 1-line block ×3, first 2 shown]
	v_mov_b32_e32 v3, 0
	s_lshl_b64 s[0:1], s[16:17], 4
	s_delay_alu instid0(SALU_CYCLE_1)
	s_add_nc_u64 s[0:1], s[2:3], s[0:1]
	s_clause 0x1
	global_store_b8 v3, v2, s[0:1]
	global_store_b64 v3, v[0:1], s[0:1] offset:8
.LBB225_36:
	s_endpgm
	.section	.rodata,"a",@progbits
	.p2align	6, 0x0
	.amdhsa_kernel _ZN7rocprim17ROCPRIM_400000_NS6detail17trampoline_kernelINS0_14default_configENS1_22reduce_config_selectorIN6thrust23THRUST_200600_302600_NS5tupleIblNS6_9null_typeES8_S8_S8_S8_S8_S8_S8_EEEEZNS1_11reduce_implILb1ES3_NS6_12zip_iteratorINS7_INS6_11hip_rocprim26transform_input_iterator_tIbNSD_35transform_pair_of_input_iterators_tIbNS6_6detail15normal_iteratorINS6_10device_ptrIKxEEEESL_NS6_8equal_toIxEEEENSG_9not_fun_tINSD_8identityEEEEENSD_19counting_iterator_tIlEES8_S8_S8_S8_S8_S8_S8_S8_EEEEPS9_S9_NSD_9__find_if7functorIS9_EEEE10hipError_tPvRmT1_T2_T3_mT4_P12ihipStream_tbEUlT_E0_NS1_11comp_targetILNS1_3genE0ELNS1_11target_archE4294967295ELNS1_3gpuE0ELNS1_3repE0EEENS1_30default_config_static_selectorELNS0_4arch9wavefront6targetE0EEEvS14_
		.amdhsa_group_segment_fixed_size 128
		.amdhsa_private_segment_fixed_size 0
		.amdhsa_kernarg_size 104
		.amdhsa_user_sgpr_count 2
		.amdhsa_user_sgpr_dispatch_ptr 0
		.amdhsa_user_sgpr_queue_ptr 0
		.amdhsa_user_sgpr_kernarg_segment_ptr 1
		.amdhsa_user_sgpr_dispatch_id 0
		.amdhsa_user_sgpr_kernarg_preload_length 0
		.amdhsa_user_sgpr_kernarg_preload_offset 0
		.amdhsa_user_sgpr_private_segment_size 0
		.amdhsa_wavefront_size32 1
		.amdhsa_uses_dynamic_stack 0
		.amdhsa_enable_private_segment 0
		.amdhsa_system_sgpr_workgroup_id_x 1
		.amdhsa_system_sgpr_workgroup_id_y 0
		.amdhsa_system_sgpr_workgroup_id_z 0
		.amdhsa_system_sgpr_workgroup_info 0
		.amdhsa_system_vgpr_workitem_id 0
		.amdhsa_next_free_vgpr 16
		.amdhsa_next_free_sgpr 28
		.amdhsa_named_barrier_count 0
		.amdhsa_reserve_vcc 1
		.amdhsa_float_round_mode_32 0
		.amdhsa_float_round_mode_16_64 0
		.amdhsa_float_denorm_mode_32 3
		.amdhsa_float_denorm_mode_16_64 3
		.amdhsa_fp16_overflow 0
		.amdhsa_memory_ordered 1
		.amdhsa_forward_progress 1
		.amdhsa_inst_pref_size 23
		.amdhsa_round_robin_scheduling 0
		.amdhsa_exception_fp_ieee_invalid_op 0
		.amdhsa_exception_fp_denorm_src 0
		.amdhsa_exception_fp_ieee_div_zero 0
		.amdhsa_exception_fp_ieee_overflow 0
		.amdhsa_exception_fp_ieee_underflow 0
		.amdhsa_exception_fp_ieee_inexact 0
		.amdhsa_exception_int_div_zero 0
	.end_amdhsa_kernel
	.section	.text._ZN7rocprim17ROCPRIM_400000_NS6detail17trampoline_kernelINS0_14default_configENS1_22reduce_config_selectorIN6thrust23THRUST_200600_302600_NS5tupleIblNS6_9null_typeES8_S8_S8_S8_S8_S8_S8_EEEEZNS1_11reduce_implILb1ES3_NS6_12zip_iteratorINS7_INS6_11hip_rocprim26transform_input_iterator_tIbNSD_35transform_pair_of_input_iterators_tIbNS6_6detail15normal_iteratorINS6_10device_ptrIKxEEEESL_NS6_8equal_toIxEEEENSG_9not_fun_tINSD_8identityEEEEENSD_19counting_iterator_tIlEES8_S8_S8_S8_S8_S8_S8_S8_EEEEPS9_S9_NSD_9__find_if7functorIS9_EEEE10hipError_tPvRmT1_T2_T3_mT4_P12ihipStream_tbEUlT_E0_NS1_11comp_targetILNS1_3genE0ELNS1_11target_archE4294967295ELNS1_3gpuE0ELNS1_3repE0EEENS1_30default_config_static_selectorELNS0_4arch9wavefront6targetE0EEEvS14_,"axG",@progbits,_ZN7rocprim17ROCPRIM_400000_NS6detail17trampoline_kernelINS0_14default_configENS1_22reduce_config_selectorIN6thrust23THRUST_200600_302600_NS5tupleIblNS6_9null_typeES8_S8_S8_S8_S8_S8_S8_EEEEZNS1_11reduce_implILb1ES3_NS6_12zip_iteratorINS7_INS6_11hip_rocprim26transform_input_iterator_tIbNSD_35transform_pair_of_input_iterators_tIbNS6_6detail15normal_iteratorINS6_10device_ptrIKxEEEESL_NS6_8equal_toIxEEEENSG_9not_fun_tINSD_8identityEEEEENSD_19counting_iterator_tIlEES8_S8_S8_S8_S8_S8_S8_S8_EEEEPS9_S9_NSD_9__find_if7functorIS9_EEEE10hipError_tPvRmT1_T2_T3_mT4_P12ihipStream_tbEUlT_E0_NS1_11comp_targetILNS1_3genE0ELNS1_11target_archE4294967295ELNS1_3gpuE0ELNS1_3repE0EEENS1_30default_config_static_selectorELNS0_4arch9wavefront6targetE0EEEvS14_,comdat
.Lfunc_end225:
	.size	_ZN7rocprim17ROCPRIM_400000_NS6detail17trampoline_kernelINS0_14default_configENS1_22reduce_config_selectorIN6thrust23THRUST_200600_302600_NS5tupleIblNS6_9null_typeES8_S8_S8_S8_S8_S8_S8_EEEEZNS1_11reduce_implILb1ES3_NS6_12zip_iteratorINS7_INS6_11hip_rocprim26transform_input_iterator_tIbNSD_35transform_pair_of_input_iterators_tIbNS6_6detail15normal_iteratorINS6_10device_ptrIKxEEEESL_NS6_8equal_toIxEEEENSG_9not_fun_tINSD_8identityEEEEENSD_19counting_iterator_tIlEES8_S8_S8_S8_S8_S8_S8_S8_EEEEPS9_S9_NSD_9__find_if7functorIS9_EEEE10hipError_tPvRmT1_T2_T3_mT4_P12ihipStream_tbEUlT_E0_NS1_11comp_targetILNS1_3genE0ELNS1_11target_archE4294967295ELNS1_3gpuE0ELNS1_3repE0EEENS1_30default_config_static_selectorELNS0_4arch9wavefront6targetE0EEEvS14_, .Lfunc_end225-_ZN7rocprim17ROCPRIM_400000_NS6detail17trampoline_kernelINS0_14default_configENS1_22reduce_config_selectorIN6thrust23THRUST_200600_302600_NS5tupleIblNS6_9null_typeES8_S8_S8_S8_S8_S8_S8_EEEEZNS1_11reduce_implILb1ES3_NS6_12zip_iteratorINS7_INS6_11hip_rocprim26transform_input_iterator_tIbNSD_35transform_pair_of_input_iterators_tIbNS6_6detail15normal_iteratorINS6_10device_ptrIKxEEEESL_NS6_8equal_toIxEEEENSG_9not_fun_tINSD_8identityEEEEENSD_19counting_iterator_tIlEES8_S8_S8_S8_S8_S8_S8_S8_EEEEPS9_S9_NSD_9__find_if7functorIS9_EEEE10hipError_tPvRmT1_T2_T3_mT4_P12ihipStream_tbEUlT_E0_NS1_11comp_targetILNS1_3genE0ELNS1_11target_archE4294967295ELNS1_3gpuE0ELNS1_3repE0EEENS1_30default_config_static_selectorELNS0_4arch9wavefront6targetE0EEEvS14_
                                        ; -- End function
	.set _ZN7rocprim17ROCPRIM_400000_NS6detail17trampoline_kernelINS0_14default_configENS1_22reduce_config_selectorIN6thrust23THRUST_200600_302600_NS5tupleIblNS6_9null_typeES8_S8_S8_S8_S8_S8_S8_EEEEZNS1_11reduce_implILb1ES3_NS6_12zip_iteratorINS7_INS6_11hip_rocprim26transform_input_iterator_tIbNSD_35transform_pair_of_input_iterators_tIbNS6_6detail15normal_iteratorINS6_10device_ptrIKxEEEESL_NS6_8equal_toIxEEEENSG_9not_fun_tINSD_8identityEEEEENSD_19counting_iterator_tIlEES8_S8_S8_S8_S8_S8_S8_S8_EEEEPS9_S9_NSD_9__find_if7functorIS9_EEEE10hipError_tPvRmT1_T2_T3_mT4_P12ihipStream_tbEUlT_E0_NS1_11comp_targetILNS1_3genE0ELNS1_11target_archE4294967295ELNS1_3gpuE0ELNS1_3repE0EEENS1_30default_config_static_selectorELNS0_4arch9wavefront6targetE0EEEvS14_.num_vgpr, 16
	.set _ZN7rocprim17ROCPRIM_400000_NS6detail17trampoline_kernelINS0_14default_configENS1_22reduce_config_selectorIN6thrust23THRUST_200600_302600_NS5tupleIblNS6_9null_typeES8_S8_S8_S8_S8_S8_S8_EEEEZNS1_11reduce_implILb1ES3_NS6_12zip_iteratorINS7_INS6_11hip_rocprim26transform_input_iterator_tIbNSD_35transform_pair_of_input_iterators_tIbNS6_6detail15normal_iteratorINS6_10device_ptrIKxEEEESL_NS6_8equal_toIxEEEENSG_9not_fun_tINSD_8identityEEEEENSD_19counting_iterator_tIlEES8_S8_S8_S8_S8_S8_S8_S8_EEEEPS9_S9_NSD_9__find_if7functorIS9_EEEE10hipError_tPvRmT1_T2_T3_mT4_P12ihipStream_tbEUlT_E0_NS1_11comp_targetILNS1_3genE0ELNS1_11target_archE4294967295ELNS1_3gpuE0ELNS1_3repE0EEENS1_30default_config_static_selectorELNS0_4arch9wavefront6targetE0EEEvS14_.num_agpr, 0
	.set _ZN7rocprim17ROCPRIM_400000_NS6detail17trampoline_kernelINS0_14default_configENS1_22reduce_config_selectorIN6thrust23THRUST_200600_302600_NS5tupleIblNS6_9null_typeES8_S8_S8_S8_S8_S8_S8_EEEEZNS1_11reduce_implILb1ES3_NS6_12zip_iteratorINS7_INS6_11hip_rocprim26transform_input_iterator_tIbNSD_35transform_pair_of_input_iterators_tIbNS6_6detail15normal_iteratorINS6_10device_ptrIKxEEEESL_NS6_8equal_toIxEEEENSG_9not_fun_tINSD_8identityEEEEENSD_19counting_iterator_tIlEES8_S8_S8_S8_S8_S8_S8_S8_EEEEPS9_S9_NSD_9__find_if7functorIS9_EEEE10hipError_tPvRmT1_T2_T3_mT4_P12ihipStream_tbEUlT_E0_NS1_11comp_targetILNS1_3genE0ELNS1_11target_archE4294967295ELNS1_3gpuE0ELNS1_3repE0EEENS1_30default_config_static_selectorELNS0_4arch9wavefront6targetE0EEEvS14_.numbered_sgpr, 28
	.set _ZN7rocprim17ROCPRIM_400000_NS6detail17trampoline_kernelINS0_14default_configENS1_22reduce_config_selectorIN6thrust23THRUST_200600_302600_NS5tupleIblNS6_9null_typeES8_S8_S8_S8_S8_S8_S8_EEEEZNS1_11reduce_implILb1ES3_NS6_12zip_iteratorINS7_INS6_11hip_rocprim26transform_input_iterator_tIbNSD_35transform_pair_of_input_iterators_tIbNS6_6detail15normal_iteratorINS6_10device_ptrIKxEEEESL_NS6_8equal_toIxEEEENSG_9not_fun_tINSD_8identityEEEEENSD_19counting_iterator_tIlEES8_S8_S8_S8_S8_S8_S8_S8_EEEEPS9_S9_NSD_9__find_if7functorIS9_EEEE10hipError_tPvRmT1_T2_T3_mT4_P12ihipStream_tbEUlT_E0_NS1_11comp_targetILNS1_3genE0ELNS1_11target_archE4294967295ELNS1_3gpuE0ELNS1_3repE0EEENS1_30default_config_static_selectorELNS0_4arch9wavefront6targetE0EEEvS14_.num_named_barrier, 0
	.set _ZN7rocprim17ROCPRIM_400000_NS6detail17trampoline_kernelINS0_14default_configENS1_22reduce_config_selectorIN6thrust23THRUST_200600_302600_NS5tupleIblNS6_9null_typeES8_S8_S8_S8_S8_S8_S8_EEEEZNS1_11reduce_implILb1ES3_NS6_12zip_iteratorINS7_INS6_11hip_rocprim26transform_input_iterator_tIbNSD_35transform_pair_of_input_iterators_tIbNS6_6detail15normal_iteratorINS6_10device_ptrIKxEEEESL_NS6_8equal_toIxEEEENSG_9not_fun_tINSD_8identityEEEEENSD_19counting_iterator_tIlEES8_S8_S8_S8_S8_S8_S8_S8_EEEEPS9_S9_NSD_9__find_if7functorIS9_EEEE10hipError_tPvRmT1_T2_T3_mT4_P12ihipStream_tbEUlT_E0_NS1_11comp_targetILNS1_3genE0ELNS1_11target_archE4294967295ELNS1_3gpuE0ELNS1_3repE0EEENS1_30default_config_static_selectorELNS0_4arch9wavefront6targetE0EEEvS14_.private_seg_size, 0
	.set _ZN7rocprim17ROCPRIM_400000_NS6detail17trampoline_kernelINS0_14default_configENS1_22reduce_config_selectorIN6thrust23THRUST_200600_302600_NS5tupleIblNS6_9null_typeES8_S8_S8_S8_S8_S8_S8_EEEEZNS1_11reduce_implILb1ES3_NS6_12zip_iteratorINS7_INS6_11hip_rocprim26transform_input_iterator_tIbNSD_35transform_pair_of_input_iterators_tIbNS6_6detail15normal_iteratorINS6_10device_ptrIKxEEEESL_NS6_8equal_toIxEEEENSG_9not_fun_tINSD_8identityEEEEENSD_19counting_iterator_tIlEES8_S8_S8_S8_S8_S8_S8_S8_EEEEPS9_S9_NSD_9__find_if7functorIS9_EEEE10hipError_tPvRmT1_T2_T3_mT4_P12ihipStream_tbEUlT_E0_NS1_11comp_targetILNS1_3genE0ELNS1_11target_archE4294967295ELNS1_3gpuE0ELNS1_3repE0EEENS1_30default_config_static_selectorELNS0_4arch9wavefront6targetE0EEEvS14_.uses_vcc, 1
	.set _ZN7rocprim17ROCPRIM_400000_NS6detail17trampoline_kernelINS0_14default_configENS1_22reduce_config_selectorIN6thrust23THRUST_200600_302600_NS5tupleIblNS6_9null_typeES8_S8_S8_S8_S8_S8_S8_EEEEZNS1_11reduce_implILb1ES3_NS6_12zip_iteratorINS7_INS6_11hip_rocprim26transform_input_iterator_tIbNSD_35transform_pair_of_input_iterators_tIbNS6_6detail15normal_iteratorINS6_10device_ptrIKxEEEESL_NS6_8equal_toIxEEEENSG_9not_fun_tINSD_8identityEEEEENSD_19counting_iterator_tIlEES8_S8_S8_S8_S8_S8_S8_S8_EEEEPS9_S9_NSD_9__find_if7functorIS9_EEEE10hipError_tPvRmT1_T2_T3_mT4_P12ihipStream_tbEUlT_E0_NS1_11comp_targetILNS1_3genE0ELNS1_11target_archE4294967295ELNS1_3gpuE0ELNS1_3repE0EEENS1_30default_config_static_selectorELNS0_4arch9wavefront6targetE0EEEvS14_.uses_flat_scratch, 0
	.set _ZN7rocprim17ROCPRIM_400000_NS6detail17trampoline_kernelINS0_14default_configENS1_22reduce_config_selectorIN6thrust23THRUST_200600_302600_NS5tupleIblNS6_9null_typeES8_S8_S8_S8_S8_S8_S8_EEEEZNS1_11reduce_implILb1ES3_NS6_12zip_iteratorINS7_INS6_11hip_rocprim26transform_input_iterator_tIbNSD_35transform_pair_of_input_iterators_tIbNS6_6detail15normal_iteratorINS6_10device_ptrIKxEEEESL_NS6_8equal_toIxEEEENSG_9not_fun_tINSD_8identityEEEEENSD_19counting_iterator_tIlEES8_S8_S8_S8_S8_S8_S8_S8_EEEEPS9_S9_NSD_9__find_if7functorIS9_EEEE10hipError_tPvRmT1_T2_T3_mT4_P12ihipStream_tbEUlT_E0_NS1_11comp_targetILNS1_3genE0ELNS1_11target_archE4294967295ELNS1_3gpuE0ELNS1_3repE0EEENS1_30default_config_static_selectorELNS0_4arch9wavefront6targetE0EEEvS14_.has_dyn_sized_stack, 0
	.set _ZN7rocprim17ROCPRIM_400000_NS6detail17trampoline_kernelINS0_14default_configENS1_22reduce_config_selectorIN6thrust23THRUST_200600_302600_NS5tupleIblNS6_9null_typeES8_S8_S8_S8_S8_S8_S8_EEEEZNS1_11reduce_implILb1ES3_NS6_12zip_iteratorINS7_INS6_11hip_rocprim26transform_input_iterator_tIbNSD_35transform_pair_of_input_iterators_tIbNS6_6detail15normal_iteratorINS6_10device_ptrIKxEEEESL_NS6_8equal_toIxEEEENSG_9not_fun_tINSD_8identityEEEEENSD_19counting_iterator_tIlEES8_S8_S8_S8_S8_S8_S8_S8_EEEEPS9_S9_NSD_9__find_if7functorIS9_EEEE10hipError_tPvRmT1_T2_T3_mT4_P12ihipStream_tbEUlT_E0_NS1_11comp_targetILNS1_3genE0ELNS1_11target_archE4294967295ELNS1_3gpuE0ELNS1_3repE0EEENS1_30default_config_static_selectorELNS0_4arch9wavefront6targetE0EEEvS14_.has_recursion, 0
	.set _ZN7rocprim17ROCPRIM_400000_NS6detail17trampoline_kernelINS0_14default_configENS1_22reduce_config_selectorIN6thrust23THRUST_200600_302600_NS5tupleIblNS6_9null_typeES8_S8_S8_S8_S8_S8_S8_EEEEZNS1_11reduce_implILb1ES3_NS6_12zip_iteratorINS7_INS6_11hip_rocprim26transform_input_iterator_tIbNSD_35transform_pair_of_input_iterators_tIbNS6_6detail15normal_iteratorINS6_10device_ptrIKxEEEESL_NS6_8equal_toIxEEEENSG_9not_fun_tINSD_8identityEEEEENSD_19counting_iterator_tIlEES8_S8_S8_S8_S8_S8_S8_S8_EEEEPS9_S9_NSD_9__find_if7functorIS9_EEEE10hipError_tPvRmT1_T2_T3_mT4_P12ihipStream_tbEUlT_E0_NS1_11comp_targetILNS1_3genE0ELNS1_11target_archE4294967295ELNS1_3gpuE0ELNS1_3repE0EEENS1_30default_config_static_selectorELNS0_4arch9wavefront6targetE0EEEvS14_.has_indirect_call, 0
	.section	.AMDGPU.csdata,"",@progbits
; Kernel info:
; codeLenInByte = 2828
; TotalNumSgprs: 30
; NumVgprs: 16
; ScratchSize: 0
; MemoryBound: 0
; FloatMode: 240
; IeeeMode: 1
; LDSByteSize: 128 bytes/workgroup (compile time only)
; SGPRBlocks: 0
; VGPRBlocks: 0
; NumSGPRsForWavesPerEU: 30
; NumVGPRsForWavesPerEU: 16
; NamedBarCnt: 0
; Occupancy: 16
; WaveLimiterHint : 0
; COMPUTE_PGM_RSRC2:SCRATCH_EN: 0
; COMPUTE_PGM_RSRC2:USER_SGPR: 2
; COMPUTE_PGM_RSRC2:TRAP_HANDLER: 0
; COMPUTE_PGM_RSRC2:TGID_X_EN: 1
; COMPUTE_PGM_RSRC2:TGID_Y_EN: 0
; COMPUTE_PGM_RSRC2:TGID_Z_EN: 0
; COMPUTE_PGM_RSRC2:TIDIG_COMP_CNT: 0
	.section	.text._ZN7rocprim17ROCPRIM_400000_NS6detail17trampoline_kernelINS0_14default_configENS1_22reduce_config_selectorIN6thrust23THRUST_200600_302600_NS5tupleIblNS6_9null_typeES8_S8_S8_S8_S8_S8_S8_EEEEZNS1_11reduce_implILb1ES3_NS6_12zip_iteratorINS7_INS6_11hip_rocprim26transform_input_iterator_tIbNSD_35transform_pair_of_input_iterators_tIbNS6_6detail15normal_iteratorINS6_10device_ptrIKxEEEESL_NS6_8equal_toIxEEEENSG_9not_fun_tINSD_8identityEEEEENSD_19counting_iterator_tIlEES8_S8_S8_S8_S8_S8_S8_S8_EEEEPS9_S9_NSD_9__find_if7functorIS9_EEEE10hipError_tPvRmT1_T2_T3_mT4_P12ihipStream_tbEUlT_E0_NS1_11comp_targetILNS1_3genE5ELNS1_11target_archE942ELNS1_3gpuE9ELNS1_3repE0EEENS1_30default_config_static_selectorELNS0_4arch9wavefront6targetE0EEEvS14_,"axG",@progbits,_ZN7rocprim17ROCPRIM_400000_NS6detail17trampoline_kernelINS0_14default_configENS1_22reduce_config_selectorIN6thrust23THRUST_200600_302600_NS5tupleIblNS6_9null_typeES8_S8_S8_S8_S8_S8_S8_EEEEZNS1_11reduce_implILb1ES3_NS6_12zip_iteratorINS7_INS6_11hip_rocprim26transform_input_iterator_tIbNSD_35transform_pair_of_input_iterators_tIbNS6_6detail15normal_iteratorINS6_10device_ptrIKxEEEESL_NS6_8equal_toIxEEEENSG_9not_fun_tINSD_8identityEEEEENSD_19counting_iterator_tIlEES8_S8_S8_S8_S8_S8_S8_S8_EEEEPS9_S9_NSD_9__find_if7functorIS9_EEEE10hipError_tPvRmT1_T2_T3_mT4_P12ihipStream_tbEUlT_E0_NS1_11comp_targetILNS1_3genE5ELNS1_11target_archE942ELNS1_3gpuE9ELNS1_3repE0EEENS1_30default_config_static_selectorELNS0_4arch9wavefront6targetE0EEEvS14_,comdat
	.protected	_ZN7rocprim17ROCPRIM_400000_NS6detail17trampoline_kernelINS0_14default_configENS1_22reduce_config_selectorIN6thrust23THRUST_200600_302600_NS5tupleIblNS6_9null_typeES8_S8_S8_S8_S8_S8_S8_EEEEZNS1_11reduce_implILb1ES3_NS6_12zip_iteratorINS7_INS6_11hip_rocprim26transform_input_iterator_tIbNSD_35transform_pair_of_input_iterators_tIbNS6_6detail15normal_iteratorINS6_10device_ptrIKxEEEESL_NS6_8equal_toIxEEEENSG_9not_fun_tINSD_8identityEEEEENSD_19counting_iterator_tIlEES8_S8_S8_S8_S8_S8_S8_S8_EEEEPS9_S9_NSD_9__find_if7functorIS9_EEEE10hipError_tPvRmT1_T2_T3_mT4_P12ihipStream_tbEUlT_E0_NS1_11comp_targetILNS1_3genE5ELNS1_11target_archE942ELNS1_3gpuE9ELNS1_3repE0EEENS1_30default_config_static_selectorELNS0_4arch9wavefront6targetE0EEEvS14_ ; -- Begin function _ZN7rocprim17ROCPRIM_400000_NS6detail17trampoline_kernelINS0_14default_configENS1_22reduce_config_selectorIN6thrust23THRUST_200600_302600_NS5tupleIblNS6_9null_typeES8_S8_S8_S8_S8_S8_S8_EEEEZNS1_11reduce_implILb1ES3_NS6_12zip_iteratorINS7_INS6_11hip_rocprim26transform_input_iterator_tIbNSD_35transform_pair_of_input_iterators_tIbNS6_6detail15normal_iteratorINS6_10device_ptrIKxEEEESL_NS6_8equal_toIxEEEENSG_9not_fun_tINSD_8identityEEEEENSD_19counting_iterator_tIlEES8_S8_S8_S8_S8_S8_S8_S8_EEEEPS9_S9_NSD_9__find_if7functorIS9_EEEE10hipError_tPvRmT1_T2_T3_mT4_P12ihipStream_tbEUlT_E0_NS1_11comp_targetILNS1_3genE5ELNS1_11target_archE942ELNS1_3gpuE9ELNS1_3repE0EEENS1_30default_config_static_selectorELNS0_4arch9wavefront6targetE0EEEvS14_
	.globl	_ZN7rocprim17ROCPRIM_400000_NS6detail17trampoline_kernelINS0_14default_configENS1_22reduce_config_selectorIN6thrust23THRUST_200600_302600_NS5tupleIblNS6_9null_typeES8_S8_S8_S8_S8_S8_S8_EEEEZNS1_11reduce_implILb1ES3_NS6_12zip_iteratorINS7_INS6_11hip_rocprim26transform_input_iterator_tIbNSD_35transform_pair_of_input_iterators_tIbNS6_6detail15normal_iteratorINS6_10device_ptrIKxEEEESL_NS6_8equal_toIxEEEENSG_9not_fun_tINSD_8identityEEEEENSD_19counting_iterator_tIlEES8_S8_S8_S8_S8_S8_S8_S8_EEEEPS9_S9_NSD_9__find_if7functorIS9_EEEE10hipError_tPvRmT1_T2_T3_mT4_P12ihipStream_tbEUlT_E0_NS1_11comp_targetILNS1_3genE5ELNS1_11target_archE942ELNS1_3gpuE9ELNS1_3repE0EEENS1_30default_config_static_selectorELNS0_4arch9wavefront6targetE0EEEvS14_
	.p2align	8
	.type	_ZN7rocprim17ROCPRIM_400000_NS6detail17trampoline_kernelINS0_14default_configENS1_22reduce_config_selectorIN6thrust23THRUST_200600_302600_NS5tupleIblNS6_9null_typeES8_S8_S8_S8_S8_S8_S8_EEEEZNS1_11reduce_implILb1ES3_NS6_12zip_iteratorINS7_INS6_11hip_rocprim26transform_input_iterator_tIbNSD_35transform_pair_of_input_iterators_tIbNS6_6detail15normal_iteratorINS6_10device_ptrIKxEEEESL_NS6_8equal_toIxEEEENSG_9not_fun_tINSD_8identityEEEEENSD_19counting_iterator_tIlEES8_S8_S8_S8_S8_S8_S8_S8_EEEEPS9_S9_NSD_9__find_if7functorIS9_EEEE10hipError_tPvRmT1_T2_T3_mT4_P12ihipStream_tbEUlT_E0_NS1_11comp_targetILNS1_3genE5ELNS1_11target_archE942ELNS1_3gpuE9ELNS1_3repE0EEENS1_30default_config_static_selectorELNS0_4arch9wavefront6targetE0EEEvS14_,@function
_ZN7rocprim17ROCPRIM_400000_NS6detail17trampoline_kernelINS0_14default_configENS1_22reduce_config_selectorIN6thrust23THRUST_200600_302600_NS5tupleIblNS6_9null_typeES8_S8_S8_S8_S8_S8_S8_EEEEZNS1_11reduce_implILb1ES3_NS6_12zip_iteratorINS7_INS6_11hip_rocprim26transform_input_iterator_tIbNSD_35transform_pair_of_input_iterators_tIbNS6_6detail15normal_iteratorINS6_10device_ptrIKxEEEESL_NS6_8equal_toIxEEEENSG_9not_fun_tINSD_8identityEEEEENSD_19counting_iterator_tIlEES8_S8_S8_S8_S8_S8_S8_S8_EEEEPS9_S9_NSD_9__find_if7functorIS9_EEEE10hipError_tPvRmT1_T2_T3_mT4_P12ihipStream_tbEUlT_E0_NS1_11comp_targetILNS1_3genE5ELNS1_11target_archE942ELNS1_3gpuE9ELNS1_3repE0EEENS1_30default_config_static_selectorELNS0_4arch9wavefront6targetE0EEEvS14_: ; @_ZN7rocprim17ROCPRIM_400000_NS6detail17trampoline_kernelINS0_14default_configENS1_22reduce_config_selectorIN6thrust23THRUST_200600_302600_NS5tupleIblNS6_9null_typeES8_S8_S8_S8_S8_S8_S8_EEEEZNS1_11reduce_implILb1ES3_NS6_12zip_iteratorINS7_INS6_11hip_rocprim26transform_input_iterator_tIbNSD_35transform_pair_of_input_iterators_tIbNS6_6detail15normal_iteratorINS6_10device_ptrIKxEEEESL_NS6_8equal_toIxEEEENSG_9not_fun_tINSD_8identityEEEEENSD_19counting_iterator_tIlEES8_S8_S8_S8_S8_S8_S8_S8_EEEEPS9_S9_NSD_9__find_if7functorIS9_EEEE10hipError_tPvRmT1_T2_T3_mT4_P12ihipStream_tbEUlT_E0_NS1_11comp_targetILNS1_3genE5ELNS1_11target_archE942ELNS1_3gpuE9ELNS1_3repE0EEENS1_30default_config_static_selectorELNS0_4arch9wavefront6targetE0EEEvS14_
; %bb.0:
	.section	.rodata,"a",@progbits
	.p2align	6, 0x0
	.amdhsa_kernel _ZN7rocprim17ROCPRIM_400000_NS6detail17trampoline_kernelINS0_14default_configENS1_22reduce_config_selectorIN6thrust23THRUST_200600_302600_NS5tupleIblNS6_9null_typeES8_S8_S8_S8_S8_S8_S8_EEEEZNS1_11reduce_implILb1ES3_NS6_12zip_iteratorINS7_INS6_11hip_rocprim26transform_input_iterator_tIbNSD_35transform_pair_of_input_iterators_tIbNS6_6detail15normal_iteratorINS6_10device_ptrIKxEEEESL_NS6_8equal_toIxEEEENSG_9not_fun_tINSD_8identityEEEEENSD_19counting_iterator_tIlEES8_S8_S8_S8_S8_S8_S8_S8_EEEEPS9_S9_NSD_9__find_if7functorIS9_EEEE10hipError_tPvRmT1_T2_T3_mT4_P12ihipStream_tbEUlT_E0_NS1_11comp_targetILNS1_3genE5ELNS1_11target_archE942ELNS1_3gpuE9ELNS1_3repE0EEENS1_30default_config_static_selectorELNS0_4arch9wavefront6targetE0EEEvS14_
		.amdhsa_group_segment_fixed_size 0
		.amdhsa_private_segment_fixed_size 0
		.amdhsa_kernarg_size 104
		.amdhsa_user_sgpr_count 2
		.amdhsa_user_sgpr_dispatch_ptr 0
		.amdhsa_user_sgpr_queue_ptr 0
		.amdhsa_user_sgpr_kernarg_segment_ptr 1
		.amdhsa_user_sgpr_dispatch_id 0
		.amdhsa_user_sgpr_kernarg_preload_length 0
		.amdhsa_user_sgpr_kernarg_preload_offset 0
		.amdhsa_user_sgpr_private_segment_size 0
		.amdhsa_wavefront_size32 1
		.amdhsa_uses_dynamic_stack 0
		.amdhsa_enable_private_segment 0
		.amdhsa_system_sgpr_workgroup_id_x 1
		.amdhsa_system_sgpr_workgroup_id_y 0
		.amdhsa_system_sgpr_workgroup_id_z 0
		.amdhsa_system_sgpr_workgroup_info 0
		.amdhsa_system_vgpr_workitem_id 0
		.amdhsa_next_free_vgpr 1
		.amdhsa_next_free_sgpr 1
		.amdhsa_named_barrier_count 0
		.amdhsa_reserve_vcc 0
		.amdhsa_float_round_mode_32 0
		.amdhsa_float_round_mode_16_64 0
		.amdhsa_float_denorm_mode_32 3
		.amdhsa_float_denorm_mode_16_64 3
		.amdhsa_fp16_overflow 0
		.amdhsa_memory_ordered 1
		.amdhsa_forward_progress 1
		.amdhsa_inst_pref_size 0
		.amdhsa_round_robin_scheduling 0
		.amdhsa_exception_fp_ieee_invalid_op 0
		.amdhsa_exception_fp_denorm_src 0
		.amdhsa_exception_fp_ieee_div_zero 0
		.amdhsa_exception_fp_ieee_overflow 0
		.amdhsa_exception_fp_ieee_underflow 0
		.amdhsa_exception_fp_ieee_inexact 0
		.amdhsa_exception_int_div_zero 0
	.end_amdhsa_kernel
	.section	.text._ZN7rocprim17ROCPRIM_400000_NS6detail17trampoline_kernelINS0_14default_configENS1_22reduce_config_selectorIN6thrust23THRUST_200600_302600_NS5tupleIblNS6_9null_typeES8_S8_S8_S8_S8_S8_S8_EEEEZNS1_11reduce_implILb1ES3_NS6_12zip_iteratorINS7_INS6_11hip_rocprim26transform_input_iterator_tIbNSD_35transform_pair_of_input_iterators_tIbNS6_6detail15normal_iteratorINS6_10device_ptrIKxEEEESL_NS6_8equal_toIxEEEENSG_9not_fun_tINSD_8identityEEEEENSD_19counting_iterator_tIlEES8_S8_S8_S8_S8_S8_S8_S8_EEEEPS9_S9_NSD_9__find_if7functorIS9_EEEE10hipError_tPvRmT1_T2_T3_mT4_P12ihipStream_tbEUlT_E0_NS1_11comp_targetILNS1_3genE5ELNS1_11target_archE942ELNS1_3gpuE9ELNS1_3repE0EEENS1_30default_config_static_selectorELNS0_4arch9wavefront6targetE0EEEvS14_,"axG",@progbits,_ZN7rocprim17ROCPRIM_400000_NS6detail17trampoline_kernelINS0_14default_configENS1_22reduce_config_selectorIN6thrust23THRUST_200600_302600_NS5tupleIblNS6_9null_typeES8_S8_S8_S8_S8_S8_S8_EEEEZNS1_11reduce_implILb1ES3_NS6_12zip_iteratorINS7_INS6_11hip_rocprim26transform_input_iterator_tIbNSD_35transform_pair_of_input_iterators_tIbNS6_6detail15normal_iteratorINS6_10device_ptrIKxEEEESL_NS6_8equal_toIxEEEENSG_9not_fun_tINSD_8identityEEEEENSD_19counting_iterator_tIlEES8_S8_S8_S8_S8_S8_S8_S8_EEEEPS9_S9_NSD_9__find_if7functorIS9_EEEE10hipError_tPvRmT1_T2_T3_mT4_P12ihipStream_tbEUlT_E0_NS1_11comp_targetILNS1_3genE5ELNS1_11target_archE942ELNS1_3gpuE9ELNS1_3repE0EEENS1_30default_config_static_selectorELNS0_4arch9wavefront6targetE0EEEvS14_,comdat
.Lfunc_end226:
	.size	_ZN7rocprim17ROCPRIM_400000_NS6detail17trampoline_kernelINS0_14default_configENS1_22reduce_config_selectorIN6thrust23THRUST_200600_302600_NS5tupleIblNS6_9null_typeES8_S8_S8_S8_S8_S8_S8_EEEEZNS1_11reduce_implILb1ES3_NS6_12zip_iteratorINS7_INS6_11hip_rocprim26transform_input_iterator_tIbNSD_35transform_pair_of_input_iterators_tIbNS6_6detail15normal_iteratorINS6_10device_ptrIKxEEEESL_NS6_8equal_toIxEEEENSG_9not_fun_tINSD_8identityEEEEENSD_19counting_iterator_tIlEES8_S8_S8_S8_S8_S8_S8_S8_EEEEPS9_S9_NSD_9__find_if7functorIS9_EEEE10hipError_tPvRmT1_T2_T3_mT4_P12ihipStream_tbEUlT_E0_NS1_11comp_targetILNS1_3genE5ELNS1_11target_archE942ELNS1_3gpuE9ELNS1_3repE0EEENS1_30default_config_static_selectorELNS0_4arch9wavefront6targetE0EEEvS14_, .Lfunc_end226-_ZN7rocprim17ROCPRIM_400000_NS6detail17trampoline_kernelINS0_14default_configENS1_22reduce_config_selectorIN6thrust23THRUST_200600_302600_NS5tupleIblNS6_9null_typeES8_S8_S8_S8_S8_S8_S8_EEEEZNS1_11reduce_implILb1ES3_NS6_12zip_iteratorINS7_INS6_11hip_rocprim26transform_input_iterator_tIbNSD_35transform_pair_of_input_iterators_tIbNS6_6detail15normal_iteratorINS6_10device_ptrIKxEEEESL_NS6_8equal_toIxEEEENSG_9not_fun_tINSD_8identityEEEEENSD_19counting_iterator_tIlEES8_S8_S8_S8_S8_S8_S8_S8_EEEEPS9_S9_NSD_9__find_if7functorIS9_EEEE10hipError_tPvRmT1_T2_T3_mT4_P12ihipStream_tbEUlT_E0_NS1_11comp_targetILNS1_3genE5ELNS1_11target_archE942ELNS1_3gpuE9ELNS1_3repE0EEENS1_30default_config_static_selectorELNS0_4arch9wavefront6targetE0EEEvS14_
                                        ; -- End function
	.set _ZN7rocprim17ROCPRIM_400000_NS6detail17trampoline_kernelINS0_14default_configENS1_22reduce_config_selectorIN6thrust23THRUST_200600_302600_NS5tupleIblNS6_9null_typeES8_S8_S8_S8_S8_S8_S8_EEEEZNS1_11reduce_implILb1ES3_NS6_12zip_iteratorINS7_INS6_11hip_rocprim26transform_input_iterator_tIbNSD_35transform_pair_of_input_iterators_tIbNS6_6detail15normal_iteratorINS6_10device_ptrIKxEEEESL_NS6_8equal_toIxEEEENSG_9not_fun_tINSD_8identityEEEEENSD_19counting_iterator_tIlEES8_S8_S8_S8_S8_S8_S8_S8_EEEEPS9_S9_NSD_9__find_if7functorIS9_EEEE10hipError_tPvRmT1_T2_T3_mT4_P12ihipStream_tbEUlT_E0_NS1_11comp_targetILNS1_3genE5ELNS1_11target_archE942ELNS1_3gpuE9ELNS1_3repE0EEENS1_30default_config_static_selectorELNS0_4arch9wavefront6targetE0EEEvS14_.num_vgpr, 0
	.set _ZN7rocprim17ROCPRIM_400000_NS6detail17trampoline_kernelINS0_14default_configENS1_22reduce_config_selectorIN6thrust23THRUST_200600_302600_NS5tupleIblNS6_9null_typeES8_S8_S8_S8_S8_S8_S8_EEEEZNS1_11reduce_implILb1ES3_NS6_12zip_iteratorINS7_INS6_11hip_rocprim26transform_input_iterator_tIbNSD_35transform_pair_of_input_iterators_tIbNS6_6detail15normal_iteratorINS6_10device_ptrIKxEEEESL_NS6_8equal_toIxEEEENSG_9not_fun_tINSD_8identityEEEEENSD_19counting_iterator_tIlEES8_S8_S8_S8_S8_S8_S8_S8_EEEEPS9_S9_NSD_9__find_if7functorIS9_EEEE10hipError_tPvRmT1_T2_T3_mT4_P12ihipStream_tbEUlT_E0_NS1_11comp_targetILNS1_3genE5ELNS1_11target_archE942ELNS1_3gpuE9ELNS1_3repE0EEENS1_30default_config_static_selectorELNS0_4arch9wavefront6targetE0EEEvS14_.num_agpr, 0
	.set _ZN7rocprim17ROCPRIM_400000_NS6detail17trampoline_kernelINS0_14default_configENS1_22reduce_config_selectorIN6thrust23THRUST_200600_302600_NS5tupleIblNS6_9null_typeES8_S8_S8_S8_S8_S8_S8_EEEEZNS1_11reduce_implILb1ES3_NS6_12zip_iteratorINS7_INS6_11hip_rocprim26transform_input_iterator_tIbNSD_35transform_pair_of_input_iterators_tIbNS6_6detail15normal_iteratorINS6_10device_ptrIKxEEEESL_NS6_8equal_toIxEEEENSG_9not_fun_tINSD_8identityEEEEENSD_19counting_iterator_tIlEES8_S8_S8_S8_S8_S8_S8_S8_EEEEPS9_S9_NSD_9__find_if7functorIS9_EEEE10hipError_tPvRmT1_T2_T3_mT4_P12ihipStream_tbEUlT_E0_NS1_11comp_targetILNS1_3genE5ELNS1_11target_archE942ELNS1_3gpuE9ELNS1_3repE0EEENS1_30default_config_static_selectorELNS0_4arch9wavefront6targetE0EEEvS14_.numbered_sgpr, 0
	.set _ZN7rocprim17ROCPRIM_400000_NS6detail17trampoline_kernelINS0_14default_configENS1_22reduce_config_selectorIN6thrust23THRUST_200600_302600_NS5tupleIblNS6_9null_typeES8_S8_S8_S8_S8_S8_S8_EEEEZNS1_11reduce_implILb1ES3_NS6_12zip_iteratorINS7_INS6_11hip_rocprim26transform_input_iterator_tIbNSD_35transform_pair_of_input_iterators_tIbNS6_6detail15normal_iteratorINS6_10device_ptrIKxEEEESL_NS6_8equal_toIxEEEENSG_9not_fun_tINSD_8identityEEEEENSD_19counting_iterator_tIlEES8_S8_S8_S8_S8_S8_S8_S8_EEEEPS9_S9_NSD_9__find_if7functorIS9_EEEE10hipError_tPvRmT1_T2_T3_mT4_P12ihipStream_tbEUlT_E0_NS1_11comp_targetILNS1_3genE5ELNS1_11target_archE942ELNS1_3gpuE9ELNS1_3repE0EEENS1_30default_config_static_selectorELNS0_4arch9wavefront6targetE0EEEvS14_.num_named_barrier, 0
	.set _ZN7rocprim17ROCPRIM_400000_NS6detail17trampoline_kernelINS0_14default_configENS1_22reduce_config_selectorIN6thrust23THRUST_200600_302600_NS5tupleIblNS6_9null_typeES8_S8_S8_S8_S8_S8_S8_EEEEZNS1_11reduce_implILb1ES3_NS6_12zip_iteratorINS7_INS6_11hip_rocprim26transform_input_iterator_tIbNSD_35transform_pair_of_input_iterators_tIbNS6_6detail15normal_iteratorINS6_10device_ptrIKxEEEESL_NS6_8equal_toIxEEEENSG_9not_fun_tINSD_8identityEEEEENSD_19counting_iterator_tIlEES8_S8_S8_S8_S8_S8_S8_S8_EEEEPS9_S9_NSD_9__find_if7functorIS9_EEEE10hipError_tPvRmT1_T2_T3_mT4_P12ihipStream_tbEUlT_E0_NS1_11comp_targetILNS1_3genE5ELNS1_11target_archE942ELNS1_3gpuE9ELNS1_3repE0EEENS1_30default_config_static_selectorELNS0_4arch9wavefront6targetE0EEEvS14_.private_seg_size, 0
	.set _ZN7rocprim17ROCPRIM_400000_NS6detail17trampoline_kernelINS0_14default_configENS1_22reduce_config_selectorIN6thrust23THRUST_200600_302600_NS5tupleIblNS6_9null_typeES8_S8_S8_S8_S8_S8_S8_EEEEZNS1_11reduce_implILb1ES3_NS6_12zip_iteratorINS7_INS6_11hip_rocprim26transform_input_iterator_tIbNSD_35transform_pair_of_input_iterators_tIbNS6_6detail15normal_iteratorINS6_10device_ptrIKxEEEESL_NS6_8equal_toIxEEEENSG_9not_fun_tINSD_8identityEEEEENSD_19counting_iterator_tIlEES8_S8_S8_S8_S8_S8_S8_S8_EEEEPS9_S9_NSD_9__find_if7functorIS9_EEEE10hipError_tPvRmT1_T2_T3_mT4_P12ihipStream_tbEUlT_E0_NS1_11comp_targetILNS1_3genE5ELNS1_11target_archE942ELNS1_3gpuE9ELNS1_3repE0EEENS1_30default_config_static_selectorELNS0_4arch9wavefront6targetE0EEEvS14_.uses_vcc, 0
	.set _ZN7rocprim17ROCPRIM_400000_NS6detail17trampoline_kernelINS0_14default_configENS1_22reduce_config_selectorIN6thrust23THRUST_200600_302600_NS5tupleIblNS6_9null_typeES8_S8_S8_S8_S8_S8_S8_EEEEZNS1_11reduce_implILb1ES3_NS6_12zip_iteratorINS7_INS6_11hip_rocprim26transform_input_iterator_tIbNSD_35transform_pair_of_input_iterators_tIbNS6_6detail15normal_iteratorINS6_10device_ptrIKxEEEESL_NS6_8equal_toIxEEEENSG_9not_fun_tINSD_8identityEEEEENSD_19counting_iterator_tIlEES8_S8_S8_S8_S8_S8_S8_S8_EEEEPS9_S9_NSD_9__find_if7functorIS9_EEEE10hipError_tPvRmT1_T2_T3_mT4_P12ihipStream_tbEUlT_E0_NS1_11comp_targetILNS1_3genE5ELNS1_11target_archE942ELNS1_3gpuE9ELNS1_3repE0EEENS1_30default_config_static_selectorELNS0_4arch9wavefront6targetE0EEEvS14_.uses_flat_scratch, 0
	.set _ZN7rocprim17ROCPRIM_400000_NS6detail17trampoline_kernelINS0_14default_configENS1_22reduce_config_selectorIN6thrust23THRUST_200600_302600_NS5tupleIblNS6_9null_typeES8_S8_S8_S8_S8_S8_S8_EEEEZNS1_11reduce_implILb1ES3_NS6_12zip_iteratorINS7_INS6_11hip_rocprim26transform_input_iterator_tIbNSD_35transform_pair_of_input_iterators_tIbNS6_6detail15normal_iteratorINS6_10device_ptrIKxEEEESL_NS6_8equal_toIxEEEENSG_9not_fun_tINSD_8identityEEEEENSD_19counting_iterator_tIlEES8_S8_S8_S8_S8_S8_S8_S8_EEEEPS9_S9_NSD_9__find_if7functorIS9_EEEE10hipError_tPvRmT1_T2_T3_mT4_P12ihipStream_tbEUlT_E0_NS1_11comp_targetILNS1_3genE5ELNS1_11target_archE942ELNS1_3gpuE9ELNS1_3repE0EEENS1_30default_config_static_selectorELNS0_4arch9wavefront6targetE0EEEvS14_.has_dyn_sized_stack, 0
	.set _ZN7rocprim17ROCPRIM_400000_NS6detail17trampoline_kernelINS0_14default_configENS1_22reduce_config_selectorIN6thrust23THRUST_200600_302600_NS5tupleIblNS6_9null_typeES8_S8_S8_S8_S8_S8_S8_EEEEZNS1_11reduce_implILb1ES3_NS6_12zip_iteratorINS7_INS6_11hip_rocprim26transform_input_iterator_tIbNSD_35transform_pair_of_input_iterators_tIbNS6_6detail15normal_iteratorINS6_10device_ptrIKxEEEESL_NS6_8equal_toIxEEEENSG_9not_fun_tINSD_8identityEEEEENSD_19counting_iterator_tIlEES8_S8_S8_S8_S8_S8_S8_S8_EEEEPS9_S9_NSD_9__find_if7functorIS9_EEEE10hipError_tPvRmT1_T2_T3_mT4_P12ihipStream_tbEUlT_E0_NS1_11comp_targetILNS1_3genE5ELNS1_11target_archE942ELNS1_3gpuE9ELNS1_3repE0EEENS1_30default_config_static_selectorELNS0_4arch9wavefront6targetE0EEEvS14_.has_recursion, 0
	.set _ZN7rocprim17ROCPRIM_400000_NS6detail17trampoline_kernelINS0_14default_configENS1_22reduce_config_selectorIN6thrust23THRUST_200600_302600_NS5tupleIblNS6_9null_typeES8_S8_S8_S8_S8_S8_S8_EEEEZNS1_11reduce_implILb1ES3_NS6_12zip_iteratorINS7_INS6_11hip_rocprim26transform_input_iterator_tIbNSD_35transform_pair_of_input_iterators_tIbNS6_6detail15normal_iteratorINS6_10device_ptrIKxEEEESL_NS6_8equal_toIxEEEENSG_9not_fun_tINSD_8identityEEEEENSD_19counting_iterator_tIlEES8_S8_S8_S8_S8_S8_S8_S8_EEEEPS9_S9_NSD_9__find_if7functorIS9_EEEE10hipError_tPvRmT1_T2_T3_mT4_P12ihipStream_tbEUlT_E0_NS1_11comp_targetILNS1_3genE5ELNS1_11target_archE942ELNS1_3gpuE9ELNS1_3repE0EEENS1_30default_config_static_selectorELNS0_4arch9wavefront6targetE0EEEvS14_.has_indirect_call, 0
	.section	.AMDGPU.csdata,"",@progbits
; Kernel info:
; codeLenInByte = 0
; TotalNumSgprs: 0
; NumVgprs: 0
; ScratchSize: 0
; MemoryBound: 0
; FloatMode: 240
; IeeeMode: 1
; LDSByteSize: 0 bytes/workgroup (compile time only)
; SGPRBlocks: 0
; VGPRBlocks: 0
; NumSGPRsForWavesPerEU: 1
; NumVGPRsForWavesPerEU: 1
; NamedBarCnt: 0
; Occupancy: 16
; WaveLimiterHint : 0
; COMPUTE_PGM_RSRC2:SCRATCH_EN: 0
; COMPUTE_PGM_RSRC2:USER_SGPR: 2
; COMPUTE_PGM_RSRC2:TRAP_HANDLER: 0
; COMPUTE_PGM_RSRC2:TGID_X_EN: 1
; COMPUTE_PGM_RSRC2:TGID_Y_EN: 0
; COMPUTE_PGM_RSRC2:TGID_Z_EN: 0
; COMPUTE_PGM_RSRC2:TIDIG_COMP_CNT: 0
	.section	.text._ZN7rocprim17ROCPRIM_400000_NS6detail17trampoline_kernelINS0_14default_configENS1_22reduce_config_selectorIN6thrust23THRUST_200600_302600_NS5tupleIblNS6_9null_typeES8_S8_S8_S8_S8_S8_S8_EEEEZNS1_11reduce_implILb1ES3_NS6_12zip_iteratorINS7_INS6_11hip_rocprim26transform_input_iterator_tIbNSD_35transform_pair_of_input_iterators_tIbNS6_6detail15normal_iteratorINS6_10device_ptrIKxEEEESL_NS6_8equal_toIxEEEENSG_9not_fun_tINSD_8identityEEEEENSD_19counting_iterator_tIlEES8_S8_S8_S8_S8_S8_S8_S8_EEEEPS9_S9_NSD_9__find_if7functorIS9_EEEE10hipError_tPvRmT1_T2_T3_mT4_P12ihipStream_tbEUlT_E0_NS1_11comp_targetILNS1_3genE4ELNS1_11target_archE910ELNS1_3gpuE8ELNS1_3repE0EEENS1_30default_config_static_selectorELNS0_4arch9wavefront6targetE0EEEvS14_,"axG",@progbits,_ZN7rocprim17ROCPRIM_400000_NS6detail17trampoline_kernelINS0_14default_configENS1_22reduce_config_selectorIN6thrust23THRUST_200600_302600_NS5tupleIblNS6_9null_typeES8_S8_S8_S8_S8_S8_S8_EEEEZNS1_11reduce_implILb1ES3_NS6_12zip_iteratorINS7_INS6_11hip_rocprim26transform_input_iterator_tIbNSD_35transform_pair_of_input_iterators_tIbNS6_6detail15normal_iteratorINS6_10device_ptrIKxEEEESL_NS6_8equal_toIxEEEENSG_9not_fun_tINSD_8identityEEEEENSD_19counting_iterator_tIlEES8_S8_S8_S8_S8_S8_S8_S8_EEEEPS9_S9_NSD_9__find_if7functorIS9_EEEE10hipError_tPvRmT1_T2_T3_mT4_P12ihipStream_tbEUlT_E0_NS1_11comp_targetILNS1_3genE4ELNS1_11target_archE910ELNS1_3gpuE8ELNS1_3repE0EEENS1_30default_config_static_selectorELNS0_4arch9wavefront6targetE0EEEvS14_,comdat
	.protected	_ZN7rocprim17ROCPRIM_400000_NS6detail17trampoline_kernelINS0_14default_configENS1_22reduce_config_selectorIN6thrust23THRUST_200600_302600_NS5tupleIblNS6_9null_typeES8_S8_S8_S8_S8_S8_S8_EEEEZNS1_11reduce_implILb1ES3_NS6_12zip_iteratorINS7_INS6_11hip_rocprim26transform_input_iterator_tIbNSD_35transform_pair_of_input_iterators_tIbNS6_6detail15normal_iteratorINS6_10device_ptrIKxEEEESL_NS6_8equal_toIxEEEENSG_9not_fun_tINSD_8identityEEEEENSD_19counting_iterator_tIlEES8_S8_S8_S8_S8_S8_S8_S8_EEEEPS9_S9_NSD_9__find_if7functorIS9_EEEE10hipError_tPvRmT1_T2_T3_mT4_P12ihipStream_tbEUlT_E0_NS1_11comp_targetILNS1_3genE4ELNS1_11target_archE910ELNS1_3gpuE8ELNS1_3repE0EEENS1_30default_config_static_selectorELNS0_4arch9wavefront6targetE0EEEvS14_ ; -- Begin function _ZN7rocprim17ROCPRIM_400000_NS6detail17trampoline_kernelINS0_14default_configENS1_22reduce_config_selectorIN6thrust23THRUST_200600_302600_NS5tupleIblNS6_9null_typeES8_S8_S8_S8_S8_S8_S8_EEEEZNS1_11reduce_implILb1ES3_NS6_12zip_iteratorINS7_INS6_11hip_rocprim26transform_input_iterator_tIbNSD_35transform_pair_of_input_iterators_tIbNS6_6detail15normal_iteratorINS6_10device_ptrIKxEEEESL_NS6_8equal_toIxEEEENSG_9not_fun_tINSD_8identityEEEEENSD_19counting_iterator_tIlEES8_S8_S8_S8_S8_S8_S8_S8_EEEEPS9_S9_NSD_9__find_if7functorIS9_EEEE10hipError_tPvRmT1_T2_T3_mT4_P12ihipStream_tbEUlT_E0_NS1_11comp_targetILNS1_3genE4ELNS1_11target_archE910ELNS1_3gpuE8ELNS1_3repE0EEENS1_30default_config_static_selectorELNS0_4arch9wavefront6targetE0EEEvS14_
	.globl	_ZN7rocprim17ROCPRIM_400000_NS6detail17trampoline_kernelINS0_14default_configENS1_22reduce_config_selectorIN6thrust23THRUST_200600_302600_NS5tupleIblNS6_9null_typeES8_S8_S8_S8_S8_S8_S8_EEEEZNS1_11reduce_implILb1ES3_NS6_12zip_iteratorINS7_INS6_11hip_rocprim26transform_input_iterator_tIbNSD_35transform_pair_of_input_iterators_tIbNS6_6detail15normal_iteratorINS6_10device_ptrIKxEEEESL_NS6_8equal_toIxEEEENSG_9not_fun_tINSD_8identityEEEEENSD_19counting_iterator_tIlEES8_S8_S8_S8_S8_S8_S8_S8_EEEEPS9_S9_NSD_9__find_if7functorIS9_EEEE10hipError_tPvRmT1_T2_T3_mT4_P12ihipStream_tbEUlT_E0_NS1_11comp_targetILNS1_3genE4ELNS1_11target_archE910ELNS1_3gpuE8ELNS1_3repE0EEENS1_30default_config_static_selectorELNS0_4arch9wavefront6targetE0EEEvS14_
	.p2align	8
	.type	_ZN7rocprim17ROCPRIM_400000_NS6detail17trampoline_kernelINS0_14default_configENS1_22reduce_config_selectorIN6thrust23THRUST_200600_302600_NS5tupleIblNS6_9null_typeES8_S8_S8_S8_S8_S8_S8_EEEEZNS1_11reduce_implILb1ES3_NS6_12zip_iteratorINS7_INS6_11hip_rocprim26transform_input_iterator_tIbNSD_35transform_pair_of_input_iterators_tIbNS6_6detail15normal_iteratorINS6_10device_ptrIKxEEEESL_NS6_8equal_toIxEEEENSG_9not_fun_tINSD_8identityEEEEENSD_19counting_iterator_tIlEES8_S8_S8_S8_S8_S8_S8_S8_EEEEPS9_S9_NSD_9__find_if7functorIS9_EEEE10hipError_tPvRmT1_T2_T3_mT4_P12ihipStream_tbEUlT_E0_NS1_11comp_targetILNS1_3genE4ELNS1_11target_archE910ELNS1_3gpuE8ELNS1_3repE0EEENS1_30default_config_static_selectorELNS0_4arch9wavefront6targetE0EEEvS14_,@function
_ZN7rocprim17ROCPRIM_400000_NS6detail17trampoline_kernelINS0_14default_configENS1_22reduce_config_selectorIN6thrust23THRUST_200600_302600_NS5tupleIblNS6_9null_typeES8_S8_S8_S8_S8_S8_S8_EEEEZNS1_11reduce_implILb1ES3_NS6_12zip_iteratorINS7_INS6_11hip_rocprim26transform_input_iterator_tIbNSD_35transform_pair_of_input_iterators_tIbNS6_6detail15normal_iteratorINS6_10device_ptrIKxEEEESL_NS6_8equal_toIxEEEENSG_9not_fun_tINSD_8identityEEEEENSD_19counting_iterator_tIlEES8_S8_S8_S8_S8_S8_S8_S8_EEEEPS9_S9_NSD_9__find_if7functorIS9_EEEE10hipError_tPvRmT1_T2_T3_mT4_P12ihipStream_tbEUlT_E0_NS1_11comp_targetILNS1_3genE4ELNS1_11target_archE910ELNS1_3gpuE8ELNS1_3repE0EEENS1_30default_config_static_selectorELNS0_4arch9wavefront6targetE0EEEvS14_: ; @_ZN7rocprim17ROCPRIM_400000_NS6detail17trampoline_kernelINS0_14default_configENS1_22reduce_config_selectorIN6thrust23THRUST_200600_302600_NS5tupleIblNS6_9null_typeES8_S8_S8_S8_S8_S8_S8_EEEEZNS1_11reduce_implILb1ES3_NS6_12zip_iteratorINS7_INS6_11hip_rocprim26transform_input_iterator_tIbNSD_35transform_pair_of_input_iterators_tIbNS6_6detail15normal_iteratorINS6_10device_ptrIKxEEEESL_NS6_8equal_toIxEEEENSG_9not_fun_tINSD_8identityEEEEENSD_19counting_iterator_tIlEES8_S8_S8_S8_S8_S8_S8_S8_EEEEPS9_S9_NSD_9__find_if7functorIS9_EEEE10hipError_tPvRmT1_T2_T3_mT4_P12ihipStream_tbEUlT_E0_NS1_11comp_targetILNS1_3genE4ELNS1_11target_archE910ELNS1_3gpuE8ELNS1_3repE0EEENS1_30default_config_static_selectorELNS0_4arch9wavefront6targetE0EEEvS14_
; %bb.0:
	.section	.rodata,"a",@progbits
	.p2align	6, 0x0
	.amdhsa_kernel _ZN7rocprim17ROCPRIM_400000_NS6detail17trampoline_kernelINS0_14default_configENS1_22reduce_config_selectorIN6thrust23THRUST_200600_302600_NS5tupleIblNS6_9null_typeES8_S8_S8_S8_S8_S8_S8_EEEEZNS1_11reduce_implILb1ES3_NS6_12zip_iteratorINS7_INS6_11hip_rocprim26transform_input_iterator_tIbNSD_35transform_pair_of_input_iterators_tIbNS6_6detail15normal_iteratorINS6_10device_ptrIKxEEEESL_NS6_8equal_toIxEEEENSG_9not_fun_tINSD_8identityEEEEENSD_19counting_iterator_tIlEES8_S8_S8_S8_S8_S8_S8_S8_EEEEPS9_S9_NSD_9__find_if7functorIS9_EEEE10hipError_tPvRmT1_T2_T3_mT4_P12ihipStream_tbEUlT_E0_NS1_11comp_targetILNS1_3genE4ELNS1_11target_archE910ELNS1_3gpuE8ELNS1_3repE0EEENS1_30default_config_static_selectorELNS0_4arch9wavefront6targetE0EEEvS14_
		.amdhsa_group_segment_fixed_size 0
		.amdhsa_private_segment_fixed_size 0
		.amdhsa_kernarg_size 104
		.amdhsa_user_sgpr_count 2
		.amdhsa_user_sgpr_dispatch_ptr 0
		.amdhsa_user_sgpr_queue_ptr 0
		.amdhsa_user_sgpr_kernarg_segment_ptr 1
		.amdhsa_user_sgpr_dispatch_id 0
		.amdhsa_user_sgpr_kernarg_preload_length 0
		.amdhsa_user_sgpr_kernarg_preload_offset 0
		.amdhsa_user_sgpr_private_segment_size 0
		.amdhsa_wavefront_size32 1
		.amdhsa_uses_dynamic_stack 0
		.amdhsa_enable_private_segment 0
		.amdhsa_system_sgpr_workgroup_id_x 1
		.amdhsa_system_sgpr_workgroup_id_y 0
		.amdhsa_system_sgpr_workgroup_id_z 0
		.amdhsa_system_sgpr_workgroup_info 0
		.amdhsa_system_vgpr_workitem_id 0
		.amdhsa_next_free_vgpr 1
		.amdhsa_next_free_sgpr 1
		.amdhsa_named_barrier_count 0
		.amdhsa_reserve_vcc 0
		.amdhsa_float_round_mode_32 0
		.amdhsa_float_round_mode_16_64 0
		.amdhsa_float_denorm_mode_32 3
		.amdhsa_float_denorm_mode_16_64 3
		.amdhsa_fp16_overflow 0
		.amdhsa_memory_ordered 1
		.amdhsa_forward_progress 1
		.amdhsa_inst_pref_size 0
		.amdhsa_round_robin_scheduling 0
		.amdhsa_exception_fp_ieee_invalid_op 0
		.amdhsa_exception_fp_denorm_src 0
		.amdhsa_exception_fp_ieee_div_zero 0
		.amdhsa_exception_fp_ieee_overflow 0
		.amdhsa_exception_fp_ieee_underflow 0
		.amdhsa_exception_fp_ieee_inexact 0
		.amdhsa_exception_int_div_zero 0
	.end_amdhsa_kernel
	.section	.text._ZN7rocprim17ROCPRIM_400000_NS6detail17trampoline_kernelINS0_14default_configENS1_22reduce_config_selectorIN6thrust23THRUST_200600_302600_NS5tupleIblNS6_9null_typeES8_S8_S8_S8_S8_S8_S8_EEEEZNS1_11reduce_implILb1ES3_NS6_12zip_iteratorINS7_INS6_11hip_rocprim26transform_input_iterator_tIbNSD_35transform_pair_of_input_iterators_tIbNS6_6detail15normal_iteratorINS6_10device_ptrIKxEEEESL_NS6_8equal_toIxEEEENSG_9not_fun_tINSD_8identityEEEEENSD_19counting_iterator_tIlEES8_S8_S8_S8_S8_S8_S8_S8_EEEEPS9_S9_NSD_9__find_if7functorIS9_EEEE10hipError_tPvRmT1_T2_T3_mT4_P12ihipStream_tbEUlT_E0_NS1_11comp_targetILNS1_3genE4ELNS1_11target_archE910ELNS1_3gpuE8ELNS1_3repE0EEENS1_30default_config_static_selectorELNS0_4arch9wavefront6targetE0EEEvS14_,"axG",@progbits,_ZN7rocprim17ROCPRIM_400000_NS6detail17trampoline_kernelINS0_14default_configENS1_22reduce_config_selectorIN6thrust23THRUST_200600_302600_NS5tupleIblNS6_9null_typeES8_S8_S8_S8_S8_S8_S8_EEEEZNS1_11reduce_implILb1ES3_NS6_12zip_iteratorINS7_INS6_11hip_rocprim26transform_input_iterator_tIbNSD_35transform_pair_of_input_iterators_tIbNS6_6detail15normal_iteratorINS6_10device_ptrIKxEEEESL_NS6_8equal_toIxEEEENSG_9not_fun_tINSD_8identityEEEEENSD_19counting_iterator_tIlEES8_S8_S8_S8_S8_S8_S8_S8_EEEEPS9_S9_NSD_9__find_if7functorIS9_EEEE10hipError_tPvRmT1_T2_T3_mT4_P12ihipStream_tbEUlT_E0_NS1_11comp_targetILNS1_3genE4ELNS1_11target_archE910ELNS1_3gpuE8ELNS1_3repE0EEENS1_30default_config_static_selectorELNS0_4arch9wavefront6targetE0EEEvS14_,comdat
.Lfunc_end227:
	.size	_ZN7rocprim17ROCPRIM_400000_NS6detail17trampoline_kernelINS0_14default_configENS1_22reduce_config_selectorIN6thrust23THRUST_200600_302600_NS5tupleIblNS6_9null_typeES8_S8_S8_S8_S8_S8_S8_EEEEZNS1_11reduce_implILb1ES3_NS6_12zip_iteratorINS7_INS6_11hip_rocprim26transform_input_iterator_tIbNSD_35transform_pair_of_input_iterators_tIbNS6_6detail15normal_iteratorINS6_10device_ptrIKxEEEESL_NS6_8equal_toIxEEEENSG_9not_fun_tINSD_8identityEEEEENSD_19counting_iterator_tIlEES8_S8_S8_S8_S8_S8_S8_S8_EEEEPS9_S9_NSD_9__find_if7functorIS9_EEEE10hipError_tPvRmT1_T2_T3_mT4_P12ihipStream_tbEUlT_E0_NS1_11comp_targetILNS1_3genE4ELNS1_11target_archE910ELNS1_3gpuE8ELNS1_3repE0EEENS1_30default_config_static_selectorELNS0_4arch9wavefront6targetE0EEEvS14_, .Lfunc_end227-_ZN7rocprim17ROCPRIM_400000_NS6detail17trampoline_kernelINS0_14default_configENS1_22reduce_config_selectorIN6thrust23THRUST_200600_302600_NS5tupleIblNS6_9null_typeES8_S8_S8_S8_S8_S8_S8_EEEEZNS1_11reduce_implILb1ES3_NS6_12zip_iteratorINS7_INS6_11hip_rocprim26transform_input_iterator_tIbNSD_35transform_pair_of_input_iterators_tIbNS6_6detail15normal_iteratorINS6_10device_ptrIKxEEEESL_NS6_8equal_toIxEEEENSG_9not_fun_tINSD_8identityEEEEENSD_19counting_iterator_tIlEES8_S8_S8_S8_S8_S8_S8_S8_EEEEPS9_S9_NSD_9__find_if7functorIS9_EEEE10hipError_tPvRmT1_T2_T3_mT4_P12ihipStream_tbEUlT_E0_NS1_11comp_targetILNS1_3genE4ELNS1_11target_archE910ELNS1_3gpuE8ELNS1_3repE0EEENS1_30default_config_static_selectorELNS0_4arch9wavefront6targetE0EEEvS14_
                                        ; -- End function
	.set _ZN7rocprim17ROCPRIM_400000_NS6detail17trampoline_kernelINS0_14default_configENS1_22reduce_config_selectorIN6thrust23THRUST_200600_302600_NS5tupleIblNS6_9null_typeES8_S8_S8_S8_S8_S8_S8_EEEEZNS1_11reduce_implILb1ES3_NS6_12zip_iteratorINS7_INS6_11hip_rocprim26transform_input_iterator_tIbNSD_35transform_pair_of_input_iterators_tIbNS6_6detail15normal_iteratorINS6_10device_ptrIKxEEEESL_NS6_8equal_toIxEEEENSG_9not_fun_tINSD_8identityEEEEENSD_19counting_iterator_tIlEES8_S8_S8_S8_S8_S8_S8_S8_EEEEPS9_S9_NSD_9__find_if7functorIS9_EEEE10hipError_tPvRmT1_T2_T3_mT4_P12ihipStream_tbEUlT_E0_NS1_11comp_targetILNS1_3genE4ELNS1_11target_archE910ELNS1_3gpuE8ELNS1_3repE0EEENS1_30default_config_static_selectorELNS0_4arch9wavefront6targetE0EEEvS14_.num_vgpr, 0
	.set _ZN7rocprim17ROCPRIM_400000_NS6detail17trampoline_kernelINS0_14default_configENS1_22reduce_config_selectorIN6thrust23THRUST_200600_302600_NS5tupleIblNS6_9null_typeES8_S8_S8_S8_S8_S8_S8_EEEEZNS1_11reduce_implILb1ES3_NS6_12zip_iteratorINS7_INS6_11hip_rocprim26transform_input_iterator_tIbNSD_35transform_pair_of_input_iterators_tIbNS6_6detail15normal_iteratorINS6_10device_ptrIKxEEEESL_NS6_8equal_toIxEEEENSG_9not_fun_tINSD_8identityEEEEENSD_19counting_iterator_tIlEES8_S8_S8_S8_S8_S8_S8_S8_EEEEPS9_S9_NSD_9__find_if7functorIS9_EEEE10hipError_tPvRmT1_T2_T3_mT4_P12ihipStream_tbEUlT_E0_NS1_11comp_targetILNS1_3genE4ELNS1_11target_archE910ELNS1_3gpuE8ELNS1_3repE0EEENS1_30default_config_static_selectorELNS0_4arch9wavefront6targetE0EEEvS14_.num_agpr, 0
	.set _ZN7rocprim17ROCPRIM_400000_NS6detail17trampoline_kernelINS0_14default_configENS1_22reduce_config_selectorIN6thrust23THRUST_200600_302600_NS5tupleIblNS6_9null_typeES8_S8_S8_S8_S8_S8_S8_EEEEZNS1_11reduce_implILb1ES3_NS6_12zip_iteratorINS7_INS6_11hip_rocprim26transform_input_iterator_tIbNSD_35transform_pair_of_input_iterators_tIbNS6_6detail15normal_iteratorINS6_10device_ptrIKxEEEESL_NS6_8equal_toIxEEEENSG_9not_fun_tINSD_8identityEEEEENSD_19counting_iterator_tIlEES8_S8_S8_S8_S8_S8_S8_S8_EEEEPS9_S9_NSD_9__find_if7functorIS9_EEEE10hipError_tPvRmT1_T2_T3_mT4_P12ihipStream_tbEUlT_E0_NS1_11comp_targetILNS1_3genE4ELNS1_11target_archE910ELNS1_3gpuE8ELNS1_3repE0EEENS1_30default_config_static_selectorELNS0_4arch9wavefront6targetE0EEEvS14_.numbered_sgpr, 0
	.set _ZN7rocprim17ROCPRIM_400000_NS6detail17trampoline_kernelINS0_14default_configENS1_22reduce_config_selectorIN6thrust23THRUST_200600_302600_NS5tupleIblNS6_9null_typeES8_S8_S8_S8_S8_S8_S8_EEEEZNS1_11reduce_implILb1ES3_NS6_12zip_iteratorINS7_INS6_11hip_rocprim26transform_input_iterator_tIbNSD_35transform_pair_of_input_iterators_tIbNS6_6detail15normal_iteratorINS6_10device_ptrIKxEEEESL_NS6_8equal_toIxEEEENSG_9not_fun_tINSD_8identityEEEEENSD_19counting_iterator_tIlEES8_S8_S8_S8_S8_S8_S8_S8_EEEEPS9_S9_NSD_9__find_if7functorIS9_EEEE10hipError_tPvRmT1_T2_T3_mT4_P12ihipStream_tbEUlT_E0_NS1_11comp_targetILNS1_3genE4ELNS1_11target_archE910ELNS1_3gpuE8ELNS1_3repE0EEENS1_30default_config_static_selectorELNS0_4arch9wavefront6targetE0EEEvS14_.num_named_barrier, 0
	.set _ZN7rocprim17ROCPRIM_400000_NS6detail17trampoline_kernelINS0_14default_configENS1_22reduce_config_selectorIN6thrust23THRUST_200600_302600_NS5tupleIblNS6_9null_typeES8_S8_S8_S8_S8_S8_S8_EEEEZNS1_11reduce_implILb1ES3_NS6_12zip_iteratorINS7_INS6_11hip_rocprim26transform_input_iterator_tIbNSD_35transform_pair_of_input_iterators_tIbNS6_6detail15normal_iteratorINS6_10device_ptrIKxEEEESL_NS6_8equal_toIxEEEENSG_9not_fun_tINSD_8identityEEEEENSD_19counting_iterator_tIlEES8_S8_S8_S8_S8_S8_S8_S8_EEEEPS9_S9_NSD_9__find_if7functorIS9_EEEE10hipError_tPvRmT1_T2_T3_mT4_P12ihipStream_tbEUlT_E0_NS1_11comp_targetILNS1_3genE4ELNS1_11target_archE910ELNS1_3gpuE8ELNS1_3repE0EEENS1_30default_config_static_selectorELNS0_4arch9wavefront6targetE0EEEvS14_.private_seg_size, 0
	.set _ZN7rocprim17ROCPRIM_400000_NS6detail17trampoline_kernelINS0_14default_configENS1_22reduce_config_selectorIN6thrust23THRUST_200600_302600_NS5tupleIblNS6_9null_typeES8_S8_S8_S8_S8_S8_S8_EEEEZNS1_11reduce_implILb1ES3_NS6_12zip_iteratorINS7_INS6_11hip_rocprim26transform_input_iterator_tIbNSD_35transform_pair_of_input_iterators_tIbNS6_6detail15normal_iteratorINS6_10device_ptrIKxEEEESL_NS6_8equal_toIxEEEENSG_9not_fun_tINSD_8identityEEEEENSD_19counting_iterator_tIlEES8_S8_S8_S8_S8_S8_S8_S8_EEEEPS9_S9_NSD_9__find_if7functorIS9_EEEE10hipError_tPvRmT1_T2_T3_mT4_P12ihipStream_tbEUlT_E0_NS1_11comp_targetILNS1_3genE4ELNS1_11target_archE910ELNS1_3gpuE8ELNS1_3repE0EEENS1_30default_config_static_selectorELNS0_4arch9wavefront6targetE0EEEvS14_.uses_vcc, 0
	.set _ZN7rocprim17ROCPRIM_400000_NS6detail17trampoline_kernelINS0_14default_configENS1_22reduce_config_selectorIN6thrust23THRUST_200600_302600_NS5tupleIblNS6_9null_typeES8_S8_S8_S8_S8_S8_S8_EEEEZNS1_11reduce_implILb1ES3_NS6_12zip_iteratorINS7_INS6_11hip_rocprim26transform_input_iterator_tIbNSD_35transform_pair_of_input_iterators_tIbNS6_6detail15normal_iteratorINS6_10device_ptrIKxEEEESL_NS6_8equal_toIxEEEENSG_9not_fun_tINSD_8identityEEEEENSD_19counting_iterator_tIlEES8_S8_S8_S8_S8_S8_S8_S8_EEEEPS9_S9_NSD_9__find_if7functorIS9_EEEE10hipError_tPvRmT1_T2_T3_mT4_P12ihipStream_tbEUlT_E0_NS1_11comp_targetILNS1_3genE4ELNS1_11target_archE910ELNS1_3gpuE8ELNS1_3repE0EEENS1_30default_config_static_selectorELNS0_4arch9wavefront6targetE0EEEvS14_.uses_flat_scratch, 0
	.set _ZN7rocprim17ROCPRIM_400000_NS6detail17trampoline_kernelINS0_14default_configENS1_22reduce_config_selectorIN6thrust23THRUST_200600_302600_NS5tupleIblNS6_9null_typeES8_S8_S8_S8_S8_S8_S8_EEEEZNS1_11reduce_implILb1ES3_NS6_12zip_iteratorINS7_INS6_11hip_rocprim26transform_input_iterator_tIbNSD_35transform_pair_of_input_iterators_tIbNS6_6detail15normal_iteratorINS6_10device_ptrIKxEEEESL_NS6_8equal_toIxEEEENSG_9not_fun_tINSD_8identityEEEEENSD_19counting_iterator_tIlEES8_S8_S8_S8_S8_S8_S8_S8_EEEEPS9_S9_NSD_9__find_if7functorIS9_EEEE10hipError_tPvRmT1_T2_T3_mT4_P12ihipStream_tbEUlT_E0_NS1_11comp_targetILNS1_3genE4ELNS1_11target_archE910ELNS1_3gpuE8ELNS1_3repE0EEENS1_30default_config_static_selectorELNS0_4arch9wavefront6targetE0EEEvS14_.has_dyn_sized_stack, 0
	.set _ZN7rocprim17ROCPRIM_400000_NS6detail17trampoline_kernelINS0_14default_configENS1_22reduce_config_selectorIN6thrust23THRUST_200600_302600_NS5tupleIblNS6_9null_typeES8_S8_S8_S8_S8_S8_S8_EEEEZNS1_11reduce_implILb1ES3_NS6_12zip_iteratorINS7_INS6_11hip_rocprim26transform_input_iterator_tIbNSD_35transform_pair_of_input_iterators_tIbNS6_6detail15normal_iteratorINS6_10device_ptrIKxEEEESL_NS6_8equal_toIxEEEENSG_9not_fun_tINSD_8identityEEEEENSD_19counting_iterator_tIlEES8_S8_S8_S8_S8_S8_S8_S8_EEEEPS9_S9_NSD_9__find_if7functorIS9_EEEE10hipError_tPvRmT1_T2_T3_mT4_P12ihipStream_tbEUlT_E0_NS1_11comp_targetILNS1_3genE4ELNS1_11target_archE910ELNS1_3gpuE8ELNS1_3repE0EEENS1_30default_config_static_selectorELNS0_4arch9wavefront6targetE0EEEvS14_.has_recursion, 0
	.set _ZN7rocprim17ROCPRIM_400000_NS6detail17trampoline_kernelINS0_14default_configENS1_22reduce_config_selectorIN6thrust23THRUST_200600_302600_NS5tupleIblNS6_9null_typeES8_S8_S8_S8_S8_S8_S8_EEEEZNS1_11reduce_implILb1ES3_NS6_12zip_iteratorINS7_INS6_11hip_rocprim26transform_input_iterator_tIbNSD_35transform_pair_of_input_iterators_tIbNS6_6detail15normal_iteratorINS6_10device_ptrIKxEEEESL_NS6_8equal_toIxEEEENSG_9not_fun_tINSD_8identityEEEEENSD_19counting_iterator_tIlEES8_S8_S8_S8_S8_S8_S8_S8_EEEEPS9_S9_NSD_9__find_if7functorIS9_EEEE10hipError_tPvRmT1_T2_T3_mT4_P12ihipStream_tbEUlT_E0_NS1_11comp_targetILNS1_3genE4ELNS1_11target_archE910ELNS1_3gpuE8ELNS1_3repE0EEENS1_30default_config_static_selectorELNS0_4arch9wavefront6targetE0EEEvS14_.has_indirect_call, 0
	.section	.AMDGPU.csdata,"",@progbits
; Kernel info:
; codeLenInByte = 0
; TotalNumSgprs: 0
; NumVgprs: 0
; ScratchSize: 0
; MemoryBound: 0
; FloatMode: 240
; IeeeMode: 1
; LDSByteSize: 0 bytes/workgroup (compile time only)
; SGPRBlocks: 0
; VGPRBlocks: 0
; NumSGPRsForWavesPerEU: 1
; NumVGPRsForWavesPerEU: 1
; NamedBarCnt: 0
; Occupancy: 16
; WaveLimiterHint : 0
; COMPUTE_PGM_RSRC2:SCRATCH_EN: 0
; COMPUTE_PGM_RSRC2:USER_SGPR: 2
; COMPUTE_PGM_RSRC2:TRAP_HANDLER: 0
; COMPUTE_PGM_RSRC2:TGID_X_EN: 1
; COMPUTE_PGM_RSRC2:TGID_Y_EN: 0
; COMPUTE_PGM_RSRC2:TGID_Z_EN: 0
; COMPUTE_PGM_RSRC2:TIDIG_COMP_CNT: 0
	.section	.text._ZN7rocprim17ROCPRIM_400000_NS6detail17trampoline_kernelINS0_14default_configENS1_22reduce_config_selectorIN6thrust23THRUST_200600_302600_NS5tupleIblNS6_9null_typeES8_S8_S8_S8_S8_S8_S8_EEEEZNS1_11reduce_implILb1ES3_NS6_12zip_iteratorINS7_INS6_11hip_rocprim26transform_input_iterator_tIbNSD_35transform_pair_of_input_iterators_tIbNS6_6detail15normal_iteratorINS6_10device_ptrIKxEEEESL_NS6_8equal_toIxEEEENSG_9not_fun_tINSD_8identityEEEEENSD_19counting_iterator_tIlEES8_S8_S8_S8_S8_S8_S8_S8_EEEEPS9_S9_NSD_9__find_if7functorIS9_EEEE10hipError_tPvRmT1_T2_T3_mT4_P12ihipStream_tbEUlT_E0_NS1_11comp_targetILNS1_3genE3ELNS1_11target_archE908ELNS1_3gpuE7ELNS1_3repE0EEENS1_30default_config_static_selectorELNS0_4arch9wavefront6targetE0EEEvS14_,"axG",@progbits,_ZN7rocprim17ROCPRIM_400000_NS6detail17trampoline_kernelINS0_14default_configENS1_22reduce_config_selectorIN6thrust23THRUST_200600_302600_NS5tupleIblNS6_9null_typeES8_S8_S8_S8_S8_S8_S8_EEEEZNS1_11reduce_implILb1ES3_NS6_12zip_iteratorINS7_INS6_11hip_rocprim26transform_input_iterator_tIbNSD_35transform_pair_of_input_iterators_tIbNS6_6detail15normal_iteratorINS6_10device_ptrIKxEEEESL_NS6_8equal_toIxEEEENSG_9not_fun_tINSD_8identityEEEEENSD_19counting_iterator_tIlEES8_S8_S8_S8_S8_S8_S8_S8_EEEEPS9_S9_NSD_9__find_if7functorIS9_EEEE10hipError_tPvRmT1_T2_T3_mT4_P12ihipStream_tbEUlT_E0_NS1_11comp_targetILNS1_3genE3ELNS1_11target_archE908ELNS1_3gpuE7ELNS1_3repE0EEENS1_30default_config_static_selectorELNS0_4arch9wavefront6targetE0EEEvS14_,comdat
	.protected	_ZN7rocprim17ROCPRIM_400000_NS6detail17trampoline_kernelINS0_14default_configENS1_22reduce_config_selectorIN6thrust23THRUST_200600_302600_NS5tupleIblNS6_9null_typeES8_S8_S8_S8_S8_S8_S8_EEEEZNS1_11reduce_implILb1ES3_NS6_12zip_iteratorINS7_INS6_11hip_rocprim26transform_input_iterator_tIbNSD_35transform_pair_of_input_iterators_tIbNS6_6detail15normal_iteratorINS6_10device_ptrIKxEEEESL_NS6_8equal_toIxEEEENSG_9not_fun_tINSD_8identityEEEEENSD_19counting_iterator_tIlEES8_S8_S8_S8_S8_S8_S8_S8_EEEEPS9_S9_NSD_9__find_if7functorIS9_EEEE10hipError_tPvRmT1_T2_T3_mT4_P12ihipStream_tbEUlT_E0_NS1_11comp_targetILNS1_3genE3ELNS1_11target_archE908ELNS1_3gpuE7ELNS1_3repE0EEENS1_30default_config_static_selectorELNS0_4arch9wavefront6targetE0EEEvS14_ ; -- Begin function _ZN7rocprim17ROCPRIM_400000_NS6detail17trampoline_kernelINS0_14default_configENS1_22reduce_config_selectorIN6thrust23THRUST_200600_302600_NS5tupleIblNS6_9null_typeES8_S8_S8_S8_S8_S8_S8_EEEEZNS1_11reduce_implILb1ES3_NS6_12zip_iteratorINS7_INS6_11hip_rocprim26transform_input_iterator_tIbNSD_35transform_pair_of_input_iterators_tIbNS6_6detail15normal_iteratorINS6_10device_ptrIKxEEEESL_NS6_8equal_toIxEEEENSG_9not_fun_tINSD_8identityEEEEENSD_19counting_iterator_tIlEES8_S8_S8_S8_S8_S8_S8_S8_EEEEPS9_S9_NSD_9__find_if7functorIS9_EEEE10hipError_tPvRmT1_T2_T3_mT4_P12ihipStream_tbEUlT_E0_NS1_11comp_targetILNS1_3genE3ELNS1_11target_archE908ELNS1_3gpuE7ELNS1_3repE0EEENS1_30default_config_static_selectorELNS0_4arch9wavefront6targetE0EEEvS14_
	.globl	_ZN7rocprim17ROCPRIM_400000_NS6detail17trampoline_kernelINS0_14default_configENS1_22reduce_config_selectorIN6thrust23THRUST_200600_302600_NS5tupleIblNS6_9null_typeES8_S8_S8_S8_S8_S8_S8_EEEEZNS1_11reduce_implILb1ES3_NS6_12zip_iteratorINS7_INS6_11hip_rocprim26transform_input_iterator_tIbNSD_35transform_pair_of_input_iterators_tIbNS6_6detail15normal_iteratorINS6_10device_ptrIKxEEEESL_NS6_8equal_toIxEEEENSG_9not_fun_tINSD_8identityEEEEENSD_19counting_iterator_tIlEES8_S8_S8_S8_S8_S8_S8_S8_EEEEPS9_S9_NSD_9__find_if7functorIS9_EEEE10hipError_tPvRmT1_T2_T3_mT4_P12ihipStream_tbEUlT_E0_NS1_11comp_targetILNS1_3genE3ELNS1_11target_archE908ELNS1_3gpuE7ELNS1_3repE0EEENS1_30default_config_static_selectorELNS0_4arch9wavefront6targetE0EEEvS14_
	.p2align	8
	.type	_ZN7rocprim17ROCPRIM_400000_NS6detail17trampoline_kernelINS0_14default_configENS1_22reduce_config_selectorIN6thrust23THRUST_200600_302600_NS5tupleIblNS6_9null_typeES8_S8_S8_S8_S8_S8_S8_EEEEZNS1_11reduce_implILb1ES3_NS6_12zip_iteratorINS7_INS6_11hip_rocprim26transform_input_iterator_tIbNSD_35transform_pair_of_input_iterators_tIbNS6_6detail15normal_iteratorINS6_10device_ptrIKxEEEESL_NS6_8equal_toIxEEEENSG_9not_fun_tINSD_8identityEEEEENSD_19counting_iterator_tIlEES8_S8_S8_S8_S8_S8_S8_S8_EEEEPS9_S9_NSD_9__find_if7functorIS9_EEEE10hipError_tPvRmT1_T2_T3_mT4_P12ihipStream_tbEUlT_E0_NS1_11comp_targetILNS1_3genE3ELNS1_11target_archE908ELNS1_3gpuE7ELNS1_3repE0EEENS1_30default_config_static_selectorELNS0_4arch9wavefront6targetE0EEEvS14_,@function
_ZN7rocprim17ROCPRIM_400000_NS6detail17trampoline_kernelINS0_14default_configENS1_22reduce_config_selectorIN6thrust23THRUST_200600_302600_NS5tupleIblNS6_9null_typeES8_S8_S8_S8_S8_S8_S8_EEEEZNS1_11reduce_implILb1ES3_NS6_12zip_iteratorINS7_INS6_11hip_rocprim26transform_input_iterator_tIbNSD_35transform_pair_of_input_iterators_tIbNS6_6detail15normal_iteratorINS6_10device_ptrIKxEEEESL_NS6_8equal_toIxEEEENSG_9not_fun_tINSD_8identityEEEEENSD_19counting_iterator_tIlEES8_S8_S8_S8_S8_S8_S8_S8_EEEEPS9_S9_NSD_9__find_if7functorIS9_EEEE10hipError_tPvRmT1_T2_T3_mT4_P12ihipStream_tbEUlT_E0_NS1_11comp_targetILNS1_3genE3ELNS1_11target_archE908ELNS1_3gpuE7ELNS1_3repE0EEENS1_30default_config_static_selectorELNS0_4arch9wavefront6targetE0EEEvS14_: ; @_ZN7rocprim17ROCPRIM_400000_NS6detail17trampoline_kernelINS0_14default_configENS1_22reduce_config_selectorIN6thrust23THRUST_200600_302600_NS5tupleIblNS6_9null_typeES8_S8_S8_S8_S8_S8_S8_EEEEZNS1_11reduce_implILb1ES3_NS6_12zip_iteratorINS7_INS6_11hip_rocprim26transform_input_iterator_tIbNSD_35transform_pair_of_input_iterators_tIbNS6_6detail15normal_iteratorINS6_10device_ptrIKxEEEESL_NS6_8equal_toIxEEEENSG_9not_fun_tINSD_8identityEEEEENSD_19counting_iterator_tIlEES8_S8_S8_S8_S8_S8_S8_S8_EEEEPS9_S9_NSD_9__find_if7functorIS9_EEEE10hipError_tPvRmT1_T2_T3_mT4_P12ihipStream_tbEUlT_E0_NS1_11comp_targetILNS1_3genE3ELNS1_11target_archE908ELNS1_3gpuE7ELNS1_3repE0EEENS1_30default_config_static_selectorELNS0_4arch9wavefront6targetE0EEEvS14_
; %bb.0:
	.section	.rodata,"a",@progbits
	.p2align	6, 0x0
	.amdhsa_kernel _ZN7rocprim17ROCPRIM_400000_NS6detail17trampoline_kernelINS0_14default_configENS1_22reduce_config_selectorIN6thrust23THRUST_200600_302600_NS5tupleIblNS6_9null_typeES8_S8_S8_S8_S8_S8_S8_EEEEZNS1_11reduce_implILb1ES3_NS6_12zip_iteratorINS7_INS6_11hip_rocprim26transform_input_iterator_tIbNSD_35transform_pair_of_input_iterators_tIbNS6_6detail15normal_iteratorINS6_10device_ptrIKxEEEESL_NS6_8equal_toIxEEEENSG_9not_fun_tINSD_8identityEEEEENSD_19counting_iterator_tIlEES8_S8_S8_S8_S8_S8_S8_S8_EEEEPS9_S9_NSD_9__find_if7functorIS9_EEEE10hipError_tPvRmT1_T2_T3_mT4_P12ihipStream_tbEUlT_E0_NS1_11comp_targetILNS1_3genE3ELNS1_11target_archE908ELNS1_3gpuE7ELNS1_3repE0EEENS1_30default_config_static_selectorELNS0_4arch9wavefront6targetE0EEEvS14_
		.amdhsa_group_segment_fixed_size 0
		.amdhsa_private_segment_fixed_size 0
		.amdhsa_kernarg_size 104
		.amdhsa_user_sgpr_count 2
		.amdhsa_user_sgpr_dispatch_ptr 0
		.amdhsa_user_sgpr_queue_ptr 0
		.amdhsa_user_sgpr_kernarg_segment_ptr 1
		.amdhsa_user_sgpr_dispatch_id 0
		.amdhsa_user_sgpr_kernarg_preload_length 0
		.amdhsa_user_sgpr_kernarg_preload_offset 0
		.amdhsa_user_sgpr_private_segment_size 0
		.amdhsa_wavefront_size32 1
		.amdhsa_uses_dynamic_stack 0
		.amdhsa_enable_private_segment 0
		.amdhsa_system_sgpr_workgroup_id_x 1
		.amdhsa_system_sgpr_workgroup_id_y 0
		.amdhsa_system_sgpr_workgroup_id_z 0
		.amdhsa_system_sgpr_workgroup_info 0
		.amdhsa_system_vgpr_workitem_id 0
		.amdhsa_next_free_vgpr 1
		.amdhsa_next_free_sgpr 1
		.amdhsa_named_barrier_count 0
		.amdhsa_reserve_vcc 0
		.amdhsa_float_round_mode_32 0
		.amdhsa_float_round_mode_16_64 0
		.amdhsa_float_denorm_mode_32 3
		.amdhsa_float_denorm_mode_16_64 3
		.amdhsa_fp16_overflow 0
		.amdhsa_memory_ordered 1
		.amdhsa_forward_progress 1
		.amdhsa_inst_pref_size 0
		.amdhsa_round_robin_scheduling 0
		.amdhsa_exception_fp_ieee_invalid_op 0
		.amdhsa_exception_fp_denorm_src 0
		.amdhsa_exception_fp_ieee_div_zero 0
		.amdhsa_exception_fp_ieee_overflow 0
		.amdhsa_exception_fp_ieee_underflow 0
		.amdhsa_exception_fp_ieee_inexact 0
		.amdhsa_exception_int_div_zero 0
	.end_amdhsa_kernel
	.section	.text._ZN7rocprim17ROCPRIM_400000_NS6detail17trampoline_kernelINS0_14default_configENS1_22reduce_config_selectorIN6thrust23THRUST_200600_302600_NS5tupleIblNS6_9null_typeES8_S8_S8_S8_S8_S8_S8_EEEEZNS1_11reduce_implILb1ES3_NS6_12zip_iteratorINS7_INS6_11hip_rocprim26transform_input_iterator_tIbNSD_35transform_pair_of_input_iterators_tIbNS6_6detail15normal_iteratorINS6_10device_ptrIKxEEEESL_NS6_8equal_toIxEEEENSG_9not_fun_tINSD_8identityEEEEENSD_19counting_iterator_tIlEES8_S8_S8_S8_S8_S8_S8_S8_EEEEPS9_S9_NSD_9__find_if7functorIS9_EEEE10hipError_tPvRmT1_T2_T3_mT4_P12ihipStream_tbEUlT_E0_NS1_11comp_targetILNS1_3genE3ELNS1_11target_archE908ELNS1_3gpuE7ELNS1_3repE0EEENS1_30default_config_static_selectorELNS0_4arch9wavefront6targetE0EEEvS14_,"axG",@progbits,_ZN7rocprim17ROCPRIM_400000_NS6detail17trampoline_kernelINS0_14default_configENS1_22reduce_config_selectorIN6thrust23THRUST_200600_302600_NS5tupleIblNS6_9null_typeES8_S8_S8_S8_S8_S8_S8_EEEEZNS1_11reduce_implILb1ES3_NS6_12zip_iteratorINS7_INS6_11hip_rocprim26transform_input_iterator_tIbNSD_35transform_pair_of_input_iterators_tIbNS6_6detail15normal_iteratorINS6_10device_ptrIKxEEEESL_NS6_8equal_toIxEEEENSG_9not_fun_tINSD_8identityEEEEENSD_19counting_iterator_tIlEES8_S8_S8_S8_S8_S8_S8_S8_EEEEPS9_S9_NSD_9__find_if7functorIS9_EEEE10hipError_tPvRmT1_T2_T3_mT4_P12ihipStream_tbEUlT_E0_NS1_11comp_targetILNS1_3genE3ELNS1_11target_archE908ELNS1_3gpuE7ELNS1_3repE0EEENS1_30default_config_static_selectorELNS0_4arch9wavefront6targetE0EEEvS14_,comdat
.Lfunc_end228:
	.size	_ZN7rocprim17ROCPRIM_400000_NS6detail17trampoline_kernelINS0_14default_configENS1_22reduce_config_selectorIN6thrust23THRUST_200600_302600_NS5tupleIblNS6_9null_typeES8_S8_S8_S8_S8_S8_S8_EEEEZNS1_11reduce_implILb1ES3_NS6_12zip_iteratorINS7_INS6_11hip_rocprim26transform_input_iterator_tIbNSD_35transform_pair_of_input_iterators_tIbNS6_6detail15normal_iteratorINS6_10device_ptrIKxEEEESL_NS6_8equal_toIxEEEENSG_9not_fun_tINSD_8identityEEEEENSD_19counting_iterator_tIlEES8_S8_S8_S8_S8_S8_S8_S8_EEEEPS9_S9_NSD_9__find_if7functorIS9_EEEE10hipError_tPvRmT1_T2_T3_mT4_P12ihipStream_tbEUlT_E0_NS1_11comp_targetILNS1_3genE3ELNS1_11target_archE908ELNS1_3gpuE7ELNS1_3repE0EEENS1_30default_config_static_selectorELNS0_4arch9wavefront6targetE0EEEvS14_, .Lfunc_end228-_ZN7rocprim17ROCPRIM_400000_NS6detail17trampoline_kernelINS0_14default_configENS1_22reduce_config_selectorIN6thrust23THRUST_200600_302600_NS5tupleIblNS6_9null_typeES8_S8_S8_S8_S8_S8_S8_EEEEZNS1_11reduce_implILb1ES3_NS6_12zip_iteratorINS7_INS6_11hip_rocprim26transform_input_iterator_tIbNSD_35transform_pair_of_input_iterators_tIbNS6_6detail15normal_iteratorINS6_10device_ptrIKxEEEESL_NS6_8equal_toIxEEEENSG_9not_fun_tINSD_8identityEEEEENSD_19counting_iterator_tIlEES8_S8_S8_S8_S8_S8_S8_S8_EEEEPS9_S9_NSD_9__find_if7functorIS9_EEEE10hipError_tPvRmT1_T2_T3_mT4_P12ihipStream_tbEUlT_E0_NS1_11comp_targetILNS1_3genE3ELNS1_11target_archE908ELNS1_3gpuE7ELNS1_3repE0EEENS1_30default_config_static_selectorELNS0_4arch9wavefront6targetE0EEEvS14_
                                        ; -- End function
	.set _ZN7rocprim17ROCPRIM_400000_NS6detail17trampoline_kernelINS0_14default_configENS1_22reduce_config_selectorIN6thrust23THRUST_200600_302600_NS5tupleIblNS6_9null_typeES8_S8_S8_S8_S8_S8_S8_EEEEZNS1_11reduce_implILb1ES3_NS6_12zip_iteratorINS7_INS6_11hip_rocprim26transform_input_iterator_tIbNSD_35transform_pair_of_input_iterators_tIbNS6_6detail15normal_iteratorINS6_10device_ptrIKxEEEESL_NS6_8equal_toIxEEEENSG_9not_fun_tINSD_8identityEEEEENSD_19counting_iterator_tIlEES8_S8_S8_S8_S8_S8_S8_S8_EEEEPS9_S9_NSD_9__find_if7functorIS9_EEEE10hipError_tPvRmT1_T2_T3_mT4_P12ihipStream_tbEUlT_E0_NS1_11comp_targetILNS1_3genE3ELNS1_11target_archE908ELNS1_3gpuE7ELNS1_3repE0EEENS1_30default_config_static_selectorELNS0_4arch9wavefront6targetE0EEEvS14_.num_vgpr, 0
	.set _ZN7rocprim17ROCPRIM_400000_NS6detail17trampoline_kernelINS0_14default_configENS1_22reduce_config_selectorIN6thrust23THRUST_200600_302600_NS5tupleIblNS6_9null_typeES8_S8_S8_S8_S8_S8_S8_EEEEZNS1_11reduce_implILb1ES3_NS6_12zip_iteratorINS7_INS6_11hip_rocprim26transform_input_iterator_tIbNSD_35transform_pair_of_input_iterators_tIbNS6_6detail15normal_iteratorINS6_10device_ptrIKxEEEESL_NS6_8equal_toIxEEEENSG_9not_fun_tINSD_8identityEEEEENSD_19counting_iterator_tIlEES8_S8_S8_S8_S8_S8_S8_S8_EEEEPS9_S9_NSD_9__find_if7functorIS9_EEEE10hipError_tPvRmT1_T2_T3_mT4_P12ihipStream_tbEUlT_E0_NS1_11comp_targetILNS1_3genE3ELNS1_11target_archE908ELNS1_3gpuE7ELNS1_3repE0EEENS1_30default_config_static_selectorELNS0_4arch9wavefront6targetE0EEEvS14_.num_agpr, 0
	.set _ZN7rocprim17ROCPRIM_400000_NS6detail17trampoline_kernelINS0_14default_configENS1_22reduce_config_selectorIN6thrust23THRUST_200600_302600_NS5tupleIblNS6_9null_typeES8_S8_S8_S8_S8_S8_S8_EEEEZNS1_11reduce_implILb1ES3_NS6_12zip_iteratorINS7_INS6_11hip_rocprim26transform_input_iterator_tIbNSD_35transform_pair_of_input_iterators_tIbNS6_6detail15normal_iteratorINS6_10device_ptrIKxEEEESL_NS6_8equal_toIxEEEENSG_9not_fun_tINSD_8identityEEEEENSD_19counting_iterator_tIlEES8_S8_S8_S8_S8_S8_S8_S8_EEEEPS9_S9_NSD_9__find_if7functorIS9_EEEE10hipError_tPvRmT1_T2_T3_mT4_P12ihipStream_tbEUlT_E0_NS1_11comp_targetILNS1_3genE3ELNS1_11target_archE908ELNS1_3gpuE7ELNS1_3repE0EEENS1_30default_config_static_selectorELNS0_4arch9wavefront6targetE0EEEvS14_.numbered_sgpr, 0
	.set _ZN7rocprim17ROCPRIM_400000_NS6detail17trampoline_kernelINS0_14default_configENS1_22reduce_config_selectorIN6thrust23THRUST_200600_302600_NS5tupleIblNS6_9null_typeES8_S8_S8_S8_S8_S8_S8_EEEEZNS1_11reduce_implILb1ES3_NS6_12zip_iteratorINS7_INS6_11hip_rocprim26transform_input_iterator_tIbNSD_35transform_pair_of_input_iterators_tIbNS6_6detail15normal_iteratorINS6_10device_ptrIKxEEEESL_NS6_8equal_toIxEEEENSG_9not_fun_tINSD_8identityEEEEENSD_19counting_iterator_tIlEES8_S8_S8_S8_S8_S8_S8_S8_EEEEPS9_S9_NSD_9__find_if7functorIS9_EEEE10hipError_tPvRmT1_T2_T3_mT4_P12ihipStream_tbEUlT_E0_NS1_11comp_targetILNS1_3genE3ELNS1_11target_archE908ELNS1_3gpuE7ELNS1_3repE0EEENS1_30default_config_static_selectorELNS0_4arch9wavefront6targetE0EEEvS14_.num_named_barrier, 0
	.set _ZN7rocprim17ROCPRIM_400000_NS6detail17trampoline_kernelINS0_14default_configENS1_22reduce_config_selectorIN6thrust23THRUST_200600_302600_NS5tupleIblNS6_9null_typeES8_S8_S8_S8_S8_S8_S8_EEEEZNS1_11reduce_implILb1ES3_NS6_12zip_iteratorINS7_INS6_11hip_rocprim26transform_input_iterator_tIbNSD_35transform_pair_of_input_iterators_tIbNS6_6detail15normal_iteratorINS6_10device_ptrIKxEEEESL_NS6_8equal_toIxEEEENSG_9not_fun_tINSD_8identityEEEEENSD_19counting_iterator_tIlEES8_S8_S8_S8_S8_S8_S8_S8_EEEEPS9_S9_NSD_9__find_if7functorIS9_EEEE10hipError_tPvRmT1_T2_T3_mT4_P12ihipStream_tbEUlT_E0_NS1_11comp_targetILNS1_3genE3ELNS1_11target_archE908ELNS1_3gpuE7ELNS1_3repE0EEENS1_30default_config_static_selectorELNS0_4arch9wavefront6targetE0EEEvS14_.private_seg_size, 0
	.set _ZN7rocprim17ROCPRIM_400000_NS6detail17trampoline_kernelINS0_14default_configENS1_22reduce_config_selectorIN6thrust23THRUST_200600_302600_NS5tupleIblNS6_9null_typeES8_S8_S8_S8_S8_S8_S8_EEEEZNS1_11reduce_implILb1ES3_NS6_12zip_iteratorINS7_INS6_11hip_rocprim26transform_input_iterator_tIbNSD_35transform_pair_of_input_iterators_tIbNS6_6detail15normal_iteratorINS6_10device_ptrIKxEEEESL_NS6_8equal_toIxEEEENSG_9not_fun_tINSD_8identityEEEEENSD_19counting_iterator_tIlEES8_S8_S8_S8_S8_S8_S8_S8_EEEEPS9_S9_NSD_9__find_if7functorIS9_EEEE10hipError_tPvRmT1_T2_T3_mT4_P12ihipStream_tbEUlT_E0_NS1_11comp_targetILNS1_3genE3ELNS1_11target_archE908ELNS1_3gpuE7ELNS1_3repE0EEENS1_30default_config_static_selectorELNS0_4arch9wavefront6targetE0EEEvS14_.uses_vcc, 0
	.set _ZN7rocprim17ROCPRIM_400000_NS6detail17trampoline_kernelINS0_14default_configENS1_22reduce_config_selectorIN6thrust23THRUST_200600_302600_NS5tupleIblNS6_9null_typeES8_S8_S8_S8_S8_S8_S8_EEEEZNS1_11reduce_implILb1ES3_NS6_12zip_iteratorINS7_INS6_11hip_rocprim26transform_input_iterator_tIbNSD_35transform_pair_of_input_iterators_tIbNS6_6detail15normal_iteratorINS6_10device_ptrIKxEEEESL_NS6_8equal_toIxEEEENSG_9not_fun_tINSD_8identityEEEEENSD_19counting_iterator_tIlEES8_S8_S8_S8_S8_S8_S8_S8_EEEEPS9_S9_NSD_9__find_if7functorIS9_EEEE10hipError_tPvRmT1_T2_T3_mT4_P12ihipStream_tbEUlT_E0_NS1_11comp_targetILNS1_3genE3ELNS1_11target_archE908ELNS1_3gpuE7ELNS1_3repE0EEENS1_30default_config_static_selectorELNS0_4arch9wavefront6targetE0EEEvS14_.uses_flat_scratch, 0
	.set _ZN7rocprim17ROCPRIM_400000_NS6detail17trampoline_kernelINS0_14default_configENS1_22reduce_config_selectorIN6thrust23THRUST_200600_302600_NS5tupleIblNS6_9null_typeES8_S8_S8_S8_S8_S8_S8_EEEEZNS1_11reduce_implILb1ES3_NS6_12zip_iteratorINS7_INS6_11hip_rocprim26transform_input_iterator_tIbNSD_35transform_pair_of_input_iterators_tIbNS6_6detail15normal_iteratorINS6_10device_ptrIKxEEEESL_NS6_8equal_toIxEEEENSG_9not_fun_tINSD_8identityEEEEENSD_19counting_iterator_tIlEES8_S8_S8_S8_S8_S8_S8_S8_EEEEPS9_S9_NSD_9__find_if7functorIS9_EEEE10hipError_tPvRmT1_T2_T3_mT4_P12ihipStream_tbEUlT_E0_NS1_11comp_targetILNS1_3genE3ELNS1_11target_archE908ELNS1_3gpuE7ELNS1_3repE0EEENS1_30default_config_static_selectorELNS0_4arch9wavefront6targetE0EEEvS14_.has_dyn_sized_stack, 0
	.set _ZN7rocprim17ROCPRIM_400000_NS6detail17trampoline_kernelINS0_14default_configENS1_22reduce_config_selectorIN6thrust23THRUST_200600_302600_NS5tupleIblNS6_9null_typeES8_S8_S8_S8_S8_S8_S8_EEEEZNS1_11reduce_implILb1ES3_NS6_12zip_iteratorINS7_INS6_11hip_rocprim26transform_input_iterator_tIbNSD_35transform_pair_of_input_iterators_tIbNS6_6detail15normal_iteratorINS6_10device_ptrIKxEEEESL_NS6_8equal_toIxEEEENSG_9not_fun_tINSD_8identityEEEEENSD_19counting_iterator_tIlEES8_S8_S8_S8_S8_S8_S8_S8_EEEEPS9_S9_NSD_9__find_if7functorIS9_EEEE10hipError_tPvRmT1_T2_T3_mT4_P12ihipStream_tbEUlT_E0_NS1_11comp_targetILNS1_3genE3ELNS1_11target_archE908ELNS1_3gpuE7ELNS1_3repE0EEENS1_30default_config_static_selectorELNS0_4arch9wavefront6targetE0EEEvS14_.has_recursion, 0
	.set _ZN7rocprim17ROCPRIM_400000_NS6detail17trampoline_kernelINS0_14default_configENS1_22reduce_config_selectorIN6thrust23THRUST_200600_302600_NS5tupleIblNS6_9null_typeES8_S8_S8_S8_S8_S8_S8_EEEEZNS1_11reduce_implILb1ES3_NS6_12zip_iteratorINS7_INS6_11hip_rocprim26transform_input_iterator_tIbNSD_35transform_pair_of_input_iterators_tIbNS6_6detail15normal_iteratorINS6_10device_ptrIKxEEEESL_NS6_8equal_toIxEEEENSG_9not_fun_tINSD_8identityEEEEENSD_19counting_iterator_tIlEES8_S8_S8_S8_S8_S8_S8_S8_EEEEPS9_S9_NSD_9__find_if7functorIS9_EEEE10hipError_tPvRmT1_T2_T3_mT4_P12ihipStream_tbEUlT_E0_NS1_11comp_targetILNS1_3genE3ELNS1_11target_archE908ELNS1_3gpuE7ELNS1_3repE0EEENS1_30default_config_static_selectorELNS0_4arch9wavefront6targetE0EEEvS14_.has_indirect_call, 0
	.section	.AMDGPU.csdata,"",@progbits
; Kernel info:
; codeLenInByte = 0
; TotalNumSgprs: 0
; NumVgprs: 0
; ScratchSize: 0
; MemoryBound: 0
; FloatMode: 240
; IeeeMode: 1
; LDSByteSize: 0 bytes/workgroup (compile time only)
; SGPRBlocks: 0
; VGPRBlocks: 0
; NumSGPRsForWavesPerEU: 1
; NumVGPRsForWavesPerEU: 1
; NamedBarCnt: 0
; Occupancy: 16
; WaveLimiterHint : 0
; COMPUTE_PGM_RSRC2:SCRATCH_EN: 0
; COMPUTE_PGM_RSRC2:USER_SGPR: 2
; COMPUTE_PGM_RSRC2:TRAP_HANDLER: 0
; COMPUTE_PGM_RSRC2:TGID_X_EN: 1
; COMPUTE_PGM_RSRC2:TGID_Y_EN: 0
; COMPUTE_PGM_RSRC2:TGID_Z_EN: 0
; COMPUTE_PGM_RSRC2:TIDIG_COMP_CNT: 0
	.section	.text._ZN7rocprim17ROCPRIM_400000_NS6detail17trampoline_kernelINS0_14default_configENS1_22reduce_config_selectorIN6thrust23THRUST_200600_302600_NS5tupleIblNS6_9null_typeES8_S8_S8_S8_S8_S8_S8_EEEEZNS1_11reduce_implILb1ES3_NS6_12zip_iteratorINS7_INS6_11hip_rocprim26transform_input_iterator_tIbNSD_35transform_pair_of_input_iterators_tIbNS6_6detail15normal_iteratorINS6_10device_ptrIKxEEEESL_NS6_8equal_toIxEEEENSG_9not_fun_tINSD_8identityEEEEENSD_19counting_iterator_tIlEES8_S8_S8_S8_S8_S8_S8_S8_EEEEPS9_S9_NSD_9__find_if7functorIS9_EEEE10hipError_tPvRmT1_T2_T3_mT4_P12ihipStream_tbEUlT_E0_NS1_11comp_targetILNS1_3genE2ELNS1_11target_archE906ELNS1_3gpuE6ELNS1_3repE0EEENS1_30default_config_static_selectorELNS0_4arch9wavefront6targetE0EEEvS14_,"axG",@progbits,_ZN7rocprim17ROCPRIM_400000_NS6detail17trampoline_kernelINS0_14default_configENS1_22reduce_config_selectorIN6thrust23THRUST_200600_302600_NS5tupleIblNS6_9null_typeES8_S8_S8_S8_S8_S8_S8_EEEEZNS1_11reduce_implILb1ES3_NS6_12zip_iteratorINS7_INS6_11hip_rocprim26transform_input_iterator_tIbNSD_35transform_pair_of_input_iterators_tIbNS6_6detail15normal_iteratorINS6_10device_ptrIKxEEEESL_NS6_8equal_toIxEEEENSG_9not_fun_tINSD_8identityEEEEENSD_19counting_iterator_tIlEES8_S8_S8_S8_S8_S8_S8_S8_EEEEPS9_S9_NSD_9__find_if7functorIS9_EEEE10hipError_tPvRmT1_T2_T3_mT4_P12ihipStream_tbEUlT_E0_NS1_11comp_targetILNS1_3genE2ELNS1_11target_archE906ELNS1_3gpuE6ELNS1_3repE0EEENS1_30default_config_static_selectorELNS0_4arch9wavefront6targetE0EEEvS14_,comdat
	.protected	_ZN7rocprim17ROCPRIM_400000_NS6detail17trampoline_kernelINS0_14default_configENS1_22reduce_config_selectorIN6thrust23THRUST_200600_302600_NS5tupleIblNS6_9null_typeES8_S8_S8_S8_S8_S8_S8_EEEEZNS1_11reduce_implILb1ES3_NS6_12zip_iteratorINS7_INS6_11hip_rocprim26transform_input_iterator_tIbNSD_35transform_pair_of_input_iterators_tIbNS6_6detail15normal_iteratorINS6_10device_ptrIKxEEEESL_NS6_8equal_toIxEEEENSG_9not_fun_tINSD_8identityEEEEENSD_19counting_iterator_tIlEES8_S8_S8_S8_S8_S8_S8_S8_EEEEPS9_S9_NSD_9__find_if7functorIS9_EEEE10hipError_tPvRmT1_T2_T3_mT4_P12ihipStream_tbEUlT_E0_NS1_11comp_targetILNS1_3genE2ELNS1_11target_archE906ELNS1_3gpuE6ELNS1_3repE0EEENS1_30default_config_static_selectorELNS0_4arch9wavefront6targetE0EEEvS14_ ; -- Begin function _ZN7rocprim17ROCPRIM_400000_NS6detail17trampoline_kernelINS0_14default_configENS1_22reduce_config_selectorIN6thrust23THRUST_200600_302600_NS5tupleIblNS6_9null_typeES8_S8_S8_S8_S8_S8_S8_EEEEZNS1_11reduce_implILb1ES3_NS6_12zip_iteratorINS7_INS6_11hip_rocprim26transform_input_iterator_tIbNSD_35transform_pair_of_input_iterators_tIbNS6_6detail15normal_iteratorINS6_10device_ptrIKxEEEESL_NS6_8equal_toIxEEEENSG_9not_fun_tINSD_8identityEEEEENSD_19counting_iterator_tIlEES8_S8_S8_S8_S8_S8_S8_S8_EEEEPS9_S9_NSD_9__find_if7functorIS9_EEEE10hipError_tPvRmT1_T2_T3_mT4_P12ihipStream_tbEUlT_E0_NS1_11comp_targetILNS1_3genE2ELNS1_11target_archE906ELNS1_3gpuE6ELNS1_3repE0EEENS1_30default_config_static_selectorELNS0_4arch9wavefront6targetE0EEEvS14_
	.globl	_ZN7rocprim17ROCPRIM_400000_NS6detail17trampoline_kernelINS0_14default_configENS1_22reduce_config_selectorIN6thrust23THRUST_200600_302600_NS5tupleIblNS6_9null_typeES8_S8_S8_S8_S8_S8_S8_EEEEZNS1_11reduce_implILb1ES3_NS6_12zip_iteratorINS7_INS6_11hip_rocprim26transform_input_iterator_tIbNSD_35transform_pair_of_input_iterators_tIbNS6_6detail15normal_iteratorINS6_10device_ptrIKxEEEESL_NS6_8equal_toIxEEEENSG_9not_fun_tINSD_8identityEEEEENSD_19counting_iterator_tIlEES8_S8_S8_S8_S8_S8_S8_S8_EEEEPS9_S9_NSD_9__find_if7functorIS9_EEEE10hipError_tPvRmT1_T2_T3_mT4_P12ihipStream_tbEUlT_E0_NS1_11comp_targetILNS1_3genE2ELNS1_11target_archE906ELNS1_3gpuE6ELNS1_3repE0EEENS1_30default_config_static_selectorELNS0_4arch9wavefront6targetE0EEEvS14_
	.p2align	8
	.type	_ZN7rocprim17ROCPRIM_400000_NS6detail17trampoline_kernelINS0_14default_configENS1_22reduce_config_selectorIN6thrust23THRUST_200600_302600_NS5tupleIblNS6_9null_typeES8_S8_S8_S8_S8_S8_S8_EEEEZNS1_11reduce_implILb1ES3_NS6_12zip_iteratorINS7_INS6_11hip_rocprim26transform_input_iterator_tIbNSD_35transform_pair_of_input_iterators_tIbNS6_6detail15normal_iteratorINS6_10device_ptrIKxEEEESL_NS6_8equal_toIxEEEENSG_9not_fun_tINSD_8identityEEEEENSD_19counting_iterator_tIlEES8_S8_S8_S8_S8_S8_S8_S8_EEEEPS9_S9_NSD_9__find_if7functorIS9_EEEE10hipError_tPvRmT1_T2_T3_mT4_P12ihipStream_tbEUlT_E0_NS1_11comp_targetILNS1_3genE2ELNS1_11target_archE906ELNS1_3gpuE6ELNS1_3repE0EEENS1_30default_config_static_selectorELNS0_4arch9wavefront6targetE0EEEvS14_,@function
_ZN7rocprim17ROCPRIM_400000_NS6detail17trampoline_kernelINS0_14default_configENS1_22reduce_config_selectorIN6thrust23THRUST_200600_302600_NS5tupleIblNS6_9null_typeES8_S8_S8_S8_S8_S8_S8_EEEEZNS1_11reduce_implILb1ES3_NS6_12zip_iteratorINS7_INS6_11hip_rocprim26transform_input_iterator_tIbNSD_35transform_pair_of_input_iterators_tIbNS6_6detail15normal_iteratorINS6_10device_ptrIKxEEEESL_NS6_8equal_toIxEEEENSG_9not_fun_tINSD_8identityEEEEENSD_19counting_iterator_tIlEES8_S8_S8_S8_S8_S8_S8_S8_EEEEPS9_S9_NSD_9__find_if7functorIS9_EEEE10hipError_tPvRmT1_T2_T3_mT4_P12ihipStream_tbEUlT_E0_NS1_11comp_targetILNS1_3genE2ELNS1_11target_archE906ELNS1_3gpuE6ELNS1_3repE0EEENS1_30default_config_static_selectorELNS0_4arch9wavefront6targetE0EEEvS14_: ; @_ZN7rocprim17ROCPRIM_400000_NS6detail17trampoline_kernelINS0_14default_configENS1_22reduce_config_selectorIN6thrust23THRUST_200600_302600_NS5tupleIblNS6_9null_typeES8_S8_S8_S8_S8_S8_S8_EEEEZNS1_11reduce_implILb1ES3_NS6_12zip_iteratorINS7_INS6_11hip_rocprim26transform_input_iterator_tIbNSD_35transform_pair_of_input_iterators_tIbNS6_6detail15normal_iteratorINS6_10device_ptrIKxEEEESL_NS6_8equal_toIxEEEENSG_9not_fun_tINSD_8identityEEEEENSD_19counting_iterator_tIlEES8_S8_S8_S8_S8_S8_S8_S8_EEEEPS9_S9_NSD_9__find_if7functorIS9_EEEE10hipError_tPvRmT1_T2_T3_mT4_P12ihipStream_tbEUlT_E0_NS1_11comp_targetILNS1_3genE2ELNS1_11target_archE906ELNS1_3gpuE6ELNS1_3repE0EEENS1_30default_config_static_selectorELNS0_4arch9wavefront6targetE0EEEvS14_
; %bb.0:
	.section	.rodata,"a",@progbits
	.p2align	6, 0x0
	.amdhsa_kernel _ZN7rocprim17ROCPRIM_400000_NS6detail17trampoline_kernelINS0_14default_configENS1_22reduce_config_selectorIN6thrust23THRUST_200600_302600_NS5tupleIblNS6_9null_typeES8_S8_S8_S8_S8_S8_S8_EEEEZNS1_11reduce_implILb1ES3_NS6_12zip_iteratorINS7_INS6_11hip_rocprim26transform_input_iterator_tIbNSD_35transform_pair_of_input_iterators_tIbNS6_6detail15normal_iteratorINS6_10device_ptrIKxEEEESL_NS6_8equal_toIxEEEENSG_9not_fun_tINSD_8identityEEEEENSD_19counting_iterator_tIlEES8_S8_S8_S8_S8_S8_S8_S8_EEEEPS9_S9_NSD_9__find_if7functorIS9_EEEE10hipError_tPvRmT1_T2_T3_mT4_P12ihipStream_tbEUlT_E0_NS1_11comp_targetILNS1_3genE2ELNS1_11target_archE906ELNS1_3gpuE6ELNS1_3repE0EEENS1_30default_config_static_selectorELNS0_4arch9wavefront6targetE0EEEvS14_
		.amdhsa_group_segment_fixed_size 0
		.amdhsa_private_segment_fixed_size 0
		.amdhsa_kernarg_size 104
		.amdhsa_user_sgpr_count 2
		.amdhsa_user_sgpr_dispatch_ptr 0
		.amdhsa_user_sgpr_queue_ptr 0
		.amdhsa_user_sgpr_kernarg_segment_ptr 1
		.amdhsa_user_sgpr_dispatch_id 0
		.amdhsa_user_sgpr_kernarg_preload_length 0
		.amdhsa_user_sgpr_kernarg_preload_offset 0
		.amdhsa_user_sgpr_private_segment_size 0
		.amdhsa_wavefront_size32 1
		.amdhsa_uses_dynamic_stack 0
		.amdhsa_enable_private_segment 0
		.amdhsa_system_sgpr_workgroup_id_x 1
		.amdhsa_system_sgpr_workgroup_id_y 0
		.amdhsa_system_sgpr_workgroup_id_z 0
		.amdhsa_system_sgpr_workgroup_info 0
		.amdhsa_system_vgpr_workitem_id 0
		.amdhsa_next_free_vgpr 1
		.amdhsa_next_free_sgpr 1
		.amdhsa_named_barrier_count 0
		.amdhsa_reserve_vcc 0
		.amdhsa_float_round_mode_32 0
		.amdhsa_float_round_mode_16_64 0
		.amdhsa_float_denorm_mode_32 3
		.amdhsa_float_denorm_mode_16_64 3
		.amdhsa_fp16_overflow 0
		.amdhsa_memory_ordered 1
		.amdhsa_forward_progress 1
		.amdhsa_inst_pref_size 0
		.amdhsa_round_robin_scheduling 0
		.amdhsa_exception_fp_ieee_invalid_op 0
		.amdhsa_exception_fp_denorm_src 0
		.amdhsa_exception_fp_ieee_div_zero 0
		.amdhsa_exception_fp_ieee_overflow 0
		.amdhsa_exception_fp_ieee_underflow 0
		.amdhsa_exception_fp_ieee_inexact 0
		.amdhsa_exception_int_div_zero 0
	.end_amdhsa_kernel
	.section	.text._ZN7rocprim17ROCPRIM_400000_NS6detail17trampoline_kernelINS0_14default_configENS1_22reduce_config_selectorIN6thrust23THRUST_200600_302600_NS5tupleIblNS6_9null_typeES8_S8_S8_S8_S8_S8_S8_EEEEZNS1_11reduce_implILb1ES3_NS6_12zip_iteratorINS7_INS6_11hip_rocprim26transform_input_iterator_tIbNSD_35transform_pair_of_input_iterators_tIbNS6_6detail15normal_iteratorINS6_10device_ptrIKxEEEESL_NS6_8equal_toIxEEEENSG_9not_fun_tINSD_8identityEEEEENSD_19counting_iterator_tIlEES8_S8_S8_S8_S8_S8_S8_S8_EEEEPS9_S9_NSD_9__find_if7functorIS9_EEEE10hipError_tPvRmT1_T2_T3_mT4_P12ihipStream_tbEUlT_E0_NS1_11comp_targetILNS1_3genE2ELNS1_11target_archE906ELNS1_3gpuE6ELNS1_3repE0EEENS1_30default_config_static_selectorELNS0_4arch9wavefront6targetE0EEEvS14_,"axG",@progbits,_ZN7rocprim17ROCPRIM_400000_NS6detail17trampoline_kernelINS0_14default_configENS1_22reduce_config_selectorIN6thrust23THRUST_200600_302600_NS5tupleIblNS6_9null_typeES8_S8_S8_S8_S8_S8_S8_EEEEZNS1_11reduce_implILb1ES3_NS6_12zip_iteratorINS7_INS6_11hip_rocprim26transform_input_iterator_tIbNSD_35transform_pair_of_input_iterators_tIbNS6_6detail15normal_iteratorINS6_10device_ptrIKxEEEESL_NS6_8equal_toIxEEEENSG_9not_fun_tINSD_8identityEEEEENSD_19counting_iterator_tIlEES8_S8_S8_S8_S8_S8_S8_S8_EEEEPS9_S9_NSD_9__find_if7functorIS9_EEEE10hipError_tPvRmT1_T2_T3_mT4_P12ihipStream_tbEUlT_E0_NS1_11comp_targetILNS1_3genE2ELNS1_11target_archE906ELNS1_3gpuE6ELNS1_3repE0EEENS1_30default_config_static_selectorELNS0_4arch9wavefront6targetE0EEEvS14_,comdat
.Lfunc_end229:
	.size	_ZN7rocprim17ROCPRIM_400000_NS6detail17trampoline_kernelINS0_14default_configENS1_22reduce_config_selectorIN6thrust23THRUST_200600_302600_NS5tupleIblNS6_9null_typeES8_S8_S8_S8_S8_S8_S8_EEEEZNS1_11reduce_implILb1ES3_NS6_12zip_iteratorINS7_INS6_11hip_rocprim26transform_input_iterator_tIbNSD_35transform_pair_of_input_iterators_tIbNS6_6detail15normal_iteratorINS6_10device_ptrIKxEEEESL_NS6_8equal_toIxEEEENSG_9not_fun_tINSD_8identityEEEEENSD_19counting_iterator_tIlEES8_S8_S8_S8_S8_S8_S8_S8_EEEEPS9_S9_NSD_9__find_if7functorIS9_EEEE10hipError_tPvRmT1_T2_T3_mT4_P12ihipStream_tbEUlT_E0_NS1_11comp_targetILNS1_3genE2ELNS1_11target_archE906ELNS1_3gpuE6ELNS1_3repE0EEENS1_30default_config_static_selectorELNS0_4arch9wavefront6targetE0EEEvS14_, .Lfunc_end229-_ZN7rocprim17ROCPRIM_400000_NS6detail17trampoline_kernelINS0_14default_configENS1_22reduce_config_selectorIN6thrust23THRUST_200600_302600_NS5tupleIblNS6_9null_typeES8_S8_S8_S8_S8_S8_S8_EEEEZNS1_11reduce_implILb1ES3_NS6_12zip_iteratorINS7_INS6_11hip_rocprim26transform_input_iterator_tIbNSD_35transform_pair_of_input_iterators_tIbNS6_6detail15normal_iteratorINS6_10device_ptrIKxEEEESL_NS6_8equal_toIxEEEENSG_9not_fun_tINSD_8identityEEEEENSD_19counting_iterator_tIlEES8_S8_S8_S8_S8_S8_S8_S8_EEEEPS9_S9_NSD_9__find_if7functorIS9_EEEE10hipError_tPvRmT1_T2_T3_mT4_P12ihipStream_tbEUlT_E0_NS1_11comp_targetILNS1_3genE2ELNS1_11target_archE906ELNS1_3gpuE6ELNS1_3repE0EEENS1_30default_config_static_selectorELNS0_4arch9wavefront6targetE0EEEvS14_
                                        ; -- End function
	.set _ZN7rocprim17ROCPRIM_400000_NS6detail17trampoline_kernelINS0_14default_configENS1_22reduce_config_selectorIN6thrust23THRUST_200600_302600_NS5tupleIblNS6_9null_typeES8_S8_S8_S8_S8_S8_S8_EEEEZNS1_11reduce_implILb1ES3_NS6_12zip_iteratorINS7_INS6_11hip_rocprim26transform_input_iterator_tIbNSD_35transform_pair_of_input_iterators_tIbNS6_6detail15normal_iteratorINS6_10device_ptrIKxEEEESL_NS6_8equal_toIxEEEENSG_9not_fun_tINSD_8identityEEEEENSD_19counting_iterator_tIlEES8_S8_S8_S8_S8_S8_S8_S8_EEEEPS9_S9_NSD_9__find_if7functorIS9_EEEE10hipError_tPvRmT1_T2_T3_mT4_P12ihipStream_tbEUlT_E0_NS1_11comp_targetILNS1_3genE2ELNS1_11target_archE906ELNS1_3gpuE6ELNS1_3repE0EEENS1_30default_config_static_selectorELNS0_4arch9wavefront6targetE0EEEvS14_.num_vgpr, 0
	.set _ZN7rocprim17ROCPRIM_400000_NS6detail17trampoline_kernelINS0_14default_configENS1_22reduce_config_selectorIN6thrust23THRUST_200600_302600_NS5tupleIblNS6_9null_typeES8_S8_S8_S8_S8_S8_S8_EEEEZNS1_11reduce_implILb1ES3_NS6_12zip_iteratorINS7_INS6_11hip_rocprim26transform_input_iterator_tIbNSD_35transform_pair_of_input_iterators_tIbNS6_6detail15normal_iteratorINS6_10device_ptrIKxEEEESL_NS6_8equal_toIxEEEENSG_9not_fun_tINSD_8identityEEEEENSD_19counting_iterator_tIlEES8_S8_S8_S8_S8_S8_S8_S8_EEEEPS9_S9_NSD_9__find_if7functorIS9_EEEE10hipError_tPvRmT1_T2_T3_mT4_P12ihipStream_tbEUlT_E0_NS1_11comp_targetILNS1_3genE2ELNS1_11target_archE906ELNS1_3gpuE6ELNS1_3repE0EEENS1_30default_config_static_selectorELNS0_4arch9wavefront6targetE0EEEvS14_.num_agpr, 0
	.set _ZN7rocprim17ROCPRIM_400000_NS6detail17trampoline_kernelINS0_14default_configENS1_22reduce_config_selectorIN6thrust23THRUST_200600_302600_NS5tupleIblNS6_9null_typeES8_S8_S8_S8_S8_S8_S8_EEEEZNS1_11reduce_implILb1ES3_NS6_12zip_iteratorINS7_INS6_11hip_rocprim26transform_input_iterator_tIbNSD_35transform_pair_of_input_iterators_tIbNS6_6detail15normal_iteratorINS6_10device_ptrIKxEEEESL_NS6_8equal_toIxEEEENSG_9not_fun_tINSD_8identityEEEEENSD_19counting_iterator_tIlEES8_S8_S8_S8_S8_S8_S8_S8_EEEEPS9_S9_NSD_9__find_if7functorIS9_EEEE10hipError_tPvRmT1_T2_T3_mT4_P12ihipStream_tbEUlT_E0_NS1_11comp_targetILNS1_3genE2ELNS1_11target_archE906ELNS1_3gpuE6ELNS1_3repE0EEENS1_30default_config_static_selectorELNS0_4arch9wavefront6targetE0EEEvS14_.numbered_sgpr, 0
	.set _ZN7rocprim17ROCPRIM_400000_NS6detail17trampoline_kernelINS0_14default_configENS1_22reduce_config_selectorIN6thrust23THRUST_200600_302600_NS5tupleIblNS6_9null_typeES8_S8_S8_S8_S8_S8_S8_EEEEZNS1_11reduce_implILb1ES3_NS6_12zip_iteratorINS7_INS6_11hip_rocprim26transform_input_iterator_tIbNSD_35transform_pair_of_input_iterators_tIbNS6_6detail15normal_iteratorINS6_10device_ptrIKxEEEESL_NS6_8equal_toIxEEEENSG_9not_fun_tINSD_8identityEEEEENSD_19counting_iterator_tIlEES8_S8_S8_S8_S8_S8_S8_S8_EEEEPS9_S9_NSD_9__find_if7functorIS9_EEEE10hipError_tPvRmT1_T2_T3_mT4_P12ihipStream_tbEUlT_E0_NS1_11comp_targetILNS1_3genE2ELNS1_11target_archE906ELNS1_3gpuE6ELNS1_3repE0EEENS1_30default_config_static_selectorELNS0_4arch9wavefront6targetE0EEEvS14_.num_named_barrier, 0
	.set _ZN7rocprim17ROCPRIM_400000_NS6detail17trampoline_kernelINS0_14default_configENS1_22reduce_config_selectorIN6thrust23THRUST_200600_302600_NS5tupleIblNS6_9null_typeES8_S8_S8_S8_S8_S8_S8_EEEEZNS1_11reduce_implILb1ES3_NS6_12zip_iteratorINS7_INS6_11hip_rocprim26transform_input_iterator_tIbNSD_35transform_pair_of_input_iterators_tIbNS6_6detail15normal_iteratorINS6_10device_ptrIKxEEEESL_NS6_8equal_toIxEEEENSG_9not_fun_tINSD_8identityEEEEENSD_19counting_iterator_tIlEES8_S8_S8_S8_S8_S8_S8_S8_EEEEPS9_S9_NSD_9__find_if7functorIS9_EEEE10hipError_tPvRmT1_T2_T3_mT4_P12ihipStream_tbEUlT_E0_NS1_11comp_targetILNS1_3genE2ELNS1_11target_archE906ELNS1_3gpuE6ELNS1_3repE0EEENS1_30default_config_static_selectorELNS0_4arch9wavefront6targetE0EEEvS14_.private_seg_size, 0
	.set _ZN7rocprim17ROCPRIM_400000_NS6detail17trampoline_kernelINS0_14default_configENS1_22reduce_config_selectorIN6thrust23THRUST_200600_302600_NS5tupleIblNS6_9null_typeES8_S8_S8_S8_S8_S8_S8_EEEEZNS1_11reduce_implILb1ES3_NS6_12zip_iteratorINS7_INS6_11hip_rocprim26transform_input_iterator_tIbNSD_35transform_pair_of_input_iterators_tIbNS6_6detail15normal_iteratorINS6_10device_ptrIKxEEEESL_NS6_8equal_toIxEEEENSG_9not_fun_tINSD_8identityEEEEENSD_19counting_iterator_tIlEES8_S8_S8_S8_S8_S8_S8_S8_EEEEPS9_S9_NSD_9__find_if7functorIS9_EEEE10hipError_tPvRmT1_T2_T3_mT4_P12ihipStream_tbEUlT_E0_NS1_11comp_targetILNS1_3genE2ELNS1_11target_archE906ELNS1_3gpuE6ELNS1_3repE0EEENS1_30default_config_static_selectorELNS0_4arch9wavefront6targetE0EEEvS14_.uses_vcc, 0
	.set _ZN7rocprim17ROCPRIM_400000_NS6detail17trampoline_kernelINS0_14default_configENS1_22reduce_config_selectorIN6thrust23THRUST_200600_302600_NS5tupleIblNS6_9null_typeES8_S8_S8_S8_S8_S8_S8_EEEEZNS1_11reduce_implILb1ES3_NS6_12zip_iteratorINS7_INS6_11hip_rocprim26transform_input_iterator_tIbNSD_35transform_pair_of_input_iterators_tIbNS6_6detail15normal_iteratorINS6_10device_ptrIKxEEEESL_NS6_8equal_toIxEEEENSG_9not_fun_tINSD_8identityEEEEENSD_19counting_iterator_tIlEES8_S8_S8_S8_S8_S8_S8_S8_EEEEPS9_S9_NSD_9__find_if7functorIS9_EEEE10hipError_tPvRmT1_T2_T3_mT4_P12ihipStream_tbEUlT_E0_NS1_11comp_targetILNS1_3genE2ELNS1_11target_archE906ELNS1_3gpuE6ELNS1_3repE0EEENS1_30default_config_static_selectorELNS0_4arch9wavefront6targetE0EEEvS14_.uses_flat_scratch, 0
	.set _ZN7rocprim17ROCPRIM_400000_NS6detail17trampoline_kernelINS0_14default_configENS1_22reduce_config_selectorIN6thrust23THRUST_200600_302600_NS5tupleIblNS6_9null_typeES8_S8_S8_S8_S8_S8_S8_EEEEZNS1_11reduce_implILb1ES3_NS6_12zip_iteratorINS7_INS6_11hip_rocprim26transform_input_iterator_tIbNSD_35transform_pair_of_input_iterators_tIbNS6_6detail15normal_iteratorINS6_10device_ptrIKxEEEESL_NS6_8equal_toIxEEEENSG_9not_fun_tINSD_8identityEEEEENSD_19counting_iterator_tIlEES8_S8_S8_S8_S8_S8_S8_S8_EEEEPS9_S9_NSD_9__find_if7functorIS9_EEEE10hipError_tPvRmT1_T2_T3_mT4_P12ihipStream_tbEUlT_E0_NS1_11comp_targetILNS1_3genE2ELNS1_11target_archE906ELNS1_3gpuE6ELNS1_3repE0EEENS1_30default_config_static_selectorELNS0_4arch9wavefront6targetE0EEEvS14_.has_dyn_sized_stack, 0
	.set _ZN7rocprim17ROCPRIM_400000_NS6detail17trampoline_kernelINS0_14default_configENS1_22reduce_config_selectorIN6thrust23THRUST_200600_302600_NS5tupleIblNS6_9null_typeES8_S8_S8_S8_S8_S8_S8_EEEEZNS1_11reduce_implILb1ES3_NS6_12zip_iteratorINS7_INS6_11hip_rocprim26transform_input_iterator_tIbNSD_35transform_pair_of_input_iterators_tIbNS6_6detail15normal_iteratorINS6_10device_ptrIKxEEEESL_NS6_8equal_toIxEEEENSG_9not_fun_tINSD_8identityEEEEENSD_19counting_iterator_tIlEES8_S8_S8_S8_S8_S8_S8_S8_EEEEPS9_S9_NSD_9__find_if7functorIS9_EEEE10hipError_tPvRmT1_T2_T3_mT4_P12ihipStream_tbEUlT_E0_NS1_11comp_targetILNS1_3genE2ELNS1_11target_archE906ELNS1_3gpuE6ELNS1_3repE0EEENS1_30default_config_static_selectorELNS0_4arch9wavefront6targetE0EEEvS14_.has_recursion, 0
	.set _ZN7rocprim17ROCPRIM_400000_NS6detail17trampoline_kernelINS0_14default_configENS1_22reduce_config_selectorIN6thrust23THRUST_200600_302600_NS5tupleIblNS6_9null_typeES8_S8_S8_S8_S8_S8_S8_EEEEZNS1_11reduce_implILb1ES3_NS6_12zip_iteratorINS7_INS6_11hip_rocprim26transform_input_iterator_tIbNSD_35transform_pair_of_input_iterators_tIbNS6_6detail15normal_iteratorINS6_10device_ptrIKxEEEESL_NS6_8equal_toIxEEEENSG_9not_fun_tINSD_8identityEEEEENSD_19counting_iterator_tIlEES8_S8_S8_S8_S8_S8_S8_S8_EEEEPS9_S9_NSD_9__find_if7functorIS9_EEEE10hipError_tPvRmT1_T2_T3_mT4_P12ihipStream_tbEUlT_E0_NS1_11comp_targetILNS1_3genE2ELNS1_11target_archE906ELNS1_3gpuE6ELNS1_3repE0EEENS1_30default_config_static_selectorELNS0_4arch9wavefront6targetE0EEEvS14_.has_indirect_call, 0
	.section	.AMDGPU.csdata,"",@progbits
; Kernel info:
; codeLenInByte = 0
; TotalNumSgprs: 0
; NumVgprs: 0
; ScratchSize: 0
; MemoryBound: 0
; FloatMode: 240
; IeeeMode: 1
; LDSByteSize: 0 bytes/workgroup (compile time only)
; SGPRBlocks: 0
; VGPRBlocks: 0
; NumSGPRsForWavesPerEU: 1
; NumVGPRsForWavesPerEU: 1
; NamedBarCnt: 0
; Occupancy: 16
; WaveLimiterHint : 0
; COMPUTE_PGM_RSRC2:SCRATCH_EN: 0
; COMPUTE_PGM_RSRC2:USER_SGPR: 2
; COMPUTE_PGM_RSRC2:TRAP_HANDLER: 0
; COMPUTE_PGM_RSRC2:TGID_X_EN: 1
; COMPUTE_PGM_RSRC2:TGID_Y_EN: 0
; COMPUTE_PGM_RSRC2:TGID_Z_EN: 0
; COMPUTE_PGM_RSRC2:TIDIG_COMP_CNT: 0
	.section	.text._ZN7rocprim17ROCPRIM_400000_NS6detail17trampoline_kernelINS0_14default_configENS1_22reduce_config_selectorIN6thrust23THRUST_200600_302600_NS5tupleIblNS6_9null_typeES8_S8_S8_S8_S8_S8_S8_EEEEZNS1_11reduce_implILb1ES3_NS6_12zip_iteratorINS7_INS6_11hip_rocprim26transform_input_iterator_tIbNSD_35transform_pair_of_input_iterators_tIbNS6_6detail15normal_iteratorINS6_10device_ptrIKxEEEESL_NS6_8equal_toIxEEEENSG_9not_fun_tINSD_8identityEEEEENSD_19counting_iterator_tIlEES8_S8_S8_S8_S8_S8_S8_S8_EEEEPS9_S9_NSD_9__find_if7functorIS9_EEEE10hipError_tPvRmT1_T2_T3_mT4_P12ihipStream_tbEUlT_E0_NS1_11comp_targetILNS1_3genE10ELNS1_11target_archE1201ELNS1_3gpuE5ELNS1_3repE0EEENS1_30default_config_static_selectorELNS0_4arch9wavefront6targetE0EEEvS14_,"axG",@progbits,_ZN7rocprim17ROCPRIM_400000_NS6detail17trampoline_kernelINS0_14default_configENS1_22reduce_config_selectorIN6thrust23THRUST_200600_302600_NS5tupleIblNS6_9null_typeES8_S8_S8_S8_S8_S8_S8_EEEEZNS1_11reduce_implILb1ES3_NS6_12zip_iteratorINS7_INS6_11hip_rocprim26transform_input_iterator_tIbNSD_35transform_pair_of_input_iterators_tIbNS6_6detail15normal_iteratorINS6_10device_ptrIKxEEEESL_NS6_8equal_toIxEEEENSG_9not_fun_tINSD_8identityEEEEENSD_19counting_iterator_tIlEES8_S8_S8_S8_S8_S8_S8_S8_EEEEPS9_S9_NSD_9__find_if7functorIS9_EEEE10hipError_tPvRmT1_T2_T3_mT4_P12ihipStream_tbEUlT_E0_NS1_11comp_targetILNS1_3genE10ELNS1_11target_archE1201ELNS1_3gpuE5ELNS1_3repE0EEENS1_30default_config_static_selectorELNS0_4arch9wavefront6targetE0EEEvS14_,comdat
	.protected	_ZN7rocprim17ROCPRIM_400000_NS6detail17trampoline_kernelINS0_14default_configENS1_22reduce_config_selectorIN6thrust23THRUST_200600_302600_NS5tupleIblNS6_9null_typeES8_S8_S8_S8_S8_S8_S8_EEEEZNS1_11reduce_implILb1ES3_NS6_12zip_iteratorINS7_INS6_11hip_rocprim26transform_input_iterator_tIbNSD_35transform_pair_of_input_iterators_tIbNS6_6detail15normal_iteratorINS6_10device_ptrIKxEEEESL_NS6_8equal_toIxEEEENSG_9not_fun_tINSD_8identityEEEEENSD_19counting_iterator_tIlEES8_S8_S8_S8_S8_S8_S8_S8_EEEEPS9_S9_NSD_9__find_if7functorIS9_EEEE10hipError_tPvRmT1_T2_T3_mT4_P12ihipStream_tbEUlT_E0_NS1_11comp_targetILNS1_3genE10ELNS1_11target_archE1201ELNS1_3gpuE5ELNS1_3repE0EEENS1_30default_config_static_selectorELNS0_4arch9wavefront6targetE0EEEvS14_ ; -- Begin function _ZN7rocprim17ROCPRIM_400000_NS6detail17trampoline_kernelINS0_14default_configENS1_22reduce_config_selectorIN6thrust23THRUST_200600_302600_NS5tupleIblNS6_9null_typeES8_S8_S8_S8_S8_S8_S8_EEEEZNS1_11reduce_implILb1ES3_NS6_12zip_iteratorINS7_INS6_11hip_rocprim26transform_input_iterator_tIbNSD_35transform_pair_of_input_iterators_tIbNS6_6detail15normal_iteratorINS6_10device_ptrIKxEEEESL_NS6_8equal_toIxEEEENSG_9not_fun_tINSD_8identityEEEEENSD_19counting_iterator_tIlEES8_S8_S8_S8_S8_S8_S8_S8_EEEEPS9_S9_NSD_9__find_if7functorIS9_EEEE10hipError_tPvRmT1_T2_T3_mT4_P12ihipStream_tbEUlT_E0_NS1_11comp_targetILNS1_3genE10ELNS1_11target_archE1201ELNS1_3gpuE5ELNS1_3repE0EEENS1_30default_config_static_selectorELNS0_4arch9wavefront6targetE0EEEvS14_
	.globl	_ZN7rocprim17ROCPRIM_400000_NS6detail17trampoline_kernelINS0_14default_configENS1_22reduce_config_selectorIN6thrust23THRUST_200600_302600_NS5tupleIblNS6_9null_typeES8_S8_S8_S8_S8_S8_S8_EEEEZNS1_11reduce_implILb1ES3_NS6_12zip_iteratorINS7_INS6_11hip_rocprim26transform_input_iterator_tIbNSD_35transform_pair_of_input_iterators_tIbNS6_6detail15normal_iteratorINS6_10device_ptrIKxEEEESL_NS6_8equal_toIxEEEENSG_9not_fun_tINSD_8identityEEEEENSD_19counting_iterator_tIlEES8_S8_S8_S8_S8_S8_S8_S8_EEEEPS9_S9_NSD_9__find_if7functorIS9_EEEE10hipError_tPvRmT1_T2_T3_mT4_P12ihipStream_tbEUlT_E0_NS1_11comp_targetILNS1_3genE10ELNS1_11target_archE1201ELNS1_3gpuE5ELNS1_3repE0EEENS1_30default_config_static_selectorELNS0_4arch9wavefront6targetE0EEEvS14_
	.p2align	8
	.type	_ZN7rocprim17ROCPRIM_400000_NS6detail17trampoline_kernelINS0_14default_configENS1_22reduce_config_selectorIN6thrust23THRUST_200600_302600_NS5tupleIblNS6_9null_typeES8_S8_S8_S8_S8_S8_S8_EEEEZNS1_11reduce_implILb1ES3_NS6_12zip_iteratorINS7_INS6_11hip_rocprim26transform_input_iterator_tIbNSD_35transform_pair_of_input_iterators_tIbNS6_6detail15normal_iteratorINS6_10device_ptrIKxEEEESL_NS6_8equal_toIxEEEENSG_9not_fun_tINSD_8identityEEEEENSD_19counting_iterator_tIlEES8_S8_S8_S8_S8_S8_S8_S8_EEEEPS9_S9_NSD_9__find_if7functorIS9_EEEE10hipError_tPvRmT1_T2_T3_mT4_P12ihipStream_tbEUlT_E0_NS1_11comp_targetILNS1_3genE10ELNS1_11target_archE1201ELNS1_3gpuE5ELNS1_3repE0EEENS1_30default_config_static_selectorELNS0_4arch9wavefront6targetE0EEEvS14_,@function
_ZN7rocprim17ROCPRIM_400000_NS6detail17trampoline_kernelINS0_14default_configENS1_22reduce_config_selectorIN6thrust23THRUST_200600_302600_NS5tupleIblNS6_9null_typeES8_S8_S8_S8_S8_S8_S8_EEEEZNS1_11reduce_implILb1ES3_NS6_12zip_iteratorINS7_INS6_11hip_rocprim26transform_input_iterator_tIbNSD_35transform_pair_of_input_iterators_tIbNS6_6detail15normal_iteratorINS6_10device_ptrIKxEEEESL_NS6_8equal_toIxEEEENSG_9not_fun_tINSD_8identityEEEEENSD_19counting_iterator_tIlEES8_S8_S8_S8_S8_S8_S8_S8_EEEEPS9_S9_NSD_9__find_if7functorIS9_EEEE10hipError_tPvRmT1_T2_T3_mT4_P12ihipStream_tbEUlT_E0_NS1_11comp_targetILNS1_3genE10ELNS1_11target_archE1201ELNS1_3gpuE5ELNS1_3repE0EEENS1_30default_config_static_selectorELNS0_4arch9wavefront6targetE0EEEvS14_: ; @_ZN7rocprim17ROCPRIM_400000_NS6detail17trampoline_kernelINS0_14default_configENS1_22reduce_config_selectorIN6thrust23THRUST_200600_302600_NS5tupleIblNS6_9null_typeES8_S8_S8_S8_S8_S8_S8_EEEEZNS1_11reduce_implILb1ES3_NS6_12zip_iteratorINS7_INS6_11hip_rocprim26transform_input_iterator_tIbNSD_35transform_pair_of_input_iterators_tIbNS6_6detail15normal_iteratorINS6_10device_ptrIKxEEEESL_NS6_8equal_toIxEEEENSG_9not_fun_tINSD_8identityEEEEENSD_19counting_iterator_tIlEES8_S8_S8_S8_S8_S8_S8_S8_EEEEPS9_S9_NSD_9__find_if7functorIS9_EEEE10hipError_tPvRmT1_T2_T3_mT4_P12ihipStream_tbEUlT_E0_NS1_11comp_targetILNS1_3genE10ELNS1_11target_archE1201ELNS1_3gpuE5ELNS1_3repE0EEENS1_30default_config_static_selectorELNS0_4arch9wavefront6targetE0EEEvS14_
; %bb.0:
	.section	.rodata,"a",@progbits
	.p2align	6, 0x0
	.amdhsa_kernel _ZN7rocprim17ROCPRIM_400000_NS6detail17trampoline_kernelINS0_14default_configENS1_22reduce_config_selectorIN6thrust23THRUST_200600_302600_NS5tupleIblNS6_9null_typeES8_S8_S8_S8_S8_S8_S8_EEEEZNS1_11reduce_implILb1ES3_NS6_12zip_iteratorINS7_INS6_11hip_rocprim26transform_input_iterator_tIbNSD_35transform_pair_of_input_iterators_tIbNS6_6detail15normal_iteratorINS6_10device_ptrIKxEEEESL_NS6_8equal_toIxEEEENSG_9not_fun_tINSD_8identityEEEEENSD_19counting_iterator_tIlEES8_S8_S8_S8_S8_S8_S8_S8_EEEEPS9_S9_NSD_9__find_if7functorIS9_EEEE10hipError_tPvRmT1_T2_T3_mT4_P12ihipStream_tbEUlT_E0_NS1_11comp_targetILNS1_3genE10ELNS1_11target_archE1201ELNS1_3gpuE5ELNS1_3repE0EEENS1_30default_config_static_selectorELNS0_4arch9wavefront6targetE0EEEvS14_
		.amdhsa_group_segment_fixed_size 0
		.amdhsa_private_segment_fixed_size 0
		.amdhsa_kernarg_size 104
		.amdhsa_user_sgpr_count 2
		.amdhsa_user_sgpr_dispatch_ptr 0
		.amdhsa_user_sgpr_queue_ptr 0
		.amdhsa_user_sgpr_kernarg_segment_ptr 1
		.amdhsa_user_sgpr_dispatch_id 0
		.amdhsa_user_sgpr_kernarg_preload_length 0
		.amdhsa_user_sgpr_kernarg_preload_offset 0
		.amdhsa_user_sgpr_private_segment_size 0
		.amdhsa_wavefront_size32 1
		.amdhsa_uses_dynamic_stack 0
		.amdhsa_enable_private_segment 0
		.amdhsa_system_sgpr_workgroup_id_x 1
		.amdhsa_system_sgpr_workgroup_id_y 0
		.amdhsa_system_sgpr_workgroup_id_z 0
		.amdhsa_system_sgpr_workgroup_info 0
		.amdhsa_system_vgpr_workitem_id 0
		.amdhsa_next_free_vgpr 1
		.amdhsa_next_free_sgpr 1
		.amdhsa_named_barrier_count 0
		.amdhsa_reserve_vcc 0
		.amdhsa_float_round_mode_32 0
		.amdhsa_float_round_mode_16_64 0
		.amdhsa_float_denorm_mode_32 3
		.amdhsa_float_denorm_mode_16_64 3
		.amdhsa_fp16_overflow 0
		.amdhsa_memory_ordered 1
		.amdhsa_forward_progress 1
		.amdhsa_inst_pref_size 0
		.amdhsa_round_robin_scheduling 0
		.amdhsa_exception_fp_ieee_invalid_op 0
		.amdhsa_exception_fp_denorm_src 0
		.amdhsa_exception_fp_ieee_div_zero 0
		.amdhsa_exception_fp_ieee_overflow 0
		.amdhsa_exception_fp_ieee_underflow 0
		.amdhsa_exception_fp_ieee_inexact 0
		.amdhsa_exception_int_div_zero 0
	.end_amdhsa_kernel
	.section	.text._ZN7rocprim17ROCPRIM_400000_NS6detail17trampoline_kernelINS0_14default_configENS1_22reduce_config_selectorIN6thrust23THRUST_200600_302600_NS5tupleIblNS6_9null_typeES8_S8_S8_S8_S8_S8_S8_EEEEZNS1_11reduce_implILb1ES3_NS6_12zip_iteratorINS7_INS6_11hip_rocprim26transform_input_iterator_tIbNSD_35transform_pair_of_input_iterators_tIbNS6_6detail15normal_iteratorINS6_10device_ptrIKxEEEESL_NS6_8equal_toIxEEEENSG_9not_fun_tINSD_8identityEEEEENSD_19counting_iterator_tIlEES8_S8_S8_S8_S8_S8_S8_S8_EEEEPS9_S9_NSD_9__find_if7functorIS9_EEEE10hipError_tPvRmT1_T2_T3_mT4_P12ihipStream_tbEUlT_E0_NS1_11comp_targetILNS1_3genE10ELNS1_11target_archE1201ELNS1_3gpuE5ELNS1_3repE0EEENS1_30default_config_static_selectorELNS0_4arch9wavefront6targetE0EEEvS14_,"axG",@progbits,_ZN7rocprim17ROCPRIM_400000_NS6detail17trampoline_kernelINS0_14default_configENS1_22reduce_config_selectorIN6thrust23THRUST_200600_302600_NS5tupleIblNS6_9null_typeES8_S8_S8_S8_S8_S8_S8_EEEEZNS1_11reduce_implILb1ES3_NS6_12zip_iteratorINS7_INS6_11hip_rocprim26transform_input_iterator_tIbNSD_35transform_pair_of_input_iterators_tIbNS6_6detail15normal_iteratorINS6_10device_ptrIKxEEEESL_NS6_8equal_toIxEEEENSG_9not_fun_tINSD_8identityEEEEENSD_19counting_iterator_tIlEES8_S8_S8_S8_S8_S8_S8_S8_EEEEPS9_S9_NSD_9__find_if7functorIS9_EEEE10hipError_tPvRmT1_T2_T3_mT4_P12ihipStream_tbEUlT_E0_NS1_11comp_targetILNS1_3genE10ELNS1_11target_archE1201ELNS1_3gpuE5ELNS1_3repE0EEENS1_30default_config_static_selectorELNS0_4arch9wavefront6targetE0EEEvS14_,comdat
.Lfunc_end230:
	.size	_ZN7rocprim17ROCPRIM_400000_NS6detail17trampoline_kernelINS0_14default_configENS1_22reduce_config_selectorIN6thrust23THRUST_200600_302600_NS5tupleIblNS6_9null_typeES8_S8_S8_S8_S8_S8_S8_EEEEZNS1_11reduce_implILb1ES3_NS6_12zip_iteratorINS7_INS6_11hip_rocprim26transform_input_iterator_tIbNSD_35transform_pair_of_input_iterators_tIbNS6_6detail15normal_iteratorINS6_10device_ptrIKxEEEESL_NS6_8equal_toIxEEEENSG_9not_fun_tINSD_8identityEEEEENSD_19counting_iterator_tIlEES8_S8_S8_S8_S8_S8_S8_S8_EEEEPS9_S9_NSD_9__find_if7functorIS9_EEEE10hipError_tPvRmT1_T2_T3_mT4_P12ihipStream_tbEUlT_E0_NS1_11comp_targetILNS1_3genE10ELNS1_11target_archE1201ELNS1_3gpuE5ELNS1_3repE0EEENS1_30default_config_static_selectorELNS0_4arch9wavefront6targetE0EEEvS14_, .Lfunc_end230-_ZN7rocprim17ROCPRIM_400000_NS6detail17trampoline_kernelINS0_14default_configENS1_22reduce_config_selectorIN6thrust23THRUST_200600_302600_NS5tupleIblNS6_9null_typeES8_S8_S8_S8_S8_S8_S8_EEEEZNS1_11reduce_implILb1ES3_NS6_12zip_iteratorINS7_INS6_11hip_rocprim26transform_input_iterator_tIbNSD_35transform_pair_of_input_iterators_tIbNS6_6detail15normal_iteratorINS6_10device_ptrIKxEEEESL_NS6_8equal_toIxEEEENSG_9not_fun_tINSD_8identityEEEEENSD_19counting_iterator_tIlEES8_S8_S8_S8_S8_S8_S8_S8_EEEEPS9_S9_NSD_9__find_if7functorIS9_EEEE10hipError_tPvRmT1_T2_T3_mT4_P12ihipStream_tbEUlT_E0_NS1_11comp_targetILNS1_3genE10ELNS1_11target_archE1201ELNS1_3gpuE5ELNS1_3repE0EEENS1_30default_config_static_selectorELNS0_4arch9wavefront6targetE0EEEvS14_
                                        ; -- End function
	.set _ZN7rocprim17ROCPRIM_400000_NS6detail17trampoline_kernelINS0_14default_configENS1_22reduce_config_selectorIN6thrust23THRUST_200600_302600_NS5tupleIblNS6_9null_typeES8_S8_S8_S8_S8_S8_S8_EEEEZNS1_11reduce_implILb1ES3_NS6_12zip_iteratorINS7_INS6_11hip_rocprim26transform_input_iterator_tIbNSD_35transform_pair_of_input_iterators_tIbNS6_6detail15normal_iteratorINS6_10device_ptrIKxEEEESL_NS6_8equal_toIxEEEENSG_9not_fun_tINSD_8identityEEEEENSD_19counting_iterator_tIlEES8_S8_S8_S8_S8_S8_S8_S8_EEEEPS9_S9_NSD_9__find_if7functorIS9_EEEE10hipError_tPvRmT1_T2_T3_mT4_P12ihipStream_tbEUlT_E0_NS1_11comp_targetILNS1_3genE10ELNS1_11target_archE1201ELNS1_3gpuE5ELNS1_3repE0EEENS1_30default_config_static_selectorELNS0_4arch9wavefront6targetE0EEEvS14_.num_vgpr, 0
	.set _ZN7rocprim17ROCPRIM_400000_NS6detail17trampoline_kernelINS0_14default_configENS1_22reduce_config_selectorIN6thrust23THRUST_200600_302600_NS5tupleIblNS6_9null_typeES8_S8_S8_S8_S8_S8_S8_EEEEZNS1_11reduce_implILb1ES3_NS6_12zip_iteratorINS7_INS6_11hip_rocprim26transform_input_iterator_tIbNSD_35transform_pair_of_input_iterators_tIbNS6_6detail15normal_iteratorINS6_10device_ptrIKxEEEESL_NS6_8equal_toIxEEEENSG_9not_fun_tINSD_8identityEEEEENSD_19counting_iterator_tIlEES8_S8_S8_S8_S8_S8_S8_S8_EEEEPS9_S9_NSD_9__find_if7functorIS9_EEEE10hipError_tPvRmT1_T2_T3_mT4_P12ihipStream_tbEUlT_E0_NS1_11comp_targetILNS1_3genE10ELNS1_11target_archE1201ELNS1_3gpuE5ELNS1_3repE0EEENS1_30default_config_static_selectorELNS0_4arch9wavefront6targetE0EEEvS14_.num_agpr, 0
	.set _ZN7rocprim17ROCPRIM_400000_NS6detail17trampoline_kernelINS0_14default_configENS1_22reduce_config_selectorIN6thrust23THRUST_200600_302600_NS5tupleIblNS6_9null_typeES8_S8_S8_S8_S8_S8_S8_EEEEZNS1_11reduce_implILb1ES3_NS6_12zip_iteratorINS7_INS6_11hip_rocprim26transform_input_iterator_tIbNSD_35transform_pair_of_input_iterators_tIbNS6_6detail15normal_iteratorINS6_10device_ptrIKxEEEESL_NS6_8equal_toIxEEEENSG_9not_fun_tINSD_8identityEEEEENSD_19counting_iterator_tIlEES8_S8_S8_S8_S8_S8_S8_S8_EEEEPS9_S9_NSD_9__find_if7functorIS9_EEEE10hipError_tPvRmT1_T2_T3_mT4_P12ihipStream_tbEUlT_E0_NS1_11comp_targetILNS1_3genE10ELNS1_11target_archE1201ELNS1_3gpuE5ELNS1_3repE0EEENS1_30default_config_static_selectorELNS0_4arch9wavefront6targetE0EEEvS14_.numbered_sgpr, 0
	.set _ZN7rocprim17ROCPRIM_400000_NS6detail17trampoline_kernelINS0_14default_configENS1_22reduce_config_selectorIN6thrust23THRUST_200600_302600_NS5tupleIblNS6_9null_typeES8_S8_S8_S8_S8_S8_S8_EEEEZNS1_11reduce_implILb1ES3_NS6_12zip_iteratorINS7_INS6_11hip_rocprim26transform_input_iterator_tIbNSD_35transform_pair_of_input_iterators_tIbNS6_6detail15normal_iteratorINS6_10device_ptrIKxEEEESL_NS6_8equal_toIxEEEENSG_9not_fun_tINSD_8identityEEEEENSD_19counting_iterator_tIlEES8_S8_S8_S8_S8_S8_S8_S8_EEEEPS9_S9_NSD_9__find_if7functorIS9_EEEE10hipError_tPvRmT1_T2_T3_mT4_P12ihipStream_tbEUlT_E0_NS1_11comp_targetILNS1_3genE10ELNS1_11target_archE1201ELNS1_3gpuE5ELNS1_3repE0EEENS1_30default_config_static_selectorELNS0_4arch9wavefront6targetE0EEEvS14_.num_named_barrier, 0
	.set _ZN7rocprim17ROCPRIM_400000_NS6detail17trampoline_kernelINS0_14default_configENS1_22reduce_config_selectorIN6thrust23THRUST_200600_302600_NS5tupleIblNS6_9null_typeES8_S8_S8_S8_S8_S8_S8_EEEEZNS1_11reduce_implILb1ES3_NS6_12zip_iteratorINS7_INS6_11hip_rocprim26transform_input_iterator_tIbNSD_35transform_pair_of_input_iterators_tIbNS6_6detail15normal_iteratorINS6_10device_ptrIKxEEEESL_NS6_8equal_toIxEEEENSG_9not_fun_tINSD_8identityEEEEENSD_19counting_iterator_tIlEES8_S8_S8_S8_S8_S8_S8_S8_EEEEPS9_S9_NSD_9__find_if7functorIS9_EEEE10hipError_tPvRmT1_T2_T3_mT4_P12ihipStream_tbEUlT_E0_NS1_11comp_targetILNS1_3genE10ELNS1_11target_archE1201ELNS1_3gpuE5ELNS1_3repE0EEENS1_30default_config_static_selectorELNS0_4arch9wavefront6targetE0EEEvS14_.private_seg_size, 0
	.set _ZN7rocprim17ROCPRIM_400000_NS6detail17trampoline_kernelINS0_14default_configENS1_22reduce_config_selectorIN6thrust23THRUST_200600_302600_NS5tupleIblNS6_9null_typeES8_S8_S8_S8_S8_S8_S8_EEEEZNS1_11reduce_implILb1ES3_NS6_12zip_iteratorINS7_INS6_11hip_rocprim26transform_input_iterator_tIbNSD_35transform_pair_of_input_iterators_tIbNS6_6detail15normal_iteratorINS6_10device_ptrIKxEEEESL_NS6_8equal_toIxEEEENSG_9not_fun_tINSD_8identityEEEEENSD_19counting_iterator_tIlEES8_S8_S8_S8_S8_S8_S8_S8_EEEEPS9_S9_NSD_9__find_if7functorIS9_EEEE10hipError_tPvRmT1_T2_T3_mT4_P12ihipStream_tbEUlT_E0_NS1_11comp_targetILNS1_3genE10ELNS1_11target_archE1201ELNS1_3gpuE5ELNS1_3repE0EEENS1_30default_config_static_selectorELNS0_4arch9wavefront6targetE0EEEvS14_.uses_vcc, 0
	.set _ZN7rocprim17ROCPRIM_400000_NS6detail17trampoline_kernelINS0_14default_configENS1_22reduce_config_selectorIN6thrust23THRUST_200600_302600_NS5tupleIblNS6_9null_typeES8_S8_S8_S8_S8_S8_S8_EEEEZNS1_11reduce_implILb1ES3_NS6_12zip_iteratorINS7_INS6_11hip_rocprim26transform_input_iterator_tIbNSD_35transform_pair_of_input_iterators_tIbNS6_6detail15normal_iteratorINS6_10device_ptrIKxEEEESL_NS6_8equal_toIxEEEENSG_9not_fun_tINSD_8identityEEEEENSD_19counting_iterator_tIlEES8_S8_S8_S8_S8_S8_S8_S8_EEEEPS9_S9_NSD_9__find_if7functorIS9_EEEE10hipError_tPvRmT1_T2_T3_mT4_P12ihipStream_tbEUlT_E0_NS1_11comp_targetILNS1_3genE10ELNS1_11target_archE1201ELNS1_3gpuE5ELNS1_3repE0EEENS1_30default_config_static_selectorELNS0_4arch9wavefront6targetE0EEEvS14_.uses_flat_scratch, 0
	.set _ZN7rocprim17ROCPRIM_400000_NS6detail17trampoline_kernelINS0_14default_configENS1_22reduce_config_selectorIN6thrust23THRUST_200600_302600_NS5tupleIblNS6_9null_typeES8_S8_S8_S8_S8_S8_S8_EEEEZNS1_11reduce_implILb1ES3_NS6_12zip_iteratorINS7_INS6_11hip_rocprim26transform_input_iterator_tIbNSD_35transform_pair_of_input_iterators_tIbNS6_6detail15normal_iteratorINS6_10device_ptrIKxEEEESL_NS6_8equal_toIxEEEENSG_9not_fun_tINSD_8identityEEEEENSD_19counting_iterator_tIlEES8_S8_S8_S8_S8_S8_S8_S8_EEEEPS9_S9_NSD_9__find_if7functorIS9_EEEE10hipError_tPvRmT1_T2_T3_mT4_P12ihipStream_tbEUlT_E0_NS1_11comp_targetILNS1_3genE10ELNS1_11target_archE1201ELNS1_3gpuE5ELNS1_3repE0EEENS1_30default_config_static_selectorELNS0_4arch9wavefront6targetE0EEEvS14_.has_dyn_sized_stack, 0
	.set _ZN7rocprim17ROCPRIM_400000_NS6detail17trampoline_kernelINS0_14default_configENS1_22reduce_config_selectorIN6thrust23THRUST_200600_302600_NS5tupleIblNS6_9null_typeES8_S8_S8_S8_S8_S8_S8_EEEEZNS1_11reduce_implILb1ES3_NS6_12zip_iteratorINS7_INS6_11hip_rocprim26transform_input_iterator_tIbNSD_35transform_pair_of_input_iterators_tIbNS6_6detail15normal_iteratorINS6_10device_ptrIKxEEEESL_NS6_8equal_toIxEEEENSG_9not_fun_tINSD_8identityEEEEENSD_19counting_iterator_tIlEES8_S8_S8_S8_S8_S8_S8_S8_EEEEPS9_S9_NSD_9__find_if7functorIS9_EEEE10hipError_tPvRmT1_T2_T3_mT4_P12ihipStream_tbEUlT_E0_NS1_11comp_targetILNS1_3genE10ELNS1_11target_archE1201ELNS1_3gpuE5ELNS1_3repE0EEENS1_30default_config_static_selectorELNS0_4arch9wavefront6targetE0EEEvS14_.has_recursion, 0
	.set _ZN7rocprim17ROCPRIM_400000_NS6detail17trampoline_kernelINS0_14default_configENS1_22reduce_config_selectorIN6thrust23THRUST_200600_302600_NS5tupleIblNS6_9null_typeES8_S8_S8_S8_S8_S8_S8_EEEEZNS1_11reduce_implILb1ES3_NS6_12zip_iteratorINS7_INS6_11hip_rocprim26transform_input_iterator_tIbNSD_35transform_pair_of_input_iterators_tIbNS6_6detail15normal_iteratorINS6_10device_ptrIKxEEEESL_NS6_8equal_toIxEEEENSG_9not_fun_tINSD_8identityEEEEENSD_19counting_iterator_tIlEES8_S8_S8_S8_S8_S8_S8_S8_EEEEPS9_S9_NSD_9__find_if7functorIS9_EEEE10hipError_tPvRmT1_T2_T3_mT4_P12ihipStream_tbEUlT_E0_NS1_11comp_targetILNS1_3genE10ELNS1_11target_archE1201ELNS1_3gpuE5ELNS1_3repE0EEENS1_30default_config_static_selectorELNS0_4arch9wavefront6targetE0EEEvS14_.has_indirect_call, 0
	.section	.AMDGPU.csdata,"",@progbits
; Kernel info:
; codeLenInByte = 0
; TotalNumSgprs: 0
; NumVgprs: 0
; ScratchSize: 0
; MemoryBound: 0
; FloatMode: 240
; IeeeMode: 1
; LDSByteSize: 0 bytes/workgroup (compile time only)
; SGPRBlocks: 0
; VGPRBlocks: 0
; NumSGPRsForWavesPerEU: 1
; NumVGPRsForWavesPerEU: 1
; NamedBarCnt: 0
; Occupancy: 16
; WaveLimiterHint : 0
; COMPUTE_PGM_RSRC2:SCRATCH_EN: 0
; COMPUTE_PGM_RSRC2:USER_SGPR: 2
; COMPUTE_PGM_RSRC2:TRAP_HANDLER: 0
; COMPUTE_PGM_RSRC2:TGID_X_EN: 1
; COMPUTE_PGM_RSRC2:TGID_Y_EN: 0
; COMPUTE_PGM_RSRC2:TGID_Z_EN: 0
; COMPUTE_PGM_RSRC2:TIDIG_COMP_CNT: 0
	.section	.text._ZN7rocprim17ROCPRIM_400000_NS6detail17trampoline_kernelINS0_14default_configENS1_22reduce_config_selectorIN6thrust23THRUST_200600_302600_NS5tupleIblNS6_9null_typeES8_S8_S8_S8_S8_S8_S8_EEEEZNS1_11reduce_implILb1ES3_NS6_12zip_iteratorINS7_INS6_11hip_rocprim26transform_input_iterator_tIbNSD_35transform_pair_of_input_iterators_tIbNS6_6detail15normal_iteratorINS6_10device_ptrIKxEEEESL_NS6_8equal_toIxEEEENSG_9not_fun_tINSD_8identityEEEEENSD_19counting_iterator_tIlEES8_S8_S8_S8_S8_S8_S8_S8_EEEEPS9_S9_NSD_9__find_if7functorIS9_EEEE10hipError_tPvRmT1_T2_T3_mT4_P12ihipStream_tbEUlT_E0_NS1_11comp_targetILNS1_3genE10ELNS1_11target_archE1200ELNS1_3gpuE4ELNS1_3repE0EEENS1_30default_config_static_selectorELNS0_4arch9wavefront6targetE0EEEvS14_,"axG",@progbits,_ZN7rocprim17ROCPRIM_400000_NS6detail17trampoline_kernelINS0_14default_configENS1_22reduce_config_selectorIN6thrust23THRUST_200600_302600_NS5tupleIblNS6_9null_typeES8_S8_S8_S8_S8_S8_S8_EEEEZNS1_11reduce_implILb1ES3_NS6_12zip_iteratorINS7_INS6_11hip_rocprim26transform_input_iterator_tIbNSD_35transform_pair_of_input_iterators_tIbNS6_6detail15normal_iteratorINS6_10device_ptrIKxEEEESL_NS6_8equal_toIxEEEENSG_9not_fun_tINSD_8identityEEEEENSD_19counting_iterator_tIlEES8_S8_S8_S8_S8_S8_S8_S8_EEEEPS9_S9_NSD_9__find_if7functorIS9_EEEE10hipError_tPvRmT1_T2_T3_mT4_P12ihipStream_tbEUlT_E0_NS1_11comp_targetILNS1_3genE10ELNS1_11target_archE1200ELNS1_3gpuE4ELNS1_3repE0EEENS1_30default_config_static_selectorELNS0_4arch9wavefront6targetE0EEEvS14_,comdat
	.protected	_ZN7rocprim17ROCPRIM_400000_NS6detail17trampoline_kernelINS0_14default_configENS1_22reduce_config_selectorIN6thrust23THRUST_200600_302600_NS5tupleIblNS6_9null_typeES8_S8_S8_S8_S8_S8_S8_EEEEZNS1_11reduce_implILb1ES3_NS6_12zip_iteratorINS7_INS6_11hip_rocprim26transform_input_iterator_tIbNSD_35transform_pair_of_input_iterators_tIbNS6_6detail15normal_iteratorINS6_10device_ptrIKxEEEESL_NS6_8equal_toIxEEEENSG_9not_fun_tINSD_8identityEEEEENSD_19counting_iterator_tIlEES8_S8_S8_S8_S8_S8_S8_S8_EEEEPS9_S9_NSD_9__find_if7functorIS9_EEEE10hipError_tPvRmT1_T2_T3_mT4_P12ihipStream_tbEUlT_E0_NS1_11comp_targetILNS1_3genE10ELNS1_11target_archE1200ELNS1_3gpuE4ELNS1_3repE0EEENS1_30default_config_static_selectorELNS0_4arch9wavefront6targetE0EEEvS14_ ; -- Begin function _ZN7rocprim17ROCPRIM_400000_NS6detail17trampoline_kernelINS0_14default_configENS1_22reduce_config_selectorIN6thrust23THRUST_200600_302600_NS5tupleIblNS6_9null_typeES8_S8_S8_S8_S8_S8_S8_EEEEZNS1_11reduce_implILb1ES3_NS6_12zip_iteratorINS7_INS6_11hip_rocprim26transform_input_iterator_tIbNSD_35transform_pair_of_input_iterators_tIbNS6_6detail15normal_iteratorINS6_10device_ptrIKxEEEESL_NS6_8equal_toIxEEEENSG_9not_fun_tINSD_8identityEEEEENSD_19counting_iterator_tIlEES8_S8_S8_S8_S8_S8_S8_S8_EEEEPS9_S9_NSD_9__find_if7functorIS9_EEEE10hipError_tPvRmT1_T2_T3_mT4_P12ihipStream_tbEUlT_E0_NS1_11comp_targetILNS1_3genE10ELNS1_11target_archE1200ELNS1_3gpuE4ELNS1_3repE0EEENS1_30default_config_static_selectorELNS0_4arch9wavefront6targetE0EEEvS14_
	.globl	_ZN7rocprim17ROCPRIM_400000_NS6detail17trampoline_kernelINS0_14default_configENS1_22reduce_config_selectorIN6thrust23THRUST_200600_302600_NS5tupleIblNS6_9null_typeES8_S8_S8_S8_S8_S8_S8_EEEEZNS1_11reduce_implILb1ES3_NS6_12zip_iteratorINS7_INS6_11hip_rocprim26transform_input_iterator_tIbNSD_35transform_pair_of_input_iterators_tIbNS6_6detail15normal_iteratorINS6_10device_ptrIKxEEEESL_NS6_8equal_toIxEEEENSG_9not_fun_tINSD_8identityEEEEENSD_19counting_iterator_tIlEES8_S8_S8_S8_S8_S8_S8_S8_EEEEPS9_S9_NSD_9__find_if7functorIS9_EEEE10hipError_tPvRmT1_T2_T3_mT4_P12ihipStream_tbEUlT_E0_NS1_11comp_targetILNS1_3genE10ELNS1_11target_archE1200ELNS1_3gpuE4ELNS1_3repE0EEENS1_30default_config_static_selectorELNS0_4arch9wavefront6targetE0EEEvS14_
	.p2align	8
	.type	_ZN7rocprim17ROCPRIM_400000_NS6detail17trampoline_kernelINS0_14default_configENS1_22reduce_config_selectorIN6thrust23THRUST_200600_302600_NS5tupleIblNS6_9null_typeES8_S8_S8_S8_S8_S8_S8_EEEEZNS1_11reduce_implILb1ES3_NS6_12zip_iteratorINS7_INS6_11hip_rocprim26transform_input_iterator_tIbNSD_35transform_pair_of_input_iterators_tIbNS6_6detail15normal_iteratorINS6_10device_ptrIKxEEEESL_NS6_8equal_toIxEEEENSG_9not_fun_tINSD_8identityEEEEENSD_19counting_iterator_tIlEES8_S8_S8_S8_S8_S8_S8_S8_EEEEPS9_S9_NSD_9__find_if7functorIS9_EEEE10hipError_tPvRmT1_T2_T3_mT4_P12ihipStream_tbEUlT_E0_NS1_11comp_targetILNS1_3genE10ELNS1_11target_archE1200ELNS1_3gpuE4ELNS1_3repE0EEENS1_30default_config_static_selectorELNS0_4arch9wavefront6targetE0EEEvS14_,@function
_ZN7rocprim17ROCPRIM_400000_NS6detail17trampoline_kernelINS0_14default_configENS1_22reduce_config_selectorIN6thrust23THRUST_200600_302600_NS5tupleIblNS6_9null_typeES8_S8_S8_S8_S8_S8_S8_EEEEZNS1_11reduce_implILb1ES3_NS6_12zip_iteratorINS7_INS6_11hip_rocprim26transform_input_iterator_tIbNSD_35transform_pair_of_input_iterators_tIbNS6_6detail15normal_iteratorINS6_10device_ptrIKxEEEESL_NS6_8equal_toIxEEEENSG_9not_fun_tINSD_8identityEEEEENSD_19counting_iterator_tIlEES8_S8_S8_S8_S8_S8_S8_S8_EEEEPS9_S9_NSD_9__find_if7functorIS9_EEEE10hipError_tPvRmT1_T2_T3_mT4_P12ihipStream_tbEUlT_E0_NS1_11comp_targetILNS1_3genE10ELNS1_11target_archE1200ELNS1_3gpuE4ELNS1_3repE0EEENS1_30default_config_static_selectorELNS0_4arch9wavefront6targetE0EEEvS14_: ; @_ZN7rocprim17ROCPRIM_400000_NS6detail17trampoline_kernelINS0_14default_configENS1_22reduce_config_selectorIN6thrust23THRUST_200600_302600_NS5tupleIblNS6_9null_typeES8_S8_S8_S8_S8_S8_S8_EEEEZNS1_11reduce_implILb1ES3_NS6_12zip_iteratorINS7_INS6_11hip_rocprim26transform_input_iterator_tIbNSD_35transform_pair_of_input_iterators_tIbNS6_6detail15normal_iteratorINS6_10device_ptrIKxEEEESL_NS6_8equal_toIxEEEENSG_9not_fun_tINSD_8identityEEEEENSD_19counting_iterator_tIlEES8_S8_S8_S8_S8_S8_S8_S8_EEEEPS9_S9_NSD_9__find_if7functorIS9_EEEE10hipError_tPvRmT1_T2_T3_mT4_P12ihipStream_tbEUlT_E0_NS1_11comp_targetILNS1_3genE10ELNS1_11target_archE1200ELNS1_3gpuE4ELNS1_3repE0EEENS1_30default_config_static_selectorELNS0_4arch9wavefront6targetE0EEEvS14_
; %bb.0:
	.section	.rodata,"a",@progbits
	.p2align	6, 0x0
	.amdhsa_kernel _ZN7rocprim17ROCPRIM_400000_NS6detail17trampoline_kernelINS0_14default_configENS1_22reduce_config_selectorIN6thrust23THRUST_200600_302600_NS5tupleIblNS6_9null_typeES8_S8_S8_S8_S8_S8_S8_EEEEZNS1_11reduce_implILb1ES3_NS6_12zip_iteratorINS7_INS6_11hip_rocprim26transform_input_iterator_tIbNSD_35transform_pair_of_input_iterators_tIbNS6_6detail15normal_iteratorINS6_10device_ptrIKxEEEESL_NS6_8equal_toIxEEEENSG_9not_fun_tINSD_8identityEEEEENSD_19counting_iterator_tIlEES8_S8_S8_S8_S8_S8_S8_S8_EEEEPS9_S9_NSD_9__find_if7functorIS9_EEEE10hipError_tPvRmT1_T2_T3_mT4_P12ihipStream_tbEUlT_E0_NS1_11comp_targetILNS1_3genE10ELNS1_11target_archE1200ELNS1_3gpuE4ELNS1_3repE0EEENS1_30default_config_static_selectorELNS0_4arch9wavefront6targetE0EEEvS14_
		.amdhsa_group_segment_fixed_size 0
		.amdhsa_private_segment_fixed_size 0
		.amdhsa_kernarg_size 104
		.amdhsa_user_sgpr_count 2
		.amdhsa_user_sgpr_dispatch_ptr 0
		.amdhsa_user_sgpr_queue_ptr 0
		.amdhsa_user_sgpr_kernarg_segment_ptr 1
		.amdhsa_user_sgpr_dispatch_id 0
		.amdhsa_user_sgpr_kernarg_preload_length 0
		.amdhsa_user_sgpr_kernarg_preload_offset 0
		.amdhsa_user_sgpr_private_segment_size 0
		.amdhsa_wavefront_size32 1
		.amdhsa_uses_dynamic_stack 0
		.amdhsa_enable_private_segment 0
		.amdhsa_system_sgpr_workgroup_id_x 1
		.amdhsa_system_sgpr_workgroup_id_y 0
		.amdhsa_system_sgpr_workgroup_id_z 0
		.amdhsa_system_sgpr_workgroup_info 0
		.amdhsa_system_vgpr_workitem_id 0
		.amdhsa_next_free_vgpr 1
		.amdhsa_next_free_sgpr 1
		.amdhsa_named_barrier_count 0
		.amdhsa_reserve_vcc 0
		.amdhsa_float_round_mode_32 0
		.amdhsa_float_round_mode_16_64 0
		.amdhsa_float_denorm_mode_32 3
		.amdhsa_float_denorm_mode_16_64 3
		.amdhsa_fp16_overflow 0
		.amdhsa_memory_ordered 1
		.amdhsa_forward_progress 1
		.amdhsa_inst_pref_size 0
		.amdhsa_round_robin_scheduling 0
		.amdhsa_exception_fp_ieee_invalid_op 0
		.amdhsa_exception_fp_denorm_src 0
		.amdhsa_exception_fp_ieee_div_zero 0
		.amdhsa_exception_fp_ieee_overflow 0
		.amdhsa_exception_fp_ieee_underflow 0
		.amdhsa_exception_fp_ieee_inexact 0
		.amdhsa_exception_int_div_zero 0
	.end_amdhsa_kernel
	.section	.text._ZN7rocprim17ROCPRIM_400000_NS6detail17trampoline_kernelINS0_14default_configENS1_22reduce_config_selectorIN6thrust23THRUST_200600_302600_NS5tupleIblNS6_9null_typeES8_S8_S8_S8_S8_S8_S8_EEEEZNS1_11reduce_implILb1ES3_NS6_12zip_iteratorINS7_INS6_11hip_rocprim26transform_input_iterator_tIbNSD_35transform_pair_of_input_iterators_tIbNS6_6detail15normal_iteratorINS6_10device_ptrIKxEEEESL_NS6_8equal_toIxEEEENSG_9not_fun_tINSD_8identityEEEEENSD_19counting_iterator_tIlEES8_S8_S8_S8_S8_S8_S8_S8_EEEEPS9_S9_NSD_9__find_if7functorIS9_EEEE10hipError_tPvRmT1_T2_T3_mT4_P12ihipStream_tbEUlT_E0_NS1_11comp_targetILNS1_3genE10ELNS1_11target_archE1200ELNS1_3gpuE4ELNS1_3repE0EEENS1_30default_config_static_selectorELNS0_4arch9wavefront6targetE0EEEvS14_,"axG",@progbits,_ZN7rocprim17ROCPRIM_400000_NS6detail17trampoline_kernelINS0_14default_configENS1_22reduce_config_selectorIN6thrust23THRUST_200600_302600_NS5tupleIblNS6_9null_typeES8_S8_S8_S8_S8_S8_S8_EEEEZNS1_11reduce_implILb1ES3_NS6_12zip_iteratorINS7_INS6_11hip_rocprim26transform_input_iterator_tIbNSD_35transform_pair_of_input_iterators_tIbNS6_6detail15normal_iteratorINS6_10device_ptrIKxEEEESL_NS6_8equal_toIxEEEENSG_9not_fun_tINSD_8identityEEEEENSD_19counting_iterator_tIlEES8_S8_S8_S8_S8_S8_S8_S8_EEEEPS9_S9_NSD_9__find_if7functorIS9_EEEE10hipError_tPvRmT1_T2_T3_mT4_P12ihipStream_tbEUlT_E0_NS1_11comp_targetILNS1_3genE10ELNS1_11target_archE1200ELNS1_3gpuE4ELNS1_3repE0EEENS1_30default_config_static_selectorELNS0_4arch9wavefront6targetE0EEEvS14_,comdat
.Lfunc_end231:
	.size	_ZN7rocprim17ROCPRIM_400000_NS6detail17trampoline_kernelINS0_14default_configENS1_22reduce_config_selectorIN6thrust23THRUST_200600_302600_NS5tupleIblNS6_9null_typeES8_S8_S8_S8_S8_S8_S8_EEEEZNS1_11reduce_implILb1ES3_NS6_12zip_iteratorINS7_INS6_11hip_rocprim26transform_input_iterator_tIbNSD_35transform_pair_of_input_iterators_tIbNS6_6detail15normal_iteratorINS6_10device_ptrIKxEEEESL_NS6_8equal_toIxEEEENSG_9not_fun_tINSD_8identityEEEEENSD_19counting_iterator_tIlEES8_S8_S8_S8_S8_S8_S8_S8_EEEEPS9_S9_NSD_9__find_if7functorIS9_EEEE10hipError_tPvRmT1_T2_T3_mT4_P12ihipStream_tbEUlT_E0_NS1_11comp_targetILNS1_3genE10ELNS1_11target_archE1200ELNS1_3gpuE4ELNS1_3repE0EEENS1_30default_config_static_selectorELNS0_4arch9wavefront6targetE0EEEvS14_, .Lfunc_end231-_ZN7rocprim17ROCPRIM_400000_NS6detail17trampoline_kernelINS0_14default_configENS1_22reduce_config_selectorIN6thrust23THRUST_200600_302600_NS5tupleIblNS6_9null_typeES8_S8_S8_S8_S8_S8_S8_EEEEZNS1_11reduce_implILb1ES3_NS6_12zip_iteratorINS7_INS6_11hip_rocprim26transform_input_iterator_tIbNSD_35transform_pair_of_input_iterators_tIbNS6_6detail15normal_iteratorINS6_10device_ptrIKxEEEESL_NS6_8equal_toIxEEEENSG_9not_fun_tINSD_8identityEEEEENSD_19counting_iterator_tIlEES8_S8_S8_S8_S8_S8_S8_S8_EEEEPS9_S9_NSD_9__find_if7functorIS9_EEEE10hipError_tPvRmT1_T2_T3_mT4_P12ihipStream_tbEUlT_E0_NS1_11comp_targetILNS1_3genE10ELNS1_11target_archE1200ELNS1_3gpuE4ELNS1_3repE0EEENS1_30default_config_static_selectorELNS0_4arch9wavefront6targetE0EEEvS14_
                                        ; -- End function
	.set _ZN7rocprim17ROCPRIM_400000_NS6detail17trampoline_kernelINS0_14default_configENS1_22reduce_config_selectorIN6thrust23THRUST_200600_302600_NS5tupleIblNS6_9null_typeES8_S8_S8_S8_S8_S8_S8_EEEEZNS1_11reduce_implILb1ES3_NS6_12zip_iteratorINS7_INS6_11hip_rocprim26transform_input_iterator_tIbNSD_35transform_pair_of_input_iterators_tIbNS6_6detail15normal_iteratorINS6_10device_ptrIKxEEEESL_NS6_8equal_toIxEEEENSG_9not_fun_tINSD_8identityEEEEENSD_19counting_iterator_tIlEES8_S8_S8_S8_S8_S8_S8_S8_EEEEPS9_S9_NSD_9__find_if7functorIS9_EEEE10hipError_tPvRmT1_T2_T3_mT4_P12ihipStream_tbEUlT_E0_NS1_11comp_targetILNS1_3genE10ELNS1_11target_archE1200ELNS1_3gpuE4ELNS1_3repE0EEENS1_30default_config_static_selectorELNS0_4arch9wavefront6targetE0EEEvS14_.num_vgpr, 0
	.set _ZN7rocprim17ROCPRIM_400000_NS6detail17trampoline_kernelINS0_14default_configENS1_22reduce_config_selectorIN6thrust23THRUST_200600_302600_NS5tupleIblNS6_9null_typeES8_S8_S8_S8_S8_S8_S8_EEEEZNS1_11reduce_implILb1ES3_NS6_12zip_iteratorINS7_INS6_11hip_rocprim26transform_input_iterator_tIbNSD_35transform_pair_of_input_iterators_tIbNS6_6detail15normal_iteratorINS6_10device_ptrIKxEEEESL_NS6_8equal_toIxEEEENSG_9not_fun_tINSD_8identityEEEEENSD_19counting_iterator_tIlEES8_S8_S8_S8_S8_S8_S8_S8_EEEEPS9_S9_NSD_9__find_if7functorIS9_EEEE10hipError_tPvRmT1_T2_T3_mT4_P12ihipStream_tbEUlT_E0_NS1_11comp_targetILNS1_3genE10ELNS1_11target_archE1200ELNS1_3gpuE4ELNS1_3repE0EEENS1_30default_config_static_selectorELNS0_4arch9wavefront6targetE0EEEvS14_.num_agpr, 0
	.set _ZN7rocprim17ROCPRIM_400000_NS6detail17trampoline_kernelINS0_14default_configENS1_22reduce_config_selectorIN6thrust23THRUST_200600_302600_NS5tupleIblNS6_9null_typeES8_S8_S8_S8_S8_S8_S8_EEEEZNS1_11reduce_implILb1ES3_NS6_12zip_iteratorINS7_INS6_11hip_rocprim26transform_input_iterator_tIbNSD_35transform_pair_of_input_iterators_tIbNS6_6detail15normal_iteratorINS6_10device_ptrIKxEEEESL_NS6_8equal_toIxEEEENSG_9not_fun_tINSD_8identityEEEEENSD_19counting_iterator_tIlEES8_S8_S8_S8_S8_S8_S8_S8_EEEEPS9_S9_NSD_9__find_if7functorIS9_EEEE10hipError_tPvRmT1_T2_T3_mT4_P12ihipStream_tbEUlT_E0_NS1_11comp_targetILNS1_3genE10ELNS1_11target_archE1200ELNS1_3gpuE4ELNS1_3repE0EEENS1_30default_config_static_selectorELNS0_4arch9wavefront6targetE0EEEvS14_.numbered_sgpr, 0
	.set _ZN7rocprim17ROCPRIM_400000_NS6detail17trampoline_kernelINS0_14default_configENS1_22reduce_config_selectorIN6thrust23THRUST_200600_302600_NS5tupleIblNS6_9null_typeES8_S8_S8_S8_S8_S8_S8_EEEEZNS1_11reduce_implILb1ES3_NS6_12zip_iteratorINS7_INS6_11hip_rocprim26transform_input_iterator_tIbNSD_35transform_pair_of_input_iterators_tIbNS6_6detail15normal_iteratorINS6_10device_ptrIKxEEEESL_NS6_8equal_toIxEEEENSG_9not_fun_tINSD_8identityEEEEENSD_19counting_iterator_tIlEES8_S8_S8_S8_S8_S8_S8_S8_EEEEPS9_S9_NSD_9__find_if7functorIS9_EEEE10hipError_tPvRmT1_T2_T3_mT4_P12ihipStream_tbEUlT_E0_NS1_11comp_targetILNS1_3genE10ELNS1_11target_archE1200ELNS1_3gpuE4ELNS1_3repE0EEENS1_30default_config_static_selectorELNS0_4arch9wavefront6targetE0EEEvS14_.num_named_barrier, 0
	.set _ZN7rocprim17ROCPRIM_400000_NS6detail17trampoline_kernelINS0_14default_configENS1_22reduce_config_selectorIN6thrust23THRUST_200600_302600_NS5tupleIblNS6_9null_typeES8_S8_S8_S8_S8_S8_S8_EEEEZNS1_11reduce_implILb1ES3_NS6_12zip_iteratorINS7_INS6_11hip_rocprim26transform_input_iterator_tIbNSD_35transform_pair_of_input_iterators_tIbNS6_6detail15normal_iteratorINS6_10device_ptrIKxEEEESL_NS6_8equal_toIxEEEENSG_9not_fun_tINSD_8identityEEEEENSD_19counting_iterator_tIlEES8_S8_S8_S8_S8_S8_S8_S8_EEEEPS9_S9_NSD_9__find_if7functorIS9_EEEE10hipError_tPvRmT1_T2_T3_mT4_P12ihipStream_tbEUlT_E0_NS1_11comp_targetILNS1_3genE10ELNS1_11target_archE1200ELNS1_3gpuE4ELNS1_3repE0EEENS1_30default_config_static_selectorELNS0_4arch9wavefront6targetE0EEEvS14_.private_seg_size, 0
	.set _ZN7rocprim17ROCPRIM_400000_NS6detail17trampoline_kernelINS0_14default_configENS1_22reduce_config_selectorIN6thrust23THRUST_200600_302600_NS5tupleIblNS6_9null_typeES8_S8_S8_S8_S8_S8_S8_EEEEZNS1_11reduce_implILb1ES3_NS6_12zip_iteratorINS7_INS6_11hip_rocprim26transform_input_iterator_tIbNSD_35transform_pair_of_input_iterators_tIbNS6_6detail15normal_iteratorINS6_10device_ptrIKxEEEESL_NS6_8equal_toIxEEEENSG_9not_fun_tINSD_8identityEEEEENSD_19counting_iterator_tIlEES8_S8_S8_S8_S8_S8_S8_S8_EEEEPS9_S9_NSD_9__find_if7functorIS9_EEEE10hipError_tPvRmT1_T2_T3_mT4_P12ihipStream_tbEUlT_E0_NS1_11comp_targetILNS1_3genE10ELNS1_11target_archE1200ELNS1_3gpuE4ELNS1_3repE0EEENS1_30default_config_static_selectorELNS0_4arch9wavefront6targetE0EEEvS14_.uses_vcc, 0
	.set _ZN7rocprim17ROCPRIM_400000_NS6detail17trampoline_kernelINS0_14default_configENS1_22reduce_config_selectorIN6thrust23THRUST_200600_302600_NS5tupleIblNS6_9null_typeES8_S8_S8_S8_S8_S8_S8_EEEEZNS1_11reduce_implILb1ES3_NS6_12zip_iteratorINS7_INS6_11hip_rocprim26transform_input_iterator_tIbNSD_35transform_pair_of_input_iterators_tIbNS6_6detail15normal_iteratorINS6_10device_ptrIKxEEEESL_NS6_8equal_toIxEEEENSG_9not_fun_tINSD_8identityEEEEENSD_19counting_iterator_tIlEES8_S8_S8_S8_S8_S8_S8_S8_EEEEPS9_S9_NSD_9__find_if7functorIS9_EEEE10hipError_tPvRmT1_T2_T3_mT4_P12ihipStream_tbEUlT_E0_NS1_11comp_targetILNS1_3genE10ELNS1_11target_archE1200ELNS1_3gpuE4ELNS1_3repE0EEENS1_30default_config_static_selectorELNS0_4arch9wavefront6targetE0EEEvS14_.uses_flat_scratch, 0
	.set _ZN7rocprim17ROCPRIM_400000_NS6detail17trampoline_kernelINS0_14default_configENS1_22reduce_config_selectorIN6thrust23THRUST_200600_302600_NS5tupleIblNS6_9null_typeES8_S8_S8_S8_S8_S8_S8_EEEEZNS1_11reduce_implILb1ES3_NS6_12zip_iteratorINS7_INS6_11hip_rocprim26transform_input_iterator_tIbNSD_35transform_pair_of_input_iterators_tIbNS6_6detail15normal_iteratorINS6_10device_ptrIKxEEEESL_NS6_8equal_toIxEEEENSG_9not_fun_tINSD_8identityEEEEENSD_19counting_iterator_tIlEES8_S8_S8_S8_S8_S8_S8_S8_EEEEPS9_S9_NSD_9__find_if7functorIS9_EEEE10hipError_tPvRmT1_T2_T3_mT4_P12ihipStream_tbEUlT_E0_NS1_11comp_targetILNS1_3genE10ELNS1_11target_archE1200ELNS1_3gpuE4ELNS1_3repE0EEENS1_30default_config_static_selectorELNS0_4arch9wavefront6targetE0EEEvS14_.has_dyn_sized_stack, 0
	.set _ZN7rocprim17ROCPRIM_400000_NS6detail17trampoline_kernelINS0_14default_configENS1_22reduce_config_selectorIN6thrust23THRUST_200600_302600_NS5tupleIblNS6_9null_typeES8_S8_S8_S8_S8_S8_S8_EEEEZNS1_11reduce_implILb1ES3_NS6_12zip_iteratorINS7_INS6_11hip_rocprim26transform_input_iterator_tIbNSD_35transform_pair_of_input_iterators_tIbNS6_6detail15normal_iteratorINS6_10device_ptrIKxEEEESL_NS6_8equal_toIxEEEENSG_9not_fun_tINSD_8identityEEEEENSD_19counting_iterator_tIlEES8_S8_S8_S8_S8_S8_S8_S8_EEEEPS9_S9_NSD_9__find_if7functorIS9_EEEE10hipError_tPvRmT1_T2_T3_mT4_P12ihipStream_tbEUlT_E0_NS1_11comp_targetILNS1_3genE10ELNS1_11target_archE1200ELNS1_3gpuE4ELNS1_3repE0EEENS1_30default_config_static_selectorELNS0_4arch9wavefront6targetE0EEEvS14_.has_recursion, 0
	.set _ZN7rocprim17ROCPRIM_400000_NS6detail17trampoline_kernelINS0_14default_configENS1_22reduce_config_selectorIN6thrust23THRUST_200600_302600_NS5tupleIblNS6_9null_typeES8_S8_S8_S8_S8_S8_S8_EEEEZNS1_11reduce_implILb1ES3_NS6_12zip_iteratorINS7_INS6_11hip_rocprim26transform_input_iterator_tIbNSD_35transform_pair_of_input_iterators_tIbNS6_6detail15normal_iteratorINS6_10device_ptrIKxEEEESL_NS6_8equal_toIxEEEENSG_9not_fun_tINSD_8identityEEEEENSD_19counting_iterator_tIlEES8_S8_S8_S8_S8_S8_S8_S8_EEEEPS9_S9_NSD_9__find_if7functorIS9_EEEE10hipError_tPvRmT1_T2_T3_mT4_P12ihipStream_tbEUlT_E0_NS1_11comp_targetILNS1_3genE10ELNS1_11target_archE1200ELNS1_3gpuE4ELNS1_3repE0EEENS1_30default_config_static_selectorELNS0_4arch9wavefront6targetE0EEEvS14_.has_indirect_call, 0
	.section	.AMDGPU.csdata,"",@progbits
; Kernel info:
; codeLenInByte = 0
; TotalNumSgprs: 0
; NumVgprs: 0
; ScratchSize: 0
; MemoryBound: 0
; FloatMode: 240
; IeeeMode: 1
; LDSByteSize: 0 bytes/workgroup (compile time only)
; SGPRBlocks: 0
; VGPRBlocks: 0
; NumSGPRsForWavesPerEU: 1
; NumVGPRsForWavesPerEU: 1
; NamedBarCnt: 0
; Occupancy: 16
; WaveLimiterHint : 0
; COMPUTE_PGM_RSRC2:SCRATCH_EN: 0
; COMPUTE_PGM_RSRC2:USER_SGPR: 2
; COMPUTE_PGM_RSRC2:TRAP_HANDLER: 0
; COMPUTE_PGM_RSRC2:TGID_X_EN: 1
; COMPUTE_PGM_RSRC2:TGID_Y_EN: 0
; COMPUTE_PGM_RSRC2:TGID_Z_EN: 0
; COMPUTE_PGM_RSRC2:TIDIG_COMP_CNT: 0
	.section	.text._ZN7rocprim17ROCPRIM_400000_NS6detail17trampoline_kernelINS0_14default_configENS1_22reduce_config_selectorIN6thrust23THRUST_200600_302600_NS5tupleIblNS6_9null_typeES8_S8_S8_S8_S8_S8_S8_EEEEZNS1_11reduce_implILb1ES3_NS6_12zip_iteratorINS7_INS6_11hip_rocprim26transform_input_iterator_tIbNSD_35transform_pair_of_input_iterators_tIbNS6_6detail15normal_iteratorINS6_10device_ptrIKxEEEESL_NS6_8equal_toIxEEEENSG_9not_fun_tINSD_8identityEEEEENSD_19counting_iterator_tIlEES8_S8_S8_S8_S8_S8_S8_S8_EEEEPS9_S9_NSD_9__find_if7functorIS9_EEEE10hipError_tPvRmT1_T2_T3_mT4_P12ihipStream_tbEUlT_E0_NS1_11comp_targetILNS1_3genE9ELNS1_11target_archE1100ELNS1_3gpuE3ELNS1_3repE0EEENS1_30default_config_static_selectorELNS0_4arch9wavefront6targetE0EEEvS14_,"axG",@progbits,_ZN7rocprim17ROCPRIM_400000_NS6detail17trampoline_kernelINS0_14default_configENS1_22reduce_config_selectorIN6thrust23THRUST_200600_302600_NS5tupleIblNS6_9null_typeES8_S8_S8_S8_S8_S8_S8_EEEEZNS1_11reduce_implILb1ES3_NS6_12zip_iteratorINS7_INS6_11hip_rocprim26transform_input_iterator_tIbNSD_35transform_pair_of_input_iterators_tIbNS6_6detail15normal_iteratorINS6_10device_ptrIKxEEEESL_NS6_8equal_toIxEEEENSG_9not_fun_tINSD_8identityEEEEENSD_19counting_iterator_tIlEES8_S8_S8_S8_S8_S8_S8_S8_EEEEPS9_S9_NSD_9__find_if7functorIS9_EEEE10hipError_tPvRmT1_T2_T3_mT4_P12ihipStream_tbEUlT_E0_NS1_11comp_targetILNS1_3genE9ELNS1_11target_archE1100ELNS1_3gpuE3ELNS1_3repE0EEENS1_30default_config_static_selectorELNS0_4arch9wavefront6targetE0EEEvS14_,comdat
	.protected	_ZN7rocprim17ROCPRIM_400000_NS6detail17trampoline_kernelINS0_14default_configENS1_22reduce_config_selectorIN6thrust23THRUST_200600_302600_NS5tupleIblNS6_9null_typeES8_S8_S8_S8_S8_S8_S8_EEEEZNS1_11reduce_implILb1ES3_NS6_12zip_iteratorINS7_INS6_11hip_rocprim26transform_input_iterator_tIbNSD_35transform_pair_of_input_iterators_tIbNS6_6detail15normal_iteratorINS6_10device_ptrIKxEEEESL_NS6_8equal_toIxEEEENSG_9not_fun_tINSD_8identityEEEEENSD_19counting_iterator_tIlEES8_S8_S8_S8_S8_S8_S8_S8_EEEEPS9_S9_NSD_9__find_if7functorIS9_EEEE10hipError_tPvRmT1_T2_T3_mT4_P12ihipStream_tbEUlT_E0_NS1_11comp_targetILNS1_3genE9ELNS1_11target_archE1100ELNS1_3gpuE3ELNS1_3repE0EEENS1_30default_config_static_selectorELNS0_4arch9wavefront6targetE0EEEvS14_ ; -- Begin function _ZN7rocprim17ROCPRIM_400000_NS6detail17trampoline_kernelINS0_14default_configENS1_22reduce_config_selectorIN6thrust23THRUST_200600_302600_NS5tupleIblNS6_9null_typeES8_S8_S8_S8_S8_S8_S8_EEEEZNS1_11reduce_implILb1ES3_NS6_12zip_iteratorINS7_INS6_11hip_rocprim26transform_input_iterator_tIbNSD_35transform_pair_of_input_iterators_tIbNS6_6detail15normal_iteratorINS6_10device_ptrIKxEEEESL_NS6_8equal_toIxEEEENSG_9not_fun_tINSD_8identityEEEEENSD_19counting_iterator_tIlEES8_S8_S8_S8_S8_S8_S8_S8_EEEEPS9_S9_NSD_9__find_if7functorIS9_EEEE10hipError_tPvRmT1_T2_T3_mT4_P12ihipStream_tbEUlT_E0_NS1_11comp_targetILNS1_3genE9ELNS1_11target_archE1100ELNS1_3gpuE3ELNS1_3repE0EEENS1_30default_config_static_selectorELNS0_4arch9wavefront6targetE0EEEvS14_
	.globl	_ZN7rocprim17ROCPRIM_400000_NS6detail17trampoline_kernelINS0_14default_configENS1_22reduce_config_selectorIN6thrust23THRUST_200600_302600_NS5tupleIblNS6_9null_typeES8_S8_S8_S8_S8_S8_S8_EEEEZNS1_11reduce_implILb1ES3_NS6_12zip_iteratorINS7_INS6_11hip_rocprim26transform_input_iterator_tIbNSD_35transform_pair_of_input_iterators_tIbNS6_6detail15normal_iteratorINS6_10device_ptrIKxEEEESL_NS6_8equal_toIxEEEENSG_9not_fun_tINSD_8identityEEEEENSD_19counting_iterator_tIlEES8_S8_S8_S8_S8_S8_S8_S8_EEEEPS9_S9_NSD_9__find_if7functorIS9_EEEE10hipError_tPvRmT1_T2_T3_mT4_P12ihipStream_tbEUlT_E0_NS1_11comp_targetILNS1_3genE9ELNS1_11target_archE1100ELNS1_3gpuE3ELNS1_3repE0EEENS1_30default_config_static_selectorELNS0_4arch9wavefront6targetE0EEEvS14_
	.p2align	8
	.type	_ZN7rocprim17ROCPRIM_400000_NS6detail17trampoline_kernelINS0_14default_configENS1_22reduce_config_selectorIN6thrust23THRUST_200600_302600_NS5tupleIblNS6_9null_typeES8_S8_S8_S8_S8_S8_S8_EEEEZNS1_11reduce_implILb1ES3_NS6_12zip_iteratorINS7_INS6_11hip_rocprim26transform_input_iterator_tIbNSD_35transform_pair_of_input_iterators_tIbNS6_6detail15normal_iteratorINS6_10device_ptrIKxEEEESL_NS6_8equal_toIxEEEENSG_9not_fun_tINSD_8identityEEEEENSD_19counting_iterator_tIlEES8_S8_S8_S8_S8_S8_S8_S8_EEEEPS9_S9_NSD_9__find_if7functorIS9_EEEE10hipError_tPvRmT1_T2_T3_mT4_P12ihipStream_tbEUlT_E0_NS1_11comp_targetILNS1_3genE9ELNS1_11target_archE1100ELNS1_3gpuE3ELNS1_3repE0EEENS1_30default_config_static_selectorELNS0_4arch9wavefront6targetE0EEEvS14_,@function
_ZN7rocprim17ROCPRIM_400000_NS6detail17trampoline_kernelINS0_14default_configENS1_22reduce_config_selectorIN6thrust23THRUST_200600_302600_NS5tupleIblNS6_9null_typeES8_S8_S8_S8_S8_S8_S8_EEEEZNS1_11reduce_implILb1ES3_NS6_12zip_iteratorINS7_INS6_11hip_rocprim26transform_input_iterator_tIbNSD_35transform_pair_of_input_iterators_tIbNS6_6detail15normal_iteratorINS6_10device_ptrIKxEEEESL_NS6_8equal_toIxEEEENSG_9not_fun_tINSD_8identityEEEEENSD_19counting_iterator_tIlEES8_S8_S8_S8_S8_S8_S8_S8_EEEEPS9_S9_NSD_9__find_if7functorIS9_EEEE10hipError_tPvRmT1_T2_T3_mT4_P12ihipStream_tbEUlT_E0_NS1_11comp_targetILNS1_3genE9ELNS1_11target_archE1100ELNS1_3gpuE3ELNS1_3repE0EEENS1_30default_config_static_selectorELNS0_4arch9wavefront6targetE0EEEvS14_: ; @_ZN7rocprim17ROCPRIM_400000_NS6detail17trampoline_kernelINS0_14default_configENS1_22reduce_config_selectorIN6thrust23THRUST_200600_302600_NS5tupleIblNS6_9null_typeES8_S8_S8_S8_S8_S8_S8_EEEEZNS1_11reduce_implILb1ES3_NS6_12zip_iteratorINS7_INS6_11hip_rocprim26transform_input_iterator_tIbNSD_35transform_pair_of_input_iterators_tIbNS6_6detail15normal_iteratorINS6_10device_ptrIKxEEEESL_NS6_8equal_toIxEEEENSG_9not_fun_tINSD_8identityEEEEENSD_19counting_iterator_tIlEES8_S8_S8_S8_S8_S8_S8_S8_EEEEPS9_S9_NSD_9__find_if7functorIS9_EEEE10hipError_tPvRmT1_T2_T3_mT4_P12ihipStream_tbEUlT_E0_NS1_11comp_targetILNS1_3genE9ELNS1_11target_archE1100ELNS1_3gpuE3ELNS1_3repE0EEENS1_30default_config_static_selectorELNS0_4arch9wavefront6targetE0EEEvS14_
; %bb.0:
	.section	.rodata,"a",@progbits
	.p2align	6, 0x0
	.amdhsa_kernel _ZN7rocprim17ROCPRIM_400000_NS6detail17trampoline_kernelINS0_14default_configENS1_22reduce_config_selectorIN6thrust23THRUST_200600_302600_NS5tupleIblNS6_9null_typeES8_S8_S8_S8_S8_S8_S8_EEEEZNS1_11reduce_implILb1ES3_NS6_12zip_iteratorINS7_INS6_11hip_rocprim26transform_input_iterator_tIbNSD_35transform_pair_of_input_iterators_tIbNS6_6detail15normal_iteratorINS6_10device_ptrIKxEEEESL_NS6_8equal_toIxEEEENSG_9not_fun_tINSD_8identityEEEEENSD_19counting_iterator_tIlEES8_S8_S8_S8_S8_S8_S8_S8_EEEEPS9_S9_NSD_9__find_if7functorIS9_EEEE10hipError_tPvRmT1_T2_T3_mT4_P12ihipStream_tbEUlT_E0_NS1_11comp_targetILNS1_3genE9ELNS1_11target_archE1100ELNS1_3gpuE3ELNS1_3repE0EEENS1_30default_config_static_selectorELNS0_4arch9wavefront6targetE0EEEvS14_
		.amdhsa_group_segment_fixed_size 0
		.amdhsa_private_segment_fixed_size 0
		.amdhsa_kernarg_size 104
		.amdhsa_user_sgpr_count 2
		.amdhsa_user_sgpr_dispatch_ptr 0
		.amdhsa_user_sgpr_queue_ptr 0
		.amdhsa_user_sgpr_kernarg_segment_ptr 1
		.amdhsa_user_sgpr_dispatch_id 0
		.amdhsa_user_sgpr_kernarg_preload_length 0
		.amdhsa_user_sgpr_kernarg_preload_offset 0
		.amdhsa_user_sgpr_private_segment_size 0
		.amdhsa_wavefront_size32 1
		.amdhsa_uses_dynamic_stack 0
		.amdhsa_enable_private_segment 0
		.amdhsa_system_sgpr_workgroup_id_x 1
		.amdhsa_system_sgpr_workgroup_id_y 0
		.amdhsa_system_sgpr_workgroup_id_z 0
		.amdhsa_system_sgpr_workgroup_info 0
		.amdhsa_system_vgpr_workitem_id 0
		.amdhsa_next_free_vgpr 1
		.amdhsa_next_free_sgpr 1
		.amdhsa_named_barrier_count 0
		.amdhsa_reserve_vcc 0
		.amdhsa_float_round_mode_32 0
		.amdhsa_float_round_mode_16_64 0
		.amdhsa_float_denorm_mode_32 3
		.amdhsa_float_denorm_mode_16_64 3
		.amdhsa_fp16_overflow 0
		.amdhsa_memory_ordered 1
		.amdhsa_forward_progress 1
		.amdhsa_inst_pref_size 0
		.amdhsa_round_robin_scheduling 0
		.amdhsa_exception_fp_ieee_invalid_op 0
		.amdhsa_exception_fp_denorm_src 0
		.amdhsa_exception_fp_ieee_div_zero 0
		.amdhsa_exception_fp_ieee_overflow 0
		.amdhsa_exception_fp_ieee_underflow 0
		.amdhsa_exception_fp_ieee_inexact 0
		.amdhsa_exception_int_div_zero 0
	.end_amdhsa_kernel
	.section	.text._ZN7rocprim17ROCPRIM_400000_NS6detail17trampoline_kernelINS0_14default_configENS1_22reduce_config_selectorIN6thrust23THRUST_200600_302600_NS5tupleIblNS6_9null_typeES8_S8_S8_S8_S8_S8_S8_EEEEZNS1_11reduce_implILb1ES3_NS6_12zip_iteratorINS7_INS6_11hip_rocprim26transform_input_iterator_tIbNSD_35transform_pair_of_input_iterators_tIbNS6_6detail15normal_iteratorINS6_10device_ptrIKxEEEESL_NS6_8equal_toIxEEEENSG_9not_fun_tINSD_8identityEEEEENSD_19counting_iterator_tIlEES8_S8_S8_S8_S8_S8_S8_S8_EEEEPS9_S9_NSD_9__find_if7functorIS9_EEEE10hipError_tPvRmT1_T2_T3_mT4_P12ihipStream_tbEUlT_E0_NS1_11comp_targetILNS1_3genE9ELNS1_11target_archE1100ELNS1_3gpuE3ELNS1_3repE0EEENS1_30default_config_static_selectorELNS0_4arch9wavefront6targetE0EEEvS14_,"axG",@progbits,_ZN7rocprim17ROCPRIM_400000_NS6detail17trampoline_kernelINS0_14default_configENS1_22reduce_config_selectorIN6thrust23THRUST_200600_302600_NS5tupleIblNS6_9null_typeES8_S8_S8_S8_S8_S8_S8_EEEEZNS1_11reduce_implILb1ES3_NS6_12zip_iteratorINS7_INS6_11hip_rocprim26transform_input_iterator_tIbNSD_35transform_pair_of_input_iterators_tIbNS6_6detail15normal_iteratorINS6_10device_ptrIKxEEEESL_NS6_8equal_toIxEEEENSG_9not_fun_tINSD_8identityEEEEENSD_19counting_iterator_tIlEES8_S8_S8_S8_S8_S8_S8_S8_EEEEPS9_S9_NSD_9__find_if7functorIS9_EEEE10hipError_tPvRmT1_T2_T3_mT4_P12ihipStream_tbEUlT_E0_NS1_11comp_targetILNS1_3genE9ELNS1_11target_archE1100ELNS1_3gpuE3ELNS1_3repE0EEENS1_30default_config_static_selectorELNS0_4arch9wavefront6targetE0EEEvS14_,comdat
.Lfunc_end232:
	.size	_ZN7rocprim17ROCPRIM_400000_NS6detail17trampoline_kernelINS0_14default_configENS1_22reduce_config_selectorIN6thrust23THRUST_200600_302600_NS5tupleIblNS6_9null_typeES8_S8_S8_S8_S8_S8_S8_EEEEZNS1_11reduce_implILb1ES3_NS6_12zip_iteratorINS7_INS6_11hip_rocprim26transform_input_iterator_tIbNSD_35transform_pair_of_input_iterators_tIbNS6_6detail15normal_iteratorINS6_10device_ptrIKxEEEESL_NS6_8equal_toIxEEEENSG_9not_fun_tINSD_8identityEEEEENSD_19counting_iterator_tIlEES8_S8_S8_S8_S8_S8_S8_S8_EEEEPS9_S9_NSD_9__find_if7functorIS9_EEEE10hipError_tPvRmT1_T2_T3_mT4_P12ihipStream_tbEUlT_E0_NS1_11comp_targetILNS1_3genE9ELNS1_11target_archE1100ELNS1_3gpuE3ELNS1_3repE0EEENS1_30default_config_static_selectorELNS0_4arch9wavefront6targetE0EEEvS14_, .Lfunc_end232-_ZN7rocprim17ROCPRIM_400000_NS6detail17trampoline_kernelINS0_14default_configENS1_22reduce_config_selectorIN6thrust23THRUST_200600_302600_NS5tupleIblNS6_9null_typeES8_S8_S8_S8_S8_S8_S8_EEEEZNS1_11reduce_implILb1ES3_NS6_12zip_iteratorINS7_INS6_11hip_rocprim26transform_input_iterator_tIbNSD_35transform_pair_of_input_iterators_tIbNS6_6detail15normal_iteratorINS6_10device_ptrIKxEEEESL_NS6_8equal_toIxEEEENSG_9not_fun_tINSD_8identityEEEEENSD_19counting_iterator_tIlEES8_S8_S8_S8_S8_S8_S8_S8_EEEEPS9_S9_NSD_9__find_if7functorIS9_EEEE10hipError_tPvRmT1_T2_T3_mT4_P12ihipStream_tbEUlT_E0_NS1_11comp_targetILNS1_3genE9ELNS1_11target_archE1100ELNS1_3gpuE3ELNS1_3repE0EEENS1_30default_config_static_selectorELNS0_4arch9wavefront6targetE0EEEvS14_
                                        ; -- End function
	.set _ZN7rocprim17ROCPRIM_400000_NS6detail17trampoline_kernelINS0_14default_configENS1_22reduce_config_selectorIN6thrust23THRUST_200600_302600_NS5tupleIblNS6_9null_typeES8_S8_S8_S8_S8_S8_S8_EEEEZNS1_11reduce_implILb1ES3_NS6_12zip_iteratorINS7_INS6_11hip_rocprim26transform_input_iterator_tIbNSD_35transform_pair_of_input_iterators_tIbNS6_6detail15normal_iteratorINS6_10device_ptrIKxEEEESL_NS6_8equal_toIxEEEENSG_9not_fun_tINSD_8identityEEEEENSD_19counting_iterator_tIlEES8_S8_S8_S8_S8_S8_S8_S8_EEEEPS9_S9_NSD_9__find_if7functorIS9_EEEE10hipError_tPvRmT1_T2_T3_mT4_P12ihipStream_tbEUlT_E0_NS1_11comp_targetILNS1_3genE9ELNS1_11target_archE1100ELNS1_3gpuE3ELNS1_3repE0EEENS1_30default_config_static_selectorELNS0_4arch9wavefront6targetE0EEEvS14_.num_vgpr, 0
	.set _ZN7rocprim17ROCPRIM_400000_NS6detail17trampoline_kernelINS0_14default_configENS1_22reduce_config_selectorIN6thrust23THRUST_200600_302600_NS5tupleIblNS6_9null_typeES8_S8_S8_S8_S8_S8_S8_EEEEZNS1_11reduce_implILb1ES3_NS6_12zip_iteratorINS7_INS6_11hip_rocprim26transform_input_iterator_tIbNSD_35transform_pair_of_input_iterators_tIbNS6_6detail15normal_iteratorINS6_10device_ptrIKxEEEESL_NS6_8equal_toIxEEEENSG_9not_fun_tINSD_8identityEEEEENSD_19counting_iterator_tIlEES8_S8_S8_S8_S8_S8_S8_S8_EEEEPS9_S9_NSD_9__find_if7functorIS9_EEEE10hipError_tPvRmT1_T2_T3_mT4_P12ihipStream_tbEUlT_E0_NS1_11comp_targetILNS1_3genE9ELNS1_11target_archE1100ELNS1_3gpuE3ELNS1_3repE0EEENS1_30default_config_static_selectorELNS0_4arch9wavefront6targetE0EEEvS14_.num_agpr, 0
	.set _ZN7rocprim17ROCPRIM_400000_NS6detail17trampoline_kernelINS0_14default_configENS1_22reduce_config_selectorIN6thrust23THRUST_200600_302600_NS5tupleIblNS6_9null_typeES8_S8_S8_S8_S8_S8_S8_EEEEZNS1_11reduce_implILb1ES3_NS6_12zip_iteratorINS7_INS6_11hip_rocprim26transform_input_iterator_tIbNSD_35transform_pair_of_input_iterators_tIbNS6_6detail15normal_iteratorINS6_10device_ptrIKxEEEESL_NS6_8equal_toIxEEEENSG_9not_fun_tINSD_8identityEEEEENSD_19counting_iterator_tIlEES8_S8_S8_S8_S8_S8_S8_S8_EEEEPS9_S9_NSD_9__find_if7functorIS9_EEEE10hipError_tPvRmT1_T2_T3_mT4_P12ihipStream_tbEUlT_E0_NS1_11comp_targetILNS1_3genE9ELNS1_11target_archE1100ELNS1_3gpuE3ELNS1_3repE0EEENS1_30default_config_static_selectorELNS0_4arch9wavefront6targetE0EEEvS14_.numbered_sgpr, 0
	.set _ZN7rocprim17ROCPRIM_400000_NS6detail17trampoline_kernelINS0_14default_configENS1_22reduce_config_selectorIN6thrust23THRUST_200600_302600_NS5tupleIblNS6_9null_typeES8_S8_S8_S8_S8_S8_S8_EEEEZNS1_11reduce_implILb1ES3_NS6_12zip_iteratorINS7_INS6_11hip_rocprim26transform_input_iterator_tIbNSD_35transform_pair_of_input_iterators_tIbNS6_6detail15normal_iteratorINS6_10device_ptrIKxEEEESL_NS6_8equal_toIxEEEENSG_9not_fun_tINSD_8identityEEEEENSD_19counting_iterator_tIlEES8_S8_S8_S8_S8_S8_S8_S8_EEEEPS9_S9_NSD_9__find_if7functorIS9_EEEE10hipError_tPvRmT1_T2_T3_mT4_P12ihipStream_tbEUlT_E0_NS1_11comp_targetILNS1_3genE9ELNS1_11target_archE1100ELNS1_3gpuE3ELNS1_3repE0EEENS1_30default_config_static_selectorELNS0_4arch9wavefront6targetE0EEEvS14_.num_named_barrier, 0
	.set _ZN7rocprim17ROCPRIM_400000_NS6detail17trampoline_kernelINS0_14default_configENS1_22reduce_config_selectorIN6thrust23THRUST_200600_302600_NS5tupleIblNS6_9null_typeES8_S8_S8_S8_S8_S8_S8_EEEEZNS1_11reduce_implILb1ES3_NS6_12zip_iteratorINS7_INS6_11hip_rocprim26transform_input_iterator_tIbNSD_35transform_pair_of_input_iterators_tIbNS6_6detail15normal_iteratorINS6_10device_ptrIKxEEEESL_NS6_8equal_toIxEEEENSG_9not_fun_tINSD_8identityEEEEENSD_19counting_iterator_tIlEES8_S8_S8_S8_S8_S8_S8_S8_EEEEPS9_S9_NSD_9__find_if7functorIS9_EEEE10hipError_tPvRmT1_T2_T3_mT4_P12ihipStream_tbEUlT_E0_NS1_11comp_targetILNS1_3genE9ELNS1_11target_archE1100ELNS1_3gpuE3ELNS1_3repE0EEENS1_30default_config_static_selectorELNS0_4arch9wavefront6targetE0EEEvS14_.private_seg_size, 0
	.set _ZN7rocprim17ROCPRIM_400000_NS6detail17trampoline_kernelINS0_14default_configENS1_22reduce_config_selectorIN6thrust23THRUST_200600_302600_NS5tupleIblNS6_9null_typeES8_S8_S8_S8_S8_S8_S8_EEEEZNS1_11reduce_implILb1ES3_NS6_12zip_iteratorINS7_INS6_11hip_rocprim26transform_input_iterator_tIbNSD_35transform_pair_of_input_iterators_tIbNS6_6detail15normal_iteratorINS6_10device_ptrIKxEEEESL_NS6_8equal_toIxEEEENSG_9not_fun_tINSD_8identityEEEEENSD_19counting_iterator_tIlEES8_S8_S8_S8_S8_S8_S8_S8_EEEEPS9_S9_NSD_9__find_if7functorIS9_EEEE10hipError_tPvRmT1_T2_T3_mT4_P12ihipStream_tbEUlT_E0_NS1_11comp_targetILNS1_3genE9ELNS1_11target_archE1100ELNS1_3gpuE3ELNS1_3repE0EEENS1_30default_config_static_selectorELNS0_4arch9wavefront6targetE0EEEvS14_.uses_vcc, 0
	.set _ZN7rocprim17ROCPRIM_400000_NS6detail17trampoline_kernelINS0_14default_configENS1_22reduce_config_selectorIN6thrust23THRUST_200600_302600_NS5tupleIblNS6_9null_typeES8_S8_S8_S8_S8_S8_S8_EEEEZNS1_11reduce_implILb1ES3_NS6_12zip_iteratorINS7_INS6_11hip_rocprim26transform_input_iterator_tIbNSD_35transform_pair_of_input_iterators_tIbNS6_6detail15normal_iteratorINS6_10device_ptrIKxEEEESL_NS6_8equal_toIxEEEENSG_9not_fun_tINSD_8identityEEEEENSD_19counting_iterator_tIlEES8_S8_S8_S8_S8_S8_S8_S8_EEEEPS9_S9_NSD_9__find_if7functorIS9_EEEE10hipError_tPvRmT1_T2_T3_mT4_P12ihipStream_tbEUlT_E0_NS1_11comp_targetILNS1_3genE9ELNS1_11target_archE1100ELNS1_3gpuE3ELNS1_3repE0EEENS1_30default_config_static_selectorELNS0_4arch9wavefront6targetE0EEEvS14_.uses_flat_scratch, 0
	.set _ZN7rocprim17ROCPRIM_400000_NS6detail17trampoline_kernelINS0_14default_configENS1_22reduce_config_selectorIN6thrust23THRUST_200600_302600_NS5tupleIblNS6_9null_typeES8_S8_S8_S8_S8_S8_S8_EEEEZNS1_11reduce_implILb1ES3_NS6_12zip_iteratorINS7_INS6_11hip_rocprim26transform_input_iterator_tIbNSD_35transform_pair_of_input_iterators_tIbNS6_6detail15normal_iteratorINS6_10device_ptrIKxEEEESL_NS6_8equal_toIxEEEENSG_9not_fun_tINSD_8identityEEEEENSD_19counting_iterator_tIlEES8_S8_S8_S8_S8_S8_S8_S8_EEEEPS9_S9_NSD_9__find_if7functorIS9_EEEE10hipError_tPvRmT1_T2_T3_mT4_P12ihipStream_tbEUlT_E0_NS1_11comp_targetILNS1_3genE9ELNS1_11target_archE1100ELNS1_3gpuE3ELNS1_3repE0EEENS1_30default_config_static_selectorELNS0_4arch9wavefront6targetE0EEEvS14_.has_dyn_sized_stack, 0
	.set _ZN7rocprim17ROCPRIM_400000_NS6detail17trampoline_kernelINS0_14default_configENS1_22reduce_config_selectorIN6thrust23THRUST_200600_302600_NS5tupleIblNS6_9null_typeES8_S8_S8_S8_S8_S8_S8_EEEEZNS1_11reduce_implILb1ES3_NS6_12zip_iteratorINS7_INS6_11hip_rocprim26transform_input_iterator_tIbNSD_35transform_pair_of_input_iterators_tIbNS6_6detail15normal_iteratorINS6_10device_ptrIKxEEEESL_NS6_8equal_toIxEEEENSG_9not_fun_tINSD_8identityEEEEENSD_19counting_iterator_tIlEES8_S8_S8_S8_S8_S8_S8_S8_EEEEPS9_S9_NSD_9__find_if7functorIS9_EEEE10hipError_tPvRmT1_T2_T3_mT4_P12ihipStream_tbEUlT_E0_NS1_11comp_targetILNS1_3genE9ELNS1_11target_archE1100ELNS1_3gpuE3ELNS1_3repE0EEENS1_30default_config_static_selectorELNS0_4arch9wavefront6targetE0EEEvS14_.has_recursion, 0
	.set _ZN7rocprim17ROCPRIM_400000_NS6detail17trampoline_kernelINS0_14default_configENS1_22reduce_config_selectorIN6thrust23THRUST_200600_302600_NS5tupleIblNS6_9null_typeES8_S8_S8_S8_S8_S8_S8_EEEEZNS1_11reduce_implILb1ES3_NS6_12zip_iteratorINS7_INS6_11hip_rocprim26transform_input_iterator_tIbNSD_35transform_pair_of_input_iterators_tIbNS6_6detail15normal_iteratorINS6_10device_ptrIKxEEEESL_NS6_8equal_toIxEEEENSG_9not_fun_tINSD_8identityEEEEENSD_19counting_iterator_tIlEES8_S8_S8_S8_S8_S8_S8_S8_EEEEPS9_S9_NSD_9__find_if7functorIS9_EEEE10hipError_tPvRmT1_T2_T3_mT4_P12ihipStream_tbEUlT_E0_NS1_11comp_targetILNS1_3genE9ELNS1_11target_archE1100ELNS1_3gpuE3ELNS1_3repE0EEENS1_30default_config_static_selectorELNS0_4arch9wavefront6targetE0EEEvS14_.has_indirect_call, 0
	.section	.AMDGPU.csdata,"",@progbits
; Kernel info:
; codeLenInByte = 0
; TotalNumSgprs: 0
; NumVgprs: 0
; ScratchSize: 0
; MemoryBound: 0
; FloatMode: 240
; IeeeMode: 1
; LDSByteSize: 0 bytes/workgroup (compile time only)
; SGPRBlocks: 0
; VGPRBlocks: 0
; NumSGPRsForWavesPerEU: 1
; NumVGPRsForWavesPerEU: 1
; NamedBarCnt: 0
; Occupancy: 16
; WaveLimiterHint : 0
; COMPUTE_PGM_RSRC2:SCRATCH_EN: 0
; COMPUTE_PGM_RSRC2:USER_SGPR: 2
; COMPUTE_PGM_RSRC2:TRAP_HANDLER: 0
; COMPUTE_PGM_RSRC2:TGID_X_EN: 1
; COMPUTE_PGM_RSRC2:TGID_Y_EN: 0
; COMPUTE_PGM_RSRC2:TGID_Z_EN: 0
; COMPUTE_PGM_RSRC2:TIDIG_COMP_CNT: 0
	.section	.text._ZN7rocprim17ROCPRIM_400000_NS6detail17trampoline_kernelINS0_14default_configENS1_22reduce_config_selectorIN6thrust23THRUST_200600_302600_NS5tupleIblNS6_9null_typeES8_S8_S8_S8_S8_S8_S8_EEEEZNS1_11reduce_implILb1ES3_NS6_12zip_iteratorINS7_INS6_11hip_rocprim26transform_input_iterator_tIbNSD_35transform_pair_of_input_iterators_tIbNS6_6detail15normal_iteratorINS6_10device_ptrIKxEEEESL_NS6_8equal_toIxEEEENSG_9not_fun_tINSD_8identityEEEEENSD_19counting_iterator_tIlEES8_S8_S8_S8_S8_S8_S8_S8_EEEEPS9_S9_NSD_9__find_if7functorIS9_EEEE10hipError_tPvRmT1_T2_T3_mT4_P12ihipStream_tbEUlT_E0_NS1_11comp_targetILNS1_3genE8ELNS1_11target_archE1030ELNS1_3gpuE2ELNS1_3repE0EEENS1_30default_config_static_selectorELNS0_4arch9wavefront6targetE0EEEvS14_,"axG",@progbits,_ZN7rocprim17ROCPRIM_400000_NS6detail17trampoline_kernelINS0_14default_configENS1_22reduce_config_selectorIN6thrust23THRUST_200600_302600_NS5tupleIblNS6_9null_typeES8_S8_S8_S8_S8_S8_S8_EEEEZNS1_11reduce_implILb1ES3_NS6_12zip_iteratorINS7_INS6_11hip_rocprim26transform_input_iterator_tIbNSD_35transform_pair_of_input_iterators_tIbNS6_6detail15normal_iteratorINS6_10device_ptrIKxEEEESL_NS6_8equal_toIxEEEENSG_9not_fun_tINSD_8identityEEEEENSD_19counting_iterator_tIlEES8_S8_S8_S8_S8_S8_S8_S8_EEEEPS9_S9_NSD_9__find_if7functorIS9_EEEE10hipError_tPvRmT1_T2_T3_mT4_P12ihipStream_tbEUlT_E0_NS1_11comp_targetILNS1_3genE8ELNS1_11target_archE1030ELNS1_3gpuE2ELNS1_3repE0EEENS1_30default_config_static_selectorELNS0_4arch9wavefront6targetE0EEEvS14_,comdat
	.protected	_ZN7rocprim17ROCPRIM_400000_NS6detail17trampoline_kernelINS0_14default_configENS1_22reduce_config_selectorIN6thrust23THRUST_200600_302600_NS5tupleIblNS6_9null_typeES8_S8_S8_S8_S8_S8_S8_EEEEZNS1_11reduce_implILb1ES3_NS6_12zip_iteratorINS7_INS6_11hip_rocprim26transform_input_iterator_tIbNSD_35transform_pair_of_input_iterators_tIbNS6_6detail15normal_iteratorINS6_10device_ptrIKxEEEESL_NS6_8equal_toIxEEEENSG_9not_fun_tINSD_8identityEEEEENSD_19counting_iterator_tIlEES8_S8_S8_S8_S8_S8_S8_S8_EEEEPS9_S9_NSD_9__find_if7functorIS9_EEEE10hipError_tPvRmT1_T2_T3_mT4_P12ihipStream_tbEUlT_E0_NS1_11comp_targetILNS1_3genE8ELNS1_11target_archE1030ELNS1_3gpuE2ELNS1_3repE0EEENS1_30default_config_static_selectorELNS0_4arch9wavefront6targetE0EEEvS14_ ; -- Begin function _ZN7rocprim17ROCPRIM_400000_NS6detail17trampoline_kernelINS0_14default_configENS1_22reduce_config_selectorIN6thrust23THRUST_200600_302600_NS5tupleIblNS6_9null_typeES8_S8_S8_S8_S8_S8_S8_EEEEZNS1_11reduce_implILb1ES3_NS6_12zip_iteratorINS7_INS6_11hip_rocprim26transform_input_iterator_tIbNSD_35transform_pair_of_input_iterators_tIbNS6_6detail15normal_iteratorINS6_10device_ptrIKxEEEESL_NS6_8equal_toIxEEEENSG_9not_fun_tINSD_8identityEEEEENSD_19counting_iterator_tIlEES8_S8_S8_S8_S8_S8_S8_S8_EEEEPS9_S9_NSD_9__find_if7functorIS9_EEEE10hipError_tPvRmT1_T2_T3_mT4_P12ihipStream_tbEUlT_E0_NS1_11comp_targetILNS1_3genE8ELNS1_11target_archE1030ELNS1_3gpuE2ELNS1_3repE0EEENS1_30default_config_static_selectorELNS0_4arch9wavefront6targetE0EEEvS14_
	.globl	_ZN7rocprim17ROCPRIM_400000_NS6detail17trampoline_kernelINS0_14default_configENS1_22reduce_config_selectorIN6thrust23THRUST_200600_302600_NS5tupleIblNS6_9null_typeES8_S8_S8_S8_S8_S8_S8_EEEEZNS1_11reduce_implILb1ES3_NS6_12zip_iteratorINS7_INS6_11hip_rocprim26transform_input_iterator_tIbNSD_35transform_pair_of_input_iterators_tIbNS6_6detail15normal_iteratorINS6_10device_ptrIKxEEEESL_NS6_8equal_toIxEEEENSG_9not_fun_tINSD_8identityEEEEENSD_19counting_iterator_tIlEES8_S8_S8_S8_S8_S8_S8_S8_EEEEPS9_S9_NSD_9__find_if7functorIS9_EEEE10hipError_tPvRmT1_T2_T3_mT4_P12ihipStream_tbEUlT_E0_NS1_11comp_targetILNS1_3genE8ELNS1_11target_archE1030ELNS1_3gpuE2ELNS1_3repE0EEENS1_30default_config_static_selectorELNS0_4arch9wavefront6targetE0EEEvS14_
	.p2align	8
	.type	_ZN7rocprim17ROCPRIM_400000_NS6detail17trampoline_kernelINS0_14default_configENS1_22reduce_config_selectorIN6thrust23THRUST_200600_302600_NS5tupleIblNS6_9null_typeES8_S8_S8_S8_S8_S8_S8_EEEEZNS1_11reduce_implILb1ES3_NS6_12zip_iteratorINS7_INS6_11hip_rocprim26transform_input_iterator_tIbNSD_35transform_pair_of_input_iterators_tIbNS6_6detail15normal_iteratorINS6_10device_ptrIKxEEEESL_NS6_8equal_toIxEEEENSG_9not_fun_tINSD_8identityEEEEENSD_19counting_iterator_tIlEES8_S8_S8_S8_S8_S8_S8_S8_EEEEPS9_S9_NSD_9__find_if7functorIS9_EEEE10hipError_tPvRmT1_T2_T3_mT4_P12ihipStream_tbEUlT_E0_NS1_11comp_targetILNS1_3genE8ELNS1_11target_archE1030ELNS1_3gpuE2ELNS1_3repE0EEENS1_30default_config_static_selectorELNS0_4arch9wavefront6targetE0EEEvS14_,@function
_ZN7rocprim17ROCPRIM_400000_NS6detail17trampoline_kernelINS0_14default_configENS1_22reduce_config_selectorIN6thrust23THRUST_200600_302600_NS5tupleIblNS6_9null_typeES8_S8_S8_S8_S8_S8_S8_EEEEZNS1_11reduce_implILb1ES3_NS6_12zip_iteratorINS7_INS6_11hip_rocprim26transform_input_iterator_tIbNSD_35transform_pair_of_input_iterators_tIbNS6_6detail15normal_iteratorINS6_10device_ptrIKxEEEESL_NS6_8equal_toIxEEEENSG_9not_fun_tINSD_8identityEEEEENSD_19counting_iterator_tIlEES8_S8_S8_S8_S8_S8_S8_S8_EEEEPS9_S9_NSD_9__find_if7functorIS9_EEEE10hipError_tPvRmT1_T2_T3_mT4_P12ihipStream_tbEUlT_E0_NS1_11comp_targetILNS1_3genE8ELNS1_11target_archE1030ELNS1_3gpuE2ELNS1_3repE0EEENS1_30default_config_static_selectorELNS0_4arch9wavefront6targetE0EEEvS14_: ; @_ZN7rocprim17ROCPRIM_400000_NS6detail17trampoline_kernelINS0_14default_configENS1_22reduce_config_selectorIN6thrust23THRUST_200600_302600_NS5tupleIblNS6_9null_typeES8_S8_S8_S8_S8_S8_S8_EEEEZNS1_11reduce_implILb1ES3_NS6_12zip_iteratorINS7_INS6_11hip_rocprim26transform_input_iterator_tIbNSD_35transform_pair_of_input_iterators_tIbNS6_6detail15normal_iteratorINS6_10device_ptrIKxEEEESL_NS6_8equal_toIxEEEENSG_9not_fun_tINSD_8identityEEEEENSD_19counting_iterator_tIlEES8_S8_S8_S8_S8_S8_S8_S8_EEEEPS9_S9_NSD_9__find_if7functorIS9_EEEE10hipError_tPvRmT1_T2_T3_mT4_P12ihipStream_tbEUlT_E0_NS1_11comp_targetILNS1_3genE8ELNS1_11target_archE1030ELNS1_3gpuE2ELNS1_3repE0EEENS1_30default_config_static_selectorELNS0_4arch9wavefront6targetE0EEEvS14_
; %bb.0:
	.section	.rodata,"a",@progbits
	.p2align	6, 0x0
	.amdhsa_kernel _ZN7rocprim17ROCPRIM_400000_NS6detail17trampoline_kernelINS0_14default_configENS1_22reduce_config_selectorIN6thrust23THRUST_200600_302600_NS5tupleIblNS6_9null_typeES8_S8_S8_S8_S8_S8_S8_EEEEZNS1_11reduce_implILb1ES3_NS6_12zip_iteratorINS7_INS6_11hip_rocprim26transform_input_iterator_tIbNSD_35transform_pair_of_input_iterators_tIbNS6_6detail15normal_iteratorINS6_10device_ptrIKxEEEESL_NS6_8equal_toIxEEEENSG_9not_fun_tINSD_8identityEEEEENSD_19counting_iterator_tIlEES8_S8_S8_S8_S8_S8_S8_S8_EEEEPS9_S9_NSD_9__find_if7functorIS9_EEEE10hipError_tPvRmT1_T2_T3_mT4_P12ihipStream_tbEUlT_E0_NS1_11comp_targetILNS1_3genE8ELNS1_11target_archE1030ELNS1_3gpuE2ELNS1_3repE0EEENS1_30default_config_static_selectorELNS0_4arch9wavefront6targetE0EEEvS14_
		.amdhsa_group_segment_fixed_size 0
		.amdhsa_private_segment_fixed_size 0
		.amdhsa_kernarg_size 104
		.amdhsa_user_sgpr_count 2
		.amdhsa_user_sgpr_dispatch_ptr 0
		.amdhsa_user_sgpr_queue_ptr 0
		.amdhsa_user_sgpr_kernarg_segment_ptr 1
		.amdhsa_user_sgpr_dispatch_id 0
		.amdhsa_user_sgpr_kernarg_preload_length 0
		.amdhsa_user_sgpr_kernarg_preload_offset 0
		.amdhsa_user_sgpr_private_segment_size 0
		.amdhsa_wavefront_size32 1
		.amdhsa_uses_dynamic_stack 0
		.amdhsa_enable_private_segment 0
		.amdhsa_system_sgpr_workgroup_id_x 1
		.amdhsa_system_sgpr_workgroup_id_y 0
		.amdhsa_system_sgpr_workgroup_id_z 0
		.amdhsa_system_sgpr_workgroup_info 0
		.amdhsa_system_vgpr_workitem_id 0
		.amdhsa_next_free_vgpr 1
		.amdhsa_next_free_sgpr 1
		.amdhsa_named_barrier_count 0
		.amdhsa_reserve_vcc 0
		.amdhsa_float_round_mode_32 0
		.amdhsa_float_round_mode_16_64 0
		.amdhsa_float_denorm_mode_32 3
		.amdhsa_float_denorm_mode_16_64 3
		.amdhsa_fp16_overflow 0
		.amdhsa_memory_ordered 1
		.amdhsa_forward_progress 1
		.amdhsa_inst_pref_size 0
		.amdhsa_round_robin_scheduling 0
		.amdhsa_exception_fp_ieee_invalid_op 0
		.amdhsa_exception_fp_denorm_src 0
		.amdhsa_exception_fp_ieee_div_zero 0
		.amdhsa_exception_fp_ieee_overflow 0
		.amdhsa_exception_fp_ieee_underflow 0
		.amdhsa_exception_fp_ieee_inexact 0
		.amdhsa_exception_int_div_zero 0
	.end_amdhsa_kernel
	.section	.text._ZN7rocprim17ROCPRIM_400000_NS6detail17trampoline_kernelINS0_14default_configENS1_22reduce_config_selectorIN6thrust23THRUST_200600_302600_NS5tupleIblNS6_9null_typeES8_S8_S8_S8_S8_S8_S8_EEEEZNS1_11reduce_implILb1ES3_NS6_12zip_iteratorINS7_INS6_11hip_rocprim26transform_input_iterator_tIbNSD_35transform_pair_of_input_iterators_tIbNS6_6detail15normal_iteratorINS6_10device_ptrIKxEEEESL_NS6_8equal_toIxEEEENSG_9not_fun_tINSD_8identityEEEEENSD_19counting_iterator_tIlEES8_S8_S8_S8_S8_S8_S8_S8_EEEEPS9_S9_NSD_9__find_if7functorIS9_EEEE10hipError_tPvRmT1_T2_T3_mT4_P12ihipStream_tbEUlT_E0_NS1_11comp_targetILNS1_3genE8ELNS1_11target_archE1030ELNS1_3gpuE2ELNS1_3repE0EEENS1_30default_config_static_selectorELNS0_4arch9wavefront6targetE0EEEvS14_,"axG",@progbits,_ZN7rocprim17ROCPRIM_400000_NS6detail17trampoline_kernelINS0_14default_configENS1_22reduce_config_selectorIN6thrust23THRUST_200600_302600_NS5tupleIblNS6_9null_typeES8_S8_S8_S8_S8_S8_S8_EEEEZNS1_11reduce_implILb1ES3_NS6_12zip_iteratorINS7_INS6_11hip_rocprim26transform_input_iterator_tIbNSD_35transform_pair_of_input_iterators_tIbNS6_6detail15normal_iteratorINS6_10device_ptrIKxEEEESL_NS6_8equal_toIxEEEENSG_9not_fun_tINSD_8identityEEEEENSD_19counting_iterator_tIlEES8_S8_S8_S8_S8_S8_S8_S8_EEEEPS9_S9_NSD_9__find_if7functorIS9_EEEE10hipError_tPvRmT1_T2_T3_mT4_P12ihipStream_tbEUlT_E0_NS1_11comp_targetILNS1_3genE8ELNS1_11target_archE1030ELNS1_3gpuE2ELNS1_3repE0EEENS1_30default_config_static_selectorELNS0_4arch9wavefront6targetE0EEEvS14_,comdat
.Lfunc_end233:
	.size	_ZN7rocprim17ROCPRIM_400000_NS6detail17trampoline_kernelINS0_14default_configENS1_22reduce_config_selectorIN6thrust23THRUST_200600_302600_NS5tupleIblNS6_9null_typeES8_S8_S8_S8_S8_S8_S8_EEEEZNS1_11reduce_implILb1ES3_NS6_12zip_iteratorINS7_INS6_11hip_rocprim26transform_input_iterator_tIbNSD_35transform_pair_of_input_iterators_tIbNS6_6detail15normal_iteratorINS6_10device_ptrIKxEEEESL_NS6_8equal_toIxEEEENSG_9not_fun_tINSD_8identityEEEEENSD_19counting_iterator_tIlEES8_S8_S8_S8_S8_S8_S8_S8_EEEEPS9_S9_NSD_9__find_if7functorIS9_EEEE10hipError_tPvRmT1_T2_T3_mT4_P12ihipStream_tbEUlT_E0_NS1_11comp_targetILNS1_3genE8ELNS1_11target_archE1030ELNS1_3gpuE2ELNS1_3repE0EEENS1_30default_config_static_selectorELNS0_4arch9wavefront6targetE0EEEvS14_, .Lfunc_end233-_ZN7rocprim17ROCPRIM_400000_NS6detail17trampoline_kernelINS0_14default_configENS1_22reduce_config_selectorIN6thrust23THRUST_200600_302600_NS5tupleIblNS6_9null_typeES8_S8_S8_S8_S8_S8_S8_EEEEZNS1_11reduce_implILb1ES3_NS6_12zip_iteratorINS7_INS6_11hip_rocprim26transform_input_iterator_tIbNSD_35transform_pair_of_input_iterators_tIbNS6_6detail15normal_iteratorINS6_10device_ptrIKxEEEESL_NS6_8equal_toIxEEEENSG_9not_fun_tINSD_8identityEEEEENSD_19counting_iterator_tIlEES8_S8_S8_S8_S8_S8_S8_S8_EEEEPS9_S9_NSD_9__find_if7functorIS9_EEEE10hipError_tPvRmT1_T2_T3_mT4_P12ihipStream_tbEUlT_E0_NS1_11comp_targetILNS1_3genE8ELNS1_11target_archE1030ELNS1_3gpuE2ELNS1_3repE0EEENS1_30default_config_static_selectorELNS0_4arch9wavefront6targetE0EEEvS14_
                                        ; -- End function
	.set _ZN7rocprim17ROCPRIM_400000_NS6detail17trampoline_kernelINS0_14default_configENS1_22reduce_config_selectorIN6thrust23THRUST_200600_302600_NS5tupleIblNS6_9null_typeES8_S8_S8_S8_S8_S8_S8_EEEEZNS1_11reduce_implILb1ES3_NS6_12zip_iteratorINS7_INS6_11hip_rocprim26transform_input_iterator_tIbNSD_35transform_pair_of_input_iterators_tIbNS6_6detail15normal_iteratorINS6_10device_ptrIKxEEEESL_NS6_8equal_toIxEEEENSG_9not_fun_tINSD_8identityEEEEENSD_19counting_iterator_tIlEES8_S8_S8_S8_S8_S8_S8_S8_EEEEPS9_S9_NSD_9__find_if7functorIS9_EEEE10hipError_tPvRmT1_T2_T3_mT4_P12ihipStream_tbEUlT_E0_NS1_11comp_targetILNS1_3genE8ELNS1_11target_archE1030ELNS1_3gpuE2ELNS1_3repE0EEENS1_30default_config_static_selectorELNS0_4arch9wavefront6targetE0EEEvS14_.num_vgpr, 0
	.set _ZN7rocprim17ROCPRIM_400000_NS6detail17trampoline_kernelINS0_14default_configENS1_22reduce_config_selectorIN6thrust23THRUST_200600_302600_NS5tupleIblNS6_9null_typeES8_S8_S8_S8_S8_S8_S8_EEEEZNS1_11reduce_implILb1ES3_NS6_12zip_iteratorINS7_INS6_11hip_rocprim26transform_input_iterator_tIbNSD_35transform_pair_of_input_iterators_tIbNS6_6detail15normal_iteratorINS6_10device_ptrIKxEEEESL_NS6_8equal_toIxEEEENSG_9not_fun_tINSD_8identityEEEEENSD_19counting_iterator_tIlEES8_S8_S8_S8_S8_S8_S8_S8_EEEEPS9_S9_NSD_9__find_if7functorIS9_EEEE10hipError_tPvRmT1_T2_T3_mT4_P12ihipStream_tbEUlT_E0_NS1_11comp_targetILNS1_3genE8ELNS1_11target_archE1030ELNS1_3gpuE2ELNS1_3repE0EEENS1_30default_config_static_selectorELNS0_4arch9wavefront6targetE0EEEvS14_.num_agpr, 0
	.set _ZN7rocprim17ROCPRIM_400000_NS6detail17trampoline_kernelINS0_14default_configENS1_22reduce_config_selectorIN6thrust23THRUST_200600_302600_NS5tupleIblNS6_9null_typeES8_S8_S8_S8_S8_S8_S8_EEEEZNS1_11reduce_implILb1ES3_NS6_12zip_iteratorINS7_INS6_11hip_rocprim26transform_input_iterator_tIbNSD_35transform_pair_of_input_iterators_tIbNS6_6detail15normal_iteratorINS6_10device_ptrIKxEEEESL_NS6_8equal_toIxEEEENSG_9not_fun_tINSD_8identityEEEEENSD_19counting_iterator_tIlEES8_S8_S8_S8_S8_S8_S8_S8_EEEEPS9_S9_NSD_9__find_if7functorIS9_EEEE10hipError_tPvRmT1_T2_T3_mT4_P12ihipStream_tbEUlT_E0_NS1_11comp_targetILNS1_3genE8ELNS1_11target_archE1030ELNS1_3gpuE2ELNS1_3repE0EEENS1_30default_config_static_selectorELNS0_4arch9wavefront6targetE0EEEvS14_.numbered_sgpr, 0
	.set _ZN7rocprim17ROCPRIM_400000_NS6detail17trampoline_kernelINS0_14default_configENS1_22reduce_config_selectorIN6thrust23THRUST_200600_302600_NS5tupleIblNS6_9null_typeES8_S8_S8_S8_S8_S8_S8_EEEEZNS1_11reduce_implILb1ES3_NS6_12zip_iteratorINS7_INS6_11hip_rocprim26transform_input_iterator_tIbNSD_35transform_pair_of_input_iterators_tIbNS6_6detail15normal_iteratorINS6_10device_ptrIKxEEEESL_NS6_8equal_toIxEEEENSG_9not_fun_tINSD_8identityEEEEENSD_19counting_iterator_tIlEES8_S8_S8_S8_S8_S8_S8_S8_EEEEPS9_S9_NSD_9__find_if7functorIS9_EEEE10hipError_tPvRmT1_T2_T3_mT4_P12ihipStream_tbEUlT_E0_NS1_11comp_targetILNS1_3genE8ELNS1_11target_archE1030ELNS1_3gpuE2ELNS1_3repE0EEENS1_30default_config_static_selectorELNS0_4arch9wavefront6targetE0EEEvS14_.num_named_barrier, 0
	.set _ZN7rocprim17ROCPRIM_400000_NS6detail17trampoline_kernelINS0_14default_configENS1_22reduce_config_selectorIN6thrust23THRUST_200600_302600_NS5tupleIblNS6_9null_typeES8_S8_S8_S8_S8_S8_S8_EEEEZNS1_11reduce_implILb1ES3_NS6_12zip_iteratorINS7_INS6_11hip_rocprim26transform_input_iterator_tIbNSD_35transform_pair_of_input_iterators_tIbNS6_6detail15normal_iteratorINS6_10device_ptrIKxEEEESL_NS6_8equal_toIxEEEENSG_9not_fun_tINSD_8identityEEEEENSD_19counting_iterator_tIlEES8_S8_S8_S8_S8_S8_S8_S8_EEEEPS9_S9_NSD_9__find_if7functorIS9_EEEE10hipError_tPvRmT1_T2_T3_mT4_P12ihipStream_tbEUlT_E0_NS1_11comp_targetILNS1_3genE8ELNS1_11target_archE1030ELNS1_3gpuE2ELNS1_3repE0EEENS1_30default_config_static_selectorELNS0_4arch9wavefront6targetE0EEEvS14_.private_seg_size, 0
	.set _ZN7rocprim17ROCPRIM_400000_NS6detail17trampoline_kernelINS0_14default_configENS1_22reduce_config_selectorIN6thrust23THRUST_200600_302600_NS5tupleIblNS6_9null_typeES8_S8_S8_S8_S8_S8_S8_EEEEZNS1_11reduce_implILb1ES3_NS6_12zip_iteratorINS7_INS6_11hip_rocprim26transform_input_iterator_tIbNSD_35transform_pair_of_input_iterators_tIbNS6_6detail15normal_iteratorINS6_10device_ptrIKxEEEESL_NS6_8equal_toIxEEEENSG_9not_fun_tINSD_8identityEEEEENSD_19counting_iterator_tIlEES8_S8_S8_S8_S8_S8_S8_S8_EEEEPS9_S9_NSD_9__find_if7functorIS9_EEEE10hipError_tPvRmT1_T2_T3_mT4_P12ihipStream_tbEUlT_E0_NS1_11comp_targetILNS1_3genE8ELNS1_11target_archE1030ELNS1_3gpuE2ELNS1_3repE0EEENS1_30default_config_static_selectorELNS0_4arch9wavefront6targetE0EEEvS14_.uses_vcc, 0
	.set _ZN7rocprim17ROCPRIM_400000_NS6detail17trampoline_kernelINS0_14default_configENS1_22reduce_config_selectorIN6thrust23THRUST_200600_302600_NS5tupleIblNS6_9null_typeES8_S8_S8_S8_S8_S8_S8_EEEEZNS1_11reduce_implILb1ES3_NS6_12zip_iteratorINS7_INS6_11hip_rocprim26transform_input_iterator_tIbNSD_35transform_pair_of_input_iterators_tIbNS6_6detail15normal_iteratorINS6_10device_ptrIKxEEEESL_NS6_8equal_toIxEEEENSG_9not_fun_tINSD_8identityEEEEENSD_19counting_iterator_tIlEES8_S8_S8_S8_S8_S8_S8_S8_EEEEPS9_S9_NSD_9__find_if7functorIS9_EEEE10hipError_tPvRmT1_T2_T3_mT4_P12ihipStream_tbEUlT_E0_NS1_11comp_targetILNS1_3genE8ELNS1_11target_archE1030ELNS1_3gpuE2ELNS1_3repE0EEENS1_30default_config_static_selectorELNS0_4arch9wavefront6targetE0EEEvS14_.uses_flat_scratch, 0
	.set _ZN7rocprim17ROCPRIM_400000_NS6detail17trampoline_kernelINS0_14default_configENS1_22reduce_config_selectorIN6thrust23THRUST_200600_302600_NS5tupleIblNS6_9null_typeES8_S8_S8_S8_S8_S8_S8_EEEEZNS1_11reduce_implILb1ES3_NS6_12zip_iteratorINS7_INS6_11hip_rocprim26transform_input_iterator_tIbNSD_35transform_pair_of_input_iterators_tIbNS6_6detail15normal_iteratorINS6_10device_ptrIKxEEEESL_NS6_8equal_toIxEEEENSG_9not_fun_tINSD_8identityEEEEENSD_19counting_iterator_tIlEES8_S8_S8_S8_S8_S8_S8_S8_EEEEPS9_S9_NSD_9__find_if7functorIS9_EEEE10hipError_tPvRmT1_T2_T3_mT4_P12ihipStream_tbEUlT_E0_NS1_11comp_targetILNS1_3genE8ELNS1_11target_archE1030ELNS1_3gpuE2ELNS1_3repE0EEENS1_30default_config_static_selectorELNS0_4arch9wavefront6targetE0EEEvS14_.has_dyn_sized_stack, 0
	.set _ZN7rocprim17ROCPRIM_400000_NS6detail17trampoline_kernelINS0_14default_configENS1_22reduce_config_selectorIN6thrust23THRUST_200600_302600_NS5tupleIblNS6_9null_typeES8_S8_S8_S8_S8_S8_S8_EEEEZNS1_11reduce_implILb1ES3_NS6_12zip_iteratorINS7_INS6_11hip_rocprim26transform_input_iterator_tIbNSD_35transform_pair_of_input_iterators_tIbNS6_6detail15normal_iteratorINS6_10device_ptrIKxEEEESL_NS6_8equal_toIxEEEENSG_9not_fun_tINSD_8identityEEEEENSD_19counting_iterator_tIlEES8_S8_S8_S8_S8_S8_S8_S8_EEEEPS9_S9_NSD_9__find_if7functorIS9_EEEE10hipError_tPvRmT1_T2_T3_mT4_P12ihipStream_tbEUlT_E0_NS1_11comp_targetILNS1_3genE8ELNS1_11target_archE1030ELNS1_3gpuE2ELNS1_3repE0EEENS1_30default_config_static_selectorELNS0_4arch9wavefront6targetE0EEEvS14_.has_recursion, 0
	.set _ZN7rocprim17ROCPRIM_400000_NS6detail17trampoline_kernelINS0_14default_configENS1_22reduce_config_selectorIN6thrust23THRUST_200600_302600_NS5tupleIblNS6_9null_typeES8_S8_S8_S8_S8_S8_S8_EEEEZNS1_11reduce_implILb1ES3_NS6_12zip_iteratorINS7_INS6_11hip_rocprim26transform_input_iterator_tIbNSD_35transform_pair_of_input_iterators_tIbNS6_6detail15normal_iteratorINS6_10device_ptrIKxEEEESL_NS6_8equal_toIxEEEENSG_9not_fun_tINSD_8identityEEEEENSD_19counting_iterator_tIlEES8_S8_S8_S8_S8_S8_S8_S8_EEEEPS9_S9_NSD_9__find_if7functorIS9_EEEE10hipError_tPvRmT1_T2_T3_mT4_P12ihipStream_tbEUlT_E0_NS1_11comp_targetILNS1_3genE8ELNS1_11target_archE1030ELNS1_3gpuE2ELNS1_3repE0EEENS1_30default_config_static_selectorELNS0_4arch9wavefront6targetE0EEEvS14_.has_indirect_call, 0
	.section	.AMDGPU.csdata,"",@progbits
; Kernel info:
; codeLenInByte = 0
; TotalNumSgprs: 0
; NumVgprs: 0
; ScratchSize: 0
; MemoryBound: 0
; FloatMode: 240
; IeeeMode: 1
; LDSByteSize: 0 bytes/workgroup (compile time only)
; SGPRBlocks: 0
; VGPRBlocks: 0
; NumSGPRsForWavesPerEU: 1
; NumVGPRsForWavesPerEU: 1
; NamedBarCnt: 0
; Occupancy: 16
; WaveLimiterHint : 0
; COMPUTE_PGM_RSRC2:SCRATCH_EN: 0
; COMPUTE_PGM_RSRC2:USER_SGPR: 2
; COMPUTE_PGM_RSRC2:TRAP_HANDLER: 0
; COMPUTE_PGM_RSRC2:TGID_X_EN: 1
; COMPUTE_PGM_RSRC2:TGID_Y_EN: 0
; COMPUTE_PGM_RSRC2:TGID_Z_EN: 0
; COMPUTE_PGM_RSRC2:TIDIG_COMP_CNT: 0
	.section	.text._ZN7rocprim17ROCPRIM_400000_NS6detail17trampoline_kernelINS0_14default_configENS1_22reduce_config_selectorIN6thrust23THRUST_200600_302600_NS5tupleIblNS6_9null_typeES8_S8_S8_S8_S8_S8_S8_EEEEZNS1_11reduce_implILb1ES3_NS6_12zip_iteratorINS7_INS6_11hip_rocprim26transform_input_iterator_tIbNSD_35transform_pair_of_input_iterators_tIbNS6_6detail15normal_iteratorINS6_10device_ptrIKxEEEESL_NS6_8equal_toIxEEEENSG_9not_fun_tINSD_8identityEEEEENSD_19counting_iterator_tIlEES8_S8_S8_S8_S8_S8_S8_S8_EEEEPS9_S9_NSD_9__find_if7functorIS9_EEEE10hipError_tPvRmT1_T2_T3_mT4_P12ihipStream_tbEUlT_E1_NS1_11comp_targetILNS1_3genE0ELNS1_11target_archE4294967295ELNS1_3gpuE0ELNS1_3repE0EEENS1_30default_config_static_selectorELNS0_4arch9wavefront6targetE0EEEvS14_,"axG",@progbits,_ZN7rocprim17ROCPRIM_400000_NS6detail17trampoline_kernelINS0_14default_configENS1_22reduce_config_selectorIN6thrust23THRUST_200600_302600_NS5tupleIblNS6_9null_typeES8_S8_S8_S8_S8_S8_S8_EEEEZNS1_11reduce_implILb1ES3_NS6_12zip_iteratorINS7_INS6_11hip_rocprim26transform_input_iterator_tIbNSD_35transform_pair_of_input_iterators_tIbNS6_6detail15normal_iteratorINS6_10device_ptrIKxEEEESL_NS6_8equal_toIxEEEENSG_9not_fun_tINSD_8identityEEEEENSD_19counting_iterator_tIlEES8_S8_S8_S8_S8_S8_S8_S8_EEEEPS9_S9_NSD_9__find_if7functorIS9_EEEE10hipError_tPvRmT1_T2_T3_mT4_P12ihipStream_tbEUlT_E1_NS1_11comp_targetILNS1_3genE0ELNS1_11target_archE4294967295ELNS1_3gpuE0ELNS1_3repE0EEENS1_30default_config_static_selectorELNS0_4arch9wavefront6targetE0EEEvS14_,comdat
	.protected	_ZN7rocprim17ROCPRIM_400000_NS6detail17trampoline_kernelINS0_14default_configENS1_22reduce_config_selectorIN6thrust23THRUST_200600_302600_NS5tupleIblNS6_9null_typeES8_S8_S8_S8_S8_S8_S8_EEEEZNS1_11reduce_implILb1ES3_NS6_12zip_iteratorINS7_INS6_11hip_rocprim26transform_input_iterator_tIbNSD_35transform_pair_of_input_iterators_tIbNS6_6detail15normal_iteratorINS6_10device_ptrIKxEEEESL_NS6_8equal_toIxEEEENSG_9not_fun_tINSD_8identityEEEEENSD_19counting_iterator_tIlEES8_S8_S8_S8_S8_S8_S8_S8_EEEEPS9_S9_NSD_9__find_if7functorIS9_EEEE10hipError_tPvRmT1_T2_T3_mT4_P12ihipStream_tbEUlT_E1_NS1_11comp_targetILNS1_3genE0ELNS1_11target_archE4294967295ELNS1_3gpuE0ELNS1_3repE0EEENS1_30default_config_static_selectorELNS0_4arch9wavefront6targetE0EEEvS14_ ; -- Begin function _ZN7rocprim17ROCPRIM_400000_NS6detail17trampoline_kernelINS0_14default_configENS1_22reduce_config_selectorIN6thrust23THRUST_200600_302600_NS5tupleIblNS6_9null_typeES8_S8_S8_S8_S8_S8_S8_EEEEZNS1_11reduce_implILb1ES3_NS6_12zip_iteratorINS7_INS6_11hip_rocprim26transform_input_iterator_tIbNSD_35transform_pair_of_input_iterators_tIbNS6_6detail15normal_iteratorINS6_10device_ptrIKxEEEESL_NS6_8equal_toIxEEEENSG_9not_fun_tINSD_8identityEEEEENSD_19counting_iterator_tIlEES8_S8_S8_S8_S8_S8_S8_S8_EEEEPS9_S9_NSD_9__find_if7functorIS9_EEEE10hipError_tPvRmT1_T2_T3_mT4_P12ihipStream_tbEUlT_E1_NS1_11comp_targetILNS1_3genE0ELNS1_11target_archE4294967295ELNS1_3gpuE0ELNS1_3repE0EEENS1_30default_config_static_selectorELNS0_4arch9wavefront6targetE0EEEvS14_
	.globl	_ZN7rocprim17ROCPRIM_400000_NS6detail17trampoline_kernelINS0_14default_configENS1_22reduce_config_selectorIN6thrust23THRUST_200600_302600_NS5tupleIblNS6_9null_typeES8_S8_S8_S8_S8_S8_S8_EEEEZNS1_11reduce_implILb1ES3_NS6_12zip_iteratorINS7_INS6_11hip_rocprim26transform_input_iterator_tIbNSD_35transform_pair_of_input_iterators_tIbNS6_6detail15normal_iteratorINS6_10device_ptrIKxEEEESL_NS6_8equal_toIxEEEENSG_9not_fun_tINSD_8identityEEEEENSD_19counting_iterator_tIlEES8_S8_S8_S8_S8_S8_S8_S8_EEEEPS9_S9_NSD_9__find_if7functorIS9_EEEE10hipError_tPvRmT1_T2_T3_mT4_P12ihipStream_tbEUlT_E1_NS1_11comp_targetILNS1_3genE0ELNS1_11target_archE4294967295ELNS1_3gpuE0ELNS1_3repE0EEENS1_30default_config_static_selectorELNS0_4arch9wavefront6targetE0EEEvS14_
	.p2align	8
	.type	_ZN7rocprim17ROCPRIM_400000_NS6detail17trampoline_kernelINS0_14default_configENS1_22reduce_config_selectorIN6thrust23THRUST_200600_302600_NS5tupleIblNS6_9null_typeES8_S8_S8_S8_S8_S8_S8_EEEEZNS1_11reduce_implILb1ES3_NS6_12zip_iteratorINS7_INS6_11hip_rocprim26transform_input_iterator_tIbNSD_35transform_pair_of_input_iterators_tIbNS6_6detail15normal_iteratorINS6_10device_ptrIKxEEEESL_NS6_8equal_toIxEEEENSG_9not_fun_tINSD_8identityEEEEENSD_19counting_iterator_tIlEES8_S8_S8_S8_S8_S8_S8_S8_EEEEPS9_S9_NSD_9__find_if7functorIS9_EEEE10hipError_tPvRmT1_T2_T3_mT4_P12ihipStream_tbEUlT_E1_NS1_11comp_targetILNS1_3genE0ELNS1_11target_archE4294967295ELNS1_3gpuE0ELNS1_3repE0EEENS1_30default_config_static_selectorELNS0_4arch9wavefront6targetE0EEEvS14_,@function
_ZN7rocprim17ROCPRIM_400000_NS6detail17trampoline_kernelINS0_14default_configENS1_22reduce_config_selectorIN6thrust23THRUST_200600_302600_NS5tupleIblNS6_9null_typeES8_S8_S8_S8_S8_S8_S8_EEEEZNS1_11reduce_implILb1ES3_NS6_12zip_iteratorINS7_INS6_11hip_rocprim26transform_input_iterator_tIbNSD_35transform_pair_of_input_iterators_tIbNS6_6detail15normal_iteratorINS6_10device_ptrIKxEEEESL_NS6_8equal_toIxEEEENSG_9not_fun_tINSD_8identityEEEEENSD_19counting_iterator_tIlEES8_S8_S8_S8_S8_S8_S8_S8_EEEEPS9_S9_NSD_9__find_if7functorIS9_EEEE10hipError_tPvRmT1_T2_T3_mT4_P12ihipStream_tbEUlT_E1_NS1_11comp_targetILNS1_3genE0ELNS1_11target_archE4294967295ELNS1_3gpuE0ELNS1_3repE0EEENS1_30default_config_static_selectorELNS0_4arch9wavefront6targetE0EEEvS14_: ; @_ZN7rocprim17ROCPRIM_400000_NS6detail17trampoline_kernelINS0_14default_configENS1_22reduce_config_selectorIN6thrust23THRUST_200600_302600_NS5tupleIblNS6_9null_typeES8_S8_S8_S8_S8_S8_S8_EEEEZNS1_11reduce_implILb1ES3_NS6_12zip_iteratorINS7_INS6_11hip_rocprim26transform_input_iterator_tIbNSD_35transform_pair_of_input_iterators_tIbNS6_6detail15normal_iteratorINS6_10device_ptrIKxEEEESL_NS6_8equal_toIxEEEENSG_9not_fun_tINSD_8identityEEEEENSD_19counting_iterator_tIlEES8_S8_S8_S8_S8_S8_S8_S8_EEEEPS9_S9_NSD_9__find_if7functorIS9_EEEE10hipError_tPvRmT1_T2_T3_mT4_P12ihipStream_tbEUlT_E1_NS1_11comp_targetILNS1_3genE0ELNS1_11target_archE4294967295ELNS1_3gpuE0ELNS1_3repE0EEENS1_30default_config_static_selectorELNS0_4arch9wavefront6targetE0EEEvS14_
; %bb.0:
	s_clause 0x2
	s_load_b32 s24, s[0:1], 0x4
	s_load_b128 s[16:19], s[0:1], 0x8
	s_load_b128 s[12:15], s[0:1], 0x28
	s_wait_kmcnt 0x0
	s_cmp_lt_i32 s24, 4
	s_cbranch_scc1 .LBB234_14
; %bb.1:
	s_cmp_gt_i32 s24, 7
	s_cbranch_scc0 .LBB234_15
; %bb.2:
	s_cmp_eq_u32 s24, 8
	s_mov_b32 s25, 0
	s_cbranch_scc0 .LBB234_16
; %bb.3:
	s_bfe_u32 s2, ttmp6, 0x4000c
	s_and_b32 s3, ttmp6, 15
	s_add_co_i32 s2, s2, 1
	s_getreg_b32 s4, hwreg(HW_REG_IB_STS2, 6, 4)
	s_mul_i32 s2, ttmp9, s2
	s_mov_b32 s11, 0
	s_add_co_i32 s3, s3, s2
	s_cmp_eq_u32 s4, 0
	s_mov_b32 s7, s11
	s_cselect_b32 s10, ttmp9, s3
	s_lshr_b64 s[2:3], s[14:15], 10
	s_lshl_b32 s6, s10, 10
	s_delay_alu instid0(SALU_CYCLE_1)
	s_lshl_b64 s[4:5], s[6:7], 3
	s_cmp_lg_u64 s[2:3], s[10:11]
	s_add_nc_u64 s[8:9], s[16:17], s[4:5]
	s_add_nc_u64 s[22:23], s[18:19], s[4:5]
	;; [unrolled: 1-line block ×3, first 2 shown]
	s_cbranch_scc0 .LBB234_29
; %bb.4:
	s_clause 0xf
	global_load_b64 v[2:3], v0, s[22:23] scale_offset
	global_load_b64 v[4:5], v0, s[22:23] offset:1024 scale_offset
	global_load_b64 v[6:7], v0, s[22:23] offset:2048 scale_offset
	;; [unrolled: 1-line block ×3, first 2 shown]
	global_load_b64 v[10:11], v0, s[8:9] scale_offset
	global_load_b64 v[12:13], v0, s[8:9] offset:2048 scale_offset
	global_load_b64 v[14:15], v0, s[8:9] offset:3072 scale_offset
	;; [unrolled: 1-line block ×11, first 2 shown]
	v_dual_mov_b32 v34, 0x80 :: v_dual_mov_b32 v1, 0
	v_mov_b32_e32 v35, 0x180
	s_wait_loadcnt 0xc
	v_cmp_ne_u64_e32 vcc_lo, v[8:9], v[4:5]
	s_wait_loadcnt 0xb
	v_cmp_ne_u64_e64 s2, v[10:11], v[2:3]
	s_wait_loadcnt 0xa
	v_cmp_ne_u64_e64 s3, v[12:13], v[6:7]
	v_dual_mov_b32 v2, 0x280 :: v_dual_mov_b32 v5, v1
	s_wait_loadcnt 0x7
	v_cmp_ne_u64_e64 s4, v[16:17], v[18:19]
	s_wait_loadcnt 0x6
	v_cmp_ne_u64_e64 s5, v[14:15], v[20:21]
	v_cndmask_b32_e32 v4, 0x100, v34, vcc_lo
	s_delay_alu instid0(VALU_DEP_1)
	v_cndmask_b32_e64 v4, v4, 0, s2
	s_or_b32 s2, s2, vcc_lo
	s_wait_loadcnt 0x4
	v_cmp_ne_u64_e32 vcc_lo, v[22:23], v[24:25]
	v_cndmask_b32_e64 v3, 0x200, v35, s5
	s_or_b32 s2, s2, s3
	s_wait_loadcnt 0x2
	v_cmp_ne_u64_e64 s3, v[28:29], v[26:27]
	s_delay_alu instid0(VALU_DEP_2) | instskip(SKIP_2) | instid1(SALU_CYCLE_1)
	v_cndmask_b32_e64 v3, v3, v4, s2
	v_cndmask_b32_e32 v2, 0x300, v2, vcc_lo
	s_or_b32 s2, s2, s5
	s_or_b32 s2, s2, s4
	s_delay_alu instid0(VALU_DEP_1) | instid1(SALU_CYCLE_1)
	v_cndmask_b32_e64 v4, v2, v3, s2
	s_or_b32 s2, s2, vcc_lo
	v_add_nc_u64_e32 v[2:3], s[20:21], v[0:1]
	s_or_b32 vcc_lo, s2, s3
	s_wait_loadcnt 0x0
	v_cmp_ne_u64_e64 s2, v[30:31], v[32:33]
	v_cndmask_b32_e32 v4, 0x380, v4, vcc_lo
	s_delay_alu instid0(VALU_DEP_1) | instskip(SKIP_3) | instid1(VALU_DEP_2)
	v_add_nc_u64_e32 v[2:3], v[2:3], v[4:5]
	s_or_b32 vcc_lo, vcc_lo, s2
	s_mov_b32 s2, exec_lo
	v_cndmask_b32_e64 v8, 0, 1, vcc_lo
	v_mov_b32_dpp v4, v2 quad_perm:[1,0,3,2] row_mask:0xf bank_mask:0xf
	s_delay_alu instid0(VALU_DEP_3) | instskip(NEXT) | instid1(VALU_DEP_3)
	v_mov_b32_dpp v5, v3 quad_perm:[1,0,3,2] row_mask:0xf bank_mask:0xf
	v_mov_b32_dpp v9, v8 quad_perm:[1,0,3,2] row_mask:0xf bank_mask:0xf
	s_delay_alu instid0(VALU_DEP_2) | instskip(NEXT) | instid1(VALU_DEP_1)
	v_min_i64 v[6:7], v[2:3], v[4:5]
	v_dual_cndmask_b32 v4, v4, v6, vcc_lo :: v_dual_bitop2_b32 v9, 1, v9 bitop3:0x40
	s_delay_alu instid0(VALU_DEP_2) | instskip(NEXT) | instid1(VALU_DEP_2)
	v_cndmask_b32_e32 v5, v5, v7, vcc_lo
	v_cmp_eq_u32_e32 vcc_lo, 1, v9
	v_cndmask_b32_e64 v8, v8, 1, vcc_lo
	s_delay_alu instid0(VALU_DEP_1) | instskip(SKIP_2) | instid1(VALU_DEP_3)
	v_dual_cndmask_b32 v3, v3, v5, vcc_lo :: v_dual_bitop2_b32 v9, 1, v8 bitop3:0x40
	v_mov_b32_dpp v10, v8 quad_perm:[2,3,0,1] row_mask:0xf bank_mask:0xf
	v_cndmask_b32_e32 v2, v2, v4, vcc_lo
	v_mov_b32_dpp v5, v3 quad_perm:[2,3,0,1] row_mask:0xf bank_mask:0xf
	s_delay_alu instid0(VALU_DEP_4) | instskip(NEXT) | instid1(VALU_DEP_4)
	v_cmp_eq_u32_e32 vcc_lo, 1, v9
	v_and_b32_e32 v9, 1, v10
	s_delay_alu instid0(VALU_DEP_4) | instskip(NEXT) | instid1(VALU_DEP_1)
	v_mov_b32_dpp v4, v2 quad_perm:[2,3,0,1] row_mask:0xf bank_mask:0xf
	v_min_i64 v[6:7], v[2:3], v[4:5]
	s_delay_alu instid0(VALU_DEP_1) | instskip(NEXT) | instid1(VALU_DEP_4)
	v_dual_cndmask_b32 v4, v4, v6 :: v_dual_cndmask_b32 v5, v5, v7
	v_cmp_eq_u32_e32 vcc_lo, 1, v9
	s_delay_alu instid0(VALU_DEP_2) | instskip(SKIP_1) | instid1(VALU_DEP_4)
	v_cndmask_b32_e32 v2, v2, v4, vcc_lo
	v_cndmask_b32_e64 v8, v8, 1, vcc_lo
	v_cndmask_b32_e32 v3, v3, v5, vcc_lo
	s_delay_alu instid0(VALU_DEP_3) | instskip(NEXT) | instid1(VALU_DEP_3)
	v_mov_b32_dpp v4, v2 row_ror:4 row_mask:0xf bank_mask:0xf
	v_and_b32_e32 v9, 1, v8
	s_delay_alu instid0(VALU_DEP_3) | instskip(SKIP_1) | instid1(VALU_DEP_3)
	v_mov_b32_dpp v5, v3 row_ror:4 row_mask:0xf bank_mask:0xf
	v_mov_b32_dpp v10, v8 row_ror:4 row_mask:0xf bank_mask:0xf
	v_cmp_eq_u32_e32 vcc_lo, 1, v9
	s_delay_alu instid0(VALU_DEP_3) | instskip(NEXT) | instid1(VALU_DEP_1)
	v_min_i64 v[6:7], v[2:3], v[4:5]
	v_dual_cndmask_b32 v5, v5, v7, vcc_lo :: v_dual_bitop2_b32 v9, 1, v10 bitop3:0x40
	s_delay_alu instid0(VALU_DEP_2) | instskip(NEXT) | instid1(VALU_DEP_2)
	v_cndmask_b32_e32 v4, v4, v6, vcc_lo
	v_cmp_eq_u32_e32 vcc_lo, 1, v9
	v_cndmask_b32_e64 v8, v8, 1, vcc_lo
	s_delay_alu instid0(VALU_DEP_1) | instskip(SKIP_2) | instid1(VALU_DEP_3)
	v_dual_cndmask_b32 v3, v3, v5, vcc_lo :: v_dual_bitop2_b32 v9, 1, v8 bitop3:0x40
	v_mov_b32_dpp v10, v8 row_ror:8 row_mask:0xf bank_mask:0xf
	v_cndmask_b32_e32 v2, v2, v4, vcc_lo
	v_mov_b32_dpp v5, v3 row_ror:8 row_mask:0xf bank_mask:0xf
	s_delay_alu instid0(VALU_DEP_4) | instskip(NEXT) | instid1(VALU_DEP_4)
	v_cmp_eq_u32_e32 vcc_lo, 1, v9
	v_and_b32_e32 v9, 1, v10
	s_delay_alu instid0(VALU_DEP_4) | instskip(NEXT) | instid1(VALU_DEP_1)
	v_mov_b32_dpp v4, v2 row_ror:8 row_mask:0xf bank_mask:0xf
	v_min_i64 v[6:7], v[2:3], v[4:5]
	s_delay_alu instid0(VALU_DEP_1) | instskip(NEXT) | instid1(VALU_DEP_4)
	v_dual_cndmask_b32 v4, v4, v6 :: v_dual_cndmask_b32 v5, v5, v7
	v_cmp_eq_u32_e32 vcc_lo, 1, v9
	s_delay_alu instid0(VALU_DEP_2) | instskip(SKIP_1) | instid1(VALU_DEP_4)
	v_cndmask_b32_e32 v2, v2, v4, vcc_lo
	v_cndmask_b32_e64 v8, v8, 1, vcc_lo
	v_cndmask_b32_e32 v3, v3, v5, vcc_lo
	ds_swizzle_b32 v4, v2 offset:swizzle(BROADCAST,32,15)
	v_and_b32_e32 v10, 1, v8
	ds_swizzle_b32 v5, v3 offset:swizzle(BROADCAST,32,15)
	ds_swizzle_b32 v9, v8 offset:swizzle(BROADCAST,32,15)
	v_cmp_eq_u32_e32 vcc_lo, 1, v10
	s_wait_dscnt 0x1
	v_min_i64 v[6:7], v[2:3], v[4:5]
	s_wait_dscnt 0x0
	s_delay_alu instid0(VALU_DEP_1) | instskip(NEXT) | instid1(VALU_DEP_2)
	v_dual_cndmask_b32 v4, v4, v6, vcc_lo :: v_dual_bitop2_b32 v9, 1, v9 bitop3:0x40
	v_cndmask_b32_e32 v5, v5, v7, vcc_lo
	s_delay_alu instid0(VALU_DEP_2) | instskip(NEXT) | instid1(VALU_DEP_2)
	v_cmp_eq_u32_e32 vcc_lo, 1, v9
	v_dual_cndmask_b32 v2, v2, v4 :: v_dual_cndmask_b32 v3, v3, v5
	v_cndmask_b32_e64 v5, v8, 1, vcc_lo
	ds_bpermute_b32 v2, v1, v2 offset:124
	ds_bpermute_b32 v3, v1, v3 offset:124
	;; [unrolled: 1-line block ×3, first 2 shown]
	v_mbcnt_lo_u32_b32 v1, -1, 0
	s_delay_alu instid0(VALU_DEP_1)
	v_cmpx_eq_u32_e32 0, v1
	s_cbranch_execz .LBB234_6
; %bb.5:
	v_lshrrev_b32_e32 v4, 1, v0
	s_delay_alu instid0(VALU_DEP_1)
	v_and_b32_e32 v4, 48, v4
	s_wait_dscnt 0x0
	ds_store_b8 v4, v20 offset:192
	ds_store_b64 v4, v[2:3] offset:200
.LBB234_6:
	s_or_b32 exec_lo, exec_lo, s2
	s_delay_alu instid0(SALU_CYCLE_1)
	s_mov_b32 s2, exec_lo
	s_wait_dscnt 0x0
	s_barrier_signal -1
	s_barrier_wait -1
	v_cmpx_gt_u32_e32 32, v0
	s_cbranch_execz .LBB234_12
; %bb.7:
	v_and_b32_e32 v2, 3, v1
	s_delay_alu instid0(VALU_DEP_1) | instskip(SKIP_2) | instid1(VALU_DEP_1)
	v_cmp_ne_u32_e32 vcc_lo, 3, v2
	v_lshlrev_b32_e32 v3, 4, v2
	v_add_co_ci_u32_e64 v2, null, 0, v1, vcc_lo
	v_lshlrev_b32_e32 v2, 2, v2
	ds_load_u8 v8, v3 offset:192
	ds_load_b64 v[4:5], v3 offset:200
	s_wait_dscnt 0x1
	v_and_b32_e32 v3, 0xff, v8
	s_wait_dscnt 0x0
	ds_bpermute_b32 v6, v2, v4
	ds_bpermute_b32 v7, v2, v5
	;; [unrolled: 1-line block ×3, first 2 shown]
	s_wait_dscnt 0x0
	v_and_b32_e32 v2, v8, v9
	s_delay_alu instid0(VALU_DEP_1) | instskip(NEXT) | instid1(VALU_DEP_1)
	v_and_b32_e32 v2, 1, v2
	v_cmp_eq_u32_e32 vcc_lo, 1, v2
                                        ; implicit-def: $vgpr2_vgpr3
	s_and_saveexec_b32 s3, vcc_lo
	s_delay_alu instid0(SALU_CYCLE_1)
	s_xor_b32 s3, exec_lo, s3
; %bb.8:
	v_min_i64 v[2:3], v[6:7], v[4:5]
                                        ; implicit-def: $vgpr8
                                        ; implicit-def: $vgpr6_vgpr7
                                        ; implicit-def: $vgpr4_vgpr5
                                        ; implicit-def: $vgpr9
; %bb.9:
	s_or_saveexec_b32 s3, s3
	v_dual_mov_b32 v10, 1 :: v_dual_lshlrev_b32 v1, 2, v1
	s_xor_b32 exec_lo, exec_lo, s3
; %bb.10:
	v_and_b32_e32 v2, 1, v8
	v_and_b32_e32 v8, 0xff, v9
	s_delay_alu instid0(VALU_DEP_2) | instskip(SKIP_1) | instid1(VALU_DEP_3)
	v_cmp_eq_u32_e32 vcc_lo, 1, v2
	v_dual_cndmask_b32 v3, v7, v5 :: v_dual_cndmask_b32 v2, v6, v4
	v_cndmask_b32_e64 v10, v8, 1, vcc_lo
; %bb.11:
	s_or_b32 exec_lo, exec_lo, s3
	s_delay_alu instid0(VALU_DEP_1) | instskip(NEXT) | instid1(VALU_DEP_1)
	v_and_b32_e32 v8, 1, v10
	v_cmp_eq_u32_e32 vcc_lo, 1, v8
	v_or_b32_e32 v1, 8, v1
	ds_bpermute_b32 v4, v1, v2
	ds_bpermute_b32 v5, v1, v3
	s_wait_dscnt 0x0
	v_min_i64 v[6:7], v[4:5], v[2:3]
	v_cndmask_b32_e32 v2, v4, v2, vcc_lo
	ds_bpermute_b32 v1, v1, v10
	v_cndmask_b32_e32 v3, v5, v3, vcc_lo
	s_wait_dscnt 0x0
	v_bitop3_b32 v8, v10, 1, v1 bitop3:0x80
	v_cndmask_b32_e64 v1, v1, 1, vcc_lo
	s_delay_alu instid0(VALU_DEP_2) | instskip(NEXT) | instid1(VALU_DEP_2)
	v_cmp_eq_u32_e32 vcc_lo, 0, v8
	v_dual_cndmask_b32 v20, 1, v1 :: v_dual_cndmask_b32 v3, v7, v3
	v_cndmask_b32_e32 v2, v6, v2, vcc_lo
.LBB234_12:
	s_or_b32 exec_lo, exec_lo, s2
.LBB234_13:
	v_cmp_eq_u32_e64 s2, 0, v0
	s_and_b32 vcc_lo, exec_lo, s25
	s_cbranch_vccnz .LBB234_17
	s_branch .LBB234_118
.LBB234_14:
	s_mov_b32 s2, 0
                                        ; implicit-def: $sgpr10_sgpr11
                                        ; implicit-def: $vgpr2_vgpr3
                                        ; implicit-def: $vgpr20
	s_cbranch_execnz .LBB234_155
	s_branch .LBB234_211
.LBB234_15:
	s_mov_b32 s25, -1
.LBB234_16:
	s_mov_b32 s2, 0
                                        ; implicit-def: $sgpr10_sgpr11
                                        ; implicit-def: $vgpr2_vgpr3
                                        ; implicit-def: $vgpr20
	s_and_b32 vcc_lo, exec_lo, s25
	s_cbranch_vccz .LBB234_118
.LBB234_17:
	s_cmp_eq_u32 s24, 4
	s_cbranch_scc0 .LBB234_28
; %bb.18:
	s_bfe_u32 s2, ttmp6, 0x4000c
	s_and_b32 s3, ttmp6, 15
	s_add_co_i32 s2, s2, 1
	s_getreg_b32 s4, hwreg(HW_REG_IB_STS2, 6, 4)
	s_mul_i32 s2, ttmp9, s2
	s_mov_b32 s11, 0
	s_add_co_i32 s3, s3, s2
	s_cmp_eq_u32 s4, 0
	s_mov_b32 s21, s11
	s_cselect_b32 s10, ttmp9, s3
	s_lshr_b64 s[2:3], s[14:15], 9
	s_lshl_b32 s20, s10, 9
	s_delay_alu instid0(SALU_CYCLE_1)
	s_lshl_b64 s[4:5], s[20:21], 3
	s_cmp_lg_u64 s[2:3], s[10:11]
	s_add_nc_u64 s[6:7], s[16:17], s[4:5]
	s_add_nc_u64 s[8:9], s[18:19], s[4:5]
	;; [unrolled: 1-line block ×3, first 2 shown]
	s_cbranch_scc0 .LBB234_52
; %bb.19:
	global_load_b64 v[2:3], v0, s[8:9] offset:1024 scale_offset
	s_wait_dscnt 0x0
	s_clause 0x6
	global_load_b64 v[4:5], v0, s[6:7] offset:1024 scale_offset
	global_load_b64 v[6:7], v0, s[6:7] scale_offset
	global_load_b64 v[8:9], v0, s[8:9] scale_offset
	global_load_b64 v[10:11], v0, s[8:9] offset:2048 scale_offset
	global_load_b64 v[12:13], v0, s[6:7] offset:2048 scale_offset
	;; [unrolled: 1-line block ×4, first 2 shown]
	v_mov_b32_e32 v1, 0x80
	s_wait_loadcnt 0x6
	v_cmp_ne_u64_e32 vcc_lo, v[4:5], v[2:3]
	s_wait_loadcnt 0x4
	v_cmp_ne_u64_e64 s2, v[6:7], v[8:9]
	s_wait_loadcnt 0x2
	v_cmp_ne_u64_e64 s3, v[12:13], v[10:11]
	v_dual_cndmask_b32 v2, 0x100, v1 :: v_dual_mov_b32 v1, 0
	s_delay_alu instid0(VALU_DEP_1) | instskip(SKIP_1) | instid1(VALU_DEP_2)
	v_cndmask_b32_e64 v4, v2, 0, s2
	s_or_b32 s2, s2, vcc_lo
	v_add_nc_u64_e32 v[2:3], s[4:5], v[0:1]
	s_or_b32 vcc_lo, s2, s3
	s_delay_alu instid0(VALU_DEP_2) | instskip(SKIP_2) | instid1(VALU_DEP_2)
	v_dual_mov_b32 v5, v1 :: v_dual_cndmask_b32 v4, 0x180, v4
	s_wait_loadcnt 0x0
	v_cmp_ne_u64_e64 s2, v[14:15], v[16:17]
	v_add_nc_u64_e32 v[2:3], v[2:3], v[4:5]
	s_or_b32 vcc_lo, vcc_lo, s2
	s_mov_b32 s2, exec_lo
	v_cndmask_b32_e64 v8, 0, 1, vcc_lo
	s_delay_alu instid0(VALU_DEP_2) | instskip(NEXT) | instid1(VALU_DEP_3)
	v_mov_b32_dpp v4, v2 quad_perm:[1,0,3,2] row_mask:0xf bank_mask:0xf
	v_mov_b32_dpp v5, v3 quad_perm:[1,0,3,2] row_mask:0xf bank_mask:0xf
	s_delay_alu instid0(VALU_DEP_3) | instskip(NEXT) | instid1(VALU_DEP_2)
	v_mov_b32_dpp v9, v8 quad_perm:[1,0,3,2] row_mask:0xf bank_mask:0xf
	v_min_i64 v[6:7], v[2:3], v[4:5]
	s_delay_alu instid0(VALU_DEP_1) | instskip(NEXT) | instid1(VALU_DEP_2)
	v_dual_cndmask_b32 v5, v5, v7, vcc_lo :: v_dual_bitop2_b32 v9, 1, v9 bitop3:0x40
	v_cndmask_b32_e32 v4, v4, v6, vcc_lo
	s_delay_alu instid0(VALU_DEP_2) | instskip(NEXT) | instid1(VALU_DEP_2)
	v_cmp_eq_u32_e32 vcc_lo, 1, v9
	v_dual_cndmask_b32 v3, v3, v5 :: v_dual_cndmask_b32 v2, v2, v4
	v_cndmask_b32_e64 v8, v8, 1, vcc_lo
	s_delay_alu instid0(VALU_DEP_2) | instskip(NEXT) | instid1(VALU_DEP_3)
	v_mov_b32_dpp v5, v3 quad_perm:[2,3,0,1] row_mask:0xf bank_mask:0xf
	v_mov_b32_dpp v4, v2 quad_perm:[2,3,0,1] row_mask:0xf bank_mask:0xf
	s_delay_alu instid0(VALU_DEP_3) | instskip(NEXT) | instid1(VALU_DEP_2)
	v_mov_b32_dpp v10, v8 quad_perm:[2,3,0,1] row_mask:0xf bank_mask:0xf
	v_min_i64 v[6:7], v[2:3], v[4:5]
	v_and_b32_e32 v9, 1, v8
	s_delay_alu instid0(VALU_DEP_1) | instskip(NEXT) | instid1(VALU_DEP_3)
	v_cmp_eq_u32_e32 vcc_lo, 1, v9
	v_dual_cndmask_b32 v5, v5, v7, vcc_lo :: v_dual_bitop2_b32 v9, 1, v10 bitop3:0x40
	s_delay_alu instid0(VALU_DEP_4) | instskip(NEXT) | instid1(VALU_DEP_2)
	v_cndmask_b32_e32 v4, v4, v6, vcc_lo
	v_cmp_eq_u32_e32 vcc_lo, 1, v9
	s_delay_alu instid0(VALU_DEP_2) | instskip(SKIP_1) | instid1(VALU_DEP_2)
	v_dual_cndmask_b32 v3, v3, v5 :: v_dual_cndmask_b32 v2, v2, v4
	v_cndmask_b32_e64 v8, v8, 1, vcc_lo
	v_mov_b32_dpp v5, v3 row_ror:4 row_mask:0xf bank_mask:0xf
	s_delay_alu instid0(VALU_DEP_3) | instskip(NEXT) | instid1(VALU_DEP_3)
	v_mov_b32_dpp v4, v2 row_ror:4 row_mask:0xf bank_mask:0xf
	v_mov_b32_dpp v10, v8 row_ror:4 row_mask:0xf bank_mask:0xf
	s_delay_alu instid0(VALU_DEP_2) | instskip(SKIP_1) | instid1(VALU_DEP_1)
	v_min_i64 v[6:7], v[2:3], v[4:5]
	v_and_b32_e32 v9, 1, v8
	v_cmp_eq_u32_e32 vcc_lo, 1, v9
	s_delay_alu instid0(VALU_DEP_3) | instskip(NEXT) | instid1(VALU_DEP_4)
	v_dual_cndmask_b32 v5, v5, v7, vcc_lo :: v_dual_bitop2_b32 v9, 1, v10 bitop3:0x40
	v_cndmask_b32_e32 v4, v4, v6, vcc_lo
	s_delay_alu instid0(VALU_DEP_2) | instskip(NEXT) | instid1(VALU_DEP_2)
	v_cmp_eq_u32_e32 vcc_lo, 1, v9
	v_dual_cndmask_b32 v3, v3, v5 :: v_dual_cndmask_b32 v2, v2, v4
	v_cndmask_b32_e64 v8, v8, 1, vcc_lo
	s_delay_alu instid0(VALU_DEP_2) | instskip(NEXT) | instid1(VALU_DEP_3)
	v_mov_b32_dpp v5, v3 row_ror:8 row_mask:0xf bank_mask:0xf
	v_mov_b32_dpp v4, v2 row_ror:8 row_mask:0xf bank_mask:0xf
	s_delay_alu instid0(VALU_DEP_3) | instskip(NEXT) | instid1(VALU_DEP_2)
	v_mov_b32_dpp v10, v8 row_ror:8 row_mask:0xf bank_mask:0xf
	v_min_i64 v[6:7], v[2:3], v[4:5]
	v_and_b32_e32 v9, 1, v8
	s_delay_alu instid0(VALU_DEP_1) | instskip(NEXT) | instid1(VALU_DEP_3)
	v_cmp_eq_u32_e32 vcc_lo, 1, v9
	v_dual_cndmask_b32 v5, v5, v7, vcc_lo :: v_dual_bitop2_b32 v9, 1, v10 bitop3:0x40
	s_delay_alu instid0(VALU_DEP_4) | instskip(NEXT) | instid1(VALU_DEP_2)
	v_cndmask_b32_e32 v4, v4, v6, vcc_lo
	v_cmp_eq_u32_e32 vcc_lo, 1, v9
	s_delay_alu instid0(VALU_DEP_2)
	v_dual_cndmask_b32 v3, v3, v5 :: v_dual_cndmask_b32 v2, v2, v4
	v_cndmask_b32_e64 v8, v8, 1, vcc_lo
	ds_swizzle_b32 v5, v3 offset:swizzle(BROADCAST,32,15)
	ds_swizzle_b32 v4, v2 offset:swizzle(BROADCAST,32,15)
	;; [unrolled: 1-line block ×3, first 2 shown]
	s_wait_dscnt 0x1
	v_min_i64 v[6:7], v[2:3], v[4:5]
	v_and_b32_e32 v10, 1, v8
	s_delay_alu instid0(VALU_DEP_1) | instskip(SKIP_1) | instid1(VALU_DEP_3)
	v_cmp_eq_u32_e32 vcc_lo, 1, v10
	s_wait_dscnt 0x0
	v_dual_cndmask_b32 v5, v5, v7, vcc_lo :: v_dual_bitop2_b32 v9, 1, v9 bitop3:0x40
	s_delay_alu instid0(VALU_DEP_4) | instskip(NEXT) | instid1(VALU_DEP_2)
	v_cndmask_b32_e32 v4, v4, v6, vcc_lo
	v_cmp_eq_u32_e32 vcc_lo, 1, v9
	s_delay_alu instid0(VALU_DEP_2)
	v_dual_cndmask_b32 v3, v3, v5 :: v_dual_cndmask_b32 v2, v2, v4
	v_cndmask_b32_e64 v5, v8, 1, vcc_lo
	ds_bpermute_b32 v3, v1, v3 offset:124
	ds_bpermute_b32 v2, v1, v2 offset:124
	;; [unrolled: 1-line block ×3, first 2 shown]
	v_mbcnt_lo_u32_b32 v1, -1, 0
	s_delay_alu instid0(VALU_DEP_1)
	v_cmpx_eq_u32_e32 0, v1
	s_cbranch_execz .LBB234_21
; %bb.20:
	v_lshrrev_b32_e32 v4, 1, v0
	s_delay_alu instid0(VALU_DEP_1)
	v_and_b32_e32 v4, 48, v4
	s_wait_dscnt 0x0
	ds_store_b8 v4, v20 offset:128
	ds_store_b64 v4, v[2:3] offset:136
.LBB234_21:
	s_or_b32 exec_lo, exec_lo, s2
	s_delay_alu instid0(SALU_CYCLE_1)
	s_mov_b32 s2, exec_lo
	s_wait_dscnt 0x0
	s_barrier_signal -1
	s_barrier_wait -1
	v_cmpx_gt_u32_e32 32, v0
	s_cbranch_execz .LBB234_27
; %bb.22:
	v_and_b32_e32 v2, 3, v1
	s_delay_alu instid0(VALU_DEP_1) | instskip(SKIP_2) | instid1(VALU_DEP_1)
	v_cmp_ne_u32_e32 vcc_lo, 3, v2
	v_lshlrev_b32_e32 v3, 4, v2
	v_add_co_ci_u32_e64 v2, null, 0, v1, vcc_lo
	v_lshlrev_b32_e32 v2, 2, v2
	ds_load_u8 v8, v3 offset:128
	ds_load_b64 v[4:5], v3 offset:136
	s_wait_dscnt 0x1
	v_and_b32_e32 v3, 0xff, v8
	s_wait_dscnt 0x0
	ds_bpermute_b32 v6, v2, v4
	ds_bpermute_b32 v7, v2, v5
	ds_bpermute_b32 v9, v2, v3
	s_wait_dscnt 0x0
	v_and_b32_e32 v2, v8, v9
	s_delay_alu instid0(VALU_DEP_1) | instskip(NEXT) | instid1(VALU_DEP_1)
	v_and_b32_e32 v2, 1, v2
	v_cmp_eq_u32_e32 vcc_lo, 1, v2
                                        ; implicit-def: $vgpr2_vgpr3
	s_and_saveexec_b32 s3, vcc_lo
	s_delay_alu instid0(SALU_CYCLE_1)
	s_xor_b32 s3, exec_lo, s3
; %bb.23:
	v_min_i64 v[2:3], v[6:7], v[4:5]
                                        ; implicit-def: $vgpr8
                                        ; implicit-def: $vgpr6_vgpr7
                                        ; implicit-def: $vgpr4_vgpr5
                                        ; implicit-def: $vgpr9
; %bb.24:
	s_or_saveexec_b32 s3, s3
	v_dual_mov_b32 v10, 1 :: v_dual_lshlrev_b32 v1, 2, v1
	s_xor_b32 exec_lo, exec_lo, s3
; %bb.25:
	v_and_b32_e32 v2, 1, v8
	v_and_b32_e32 v8, 0xff, v9
	s_delay_alu instid0(VALU_DEP_2) | instskip(SKIP_1) | instid1(VALU_DEP_3)
	v_cmp_eq_u32_e32 vcc_lo, 1, v2
	v_dual_cndmask_b32 v3, v7, v5 :: v_dual_cndmask_b32 v2, v6, v4
	v_cndmask_b32_e64 v10, v8, 1, vcc_lo
; %bb.26:
	s_or_b32 exec_lo, exec_lo, s3
	s_delay_alu instid0(VALU_DEP_1) | instskip(NEXT) | instid1(VALU_DEP_1)
	v_and_b32_e32 v8, 1, v10
	v_cmp_eq_u32_e32 vcc_lo, 1, v8
	v_or_b32_e32 v1, 8, v1
	ds_bpermute_b32 v4, v1, v2
	ds_bpermute_b32 v5, v1, v3
	s_wait_dscnt 0x0
	v_min_i64 v[6:7], v[4:5], v[2:3]
	v_cndmask_b32_e32 v2, v4, v2, vcc_lo
	ds_bpermute_b32 v1, v1, v10
	v_cndmask_b32_e32 v3, v5, v3, vcc_lo
	s_wait_dscnt 0x0
	v_bitop3_b32 v8, v10, 1, v1 bitop3:0x80
	v_cndmask_b32_e64 v1, v1, 1, vcc_lo
	s_delay_alu instid0(VALU_DEP_2) | instskip(NEXT) | instid1(VALU_DEP_2)
	v_cmp_eq_u32_e32 vcc_lo, 0, v8
	v_dual_cndmask_b32 v20, 1, v1 :: v_dual_cndmask_b32 v3, v7, v3
	v_cndmask_b32_e32 v2, v6, v2, vcc_lo
.LBB234_27:
	s_or_b32 exec_lo, exec_lo, s2
	s_branch .LBB234_154
.LBB234_28:
                                        ; implicit-def: $sgpr10_sgpr11
                                        ; implicit-def: $vgpr2_vgpr3
                                        ; implicit-def: $vgpr20
	s_branch .LBB234_211
.LBB234_29:
                                        ; implicit-def: $vgpr2_vgpr3
                                        ; implicit-def: $vgpr20
	s_cbranch_execz .LBB234_13
; %bb.30:
	v_mov_b64_e32 v[16:17], 0
	v_mov_b64_e32 v[2:3], 0
	v_dual_mov_b32 v26, 0 :: v_dual_mov_b32 v20, 0
	s_sub_co_i32 s26, s14, s6
	s_mov_b32 s2, exec_lo
	v_cmpx_gt_u32_e64 s26, v0
	s_cbranch_execz .LBB234_32
; %bb.31:
	s_clause 0x1
	global_load_b64 v[4:5], v0, s[8:9] scale_offset
	global_load_b64 v[6:7], v0, s[22:23] scale_offset
	v_mov_b32_e32 v1, 0
	s_delay_alu instid0(VALU_DEP_1)
	v_add_nc_u64_e32 v[2:3], s[20:21], v[0:1]
	s_wait_loadcnt 0x0
	v_cmp_ne_u64_e32 vcc_lo, v[4:5], v[6:7]
	v_cndmask_b32_e64 v20, 0, 1, vcc_lo
.LBB234_32:
	s_or_b32 exec_lo, exec_lo, s2
	v_or_b32_e32 v4, 0x80, v0
	s_delay_alu instid0(VALU_DEP_1)
	v_cmp_gt_u32_e64 s7, s26, v4
	s_and_saveexec_b32 s2, s7
	s_cbranch_execz .LBB234_34
; %bb.33:
	s_clause 0x1
	global_load_b64 v[6:7], v0, s[8:9] offset:1024 scale_offset
	global_load_b64 v[8:9], v0, s[22:23] offset:1024 scale_offset
	v_mov_b32_e32 v5, 0
	s_delay_alu instid0(VALU_DEP_1)
	v_add_nc_u64_e32 v[16:17], s[20:21], v[4:5]
	s_wait_loadcnt 0x0
	v_cmp_ne_u64_e32 vcc_lo, v[6:7], v[8:9]
	v_cndmask_b32_e64 v26, 0, 1, vcc_lo
.LBB234_34:
	s_or_b32 exec_lo, exec_lo, s2
	v_or_b32_e32 v4, 0x100, v0
	v_mov_b64_e32 v[12:13], 0
	v_mov_b64_e32 v[14:15], 0
	v_dual_mov_b32 v24, 0 :: v_dual_mov_b32 v25, 0
	s_delay_alu instid0(VALU_DEP_4)
	v_cmp_gt_u32_e64 s6, s26, v4
	s_and_saveexec_b32 s2, s6
	s_cbranch_execz .LBB234_36
; %bb.35:
	s_clause 0x1
	global_load_b64 v[6:7], v0, s[8:9] offset:2048 scale_offset
	global_load_b64 v[8:9], v0, s[22:23] offset:2048 scale_offset
	v_mov_b32_e32 v5, 0
	s_delay_alu instid0(VALU_DEP_1)
	v_add_nc_u64_e32 v[14:15], s[20:21], v[4:5]
	s_wait_loadcnt 0x0
	v_cmp_ne_u64_e32 vcc_lo, v[6:7], v[8:9]
	v_cndmask_b32_e64 v25, 0, 1, vcc_lo
.LBB234_36:
	s_or_b32 exec_lo, exec_lo, s2
	v_or_b32_e32 v4, 0x180, v0
	s_delay_alu instid0(VALU_DEP_1)
	v_cmp_gt_u32_e64 s5, s26, v4
	s_and_saveexec_b32 s2, s5
	s_cbranch_execz .LBB234_38
; %bb.37:
	s_clause 0x1
	global_load_b64 v[6:7], v0, s[8:9] offset:3072 scale_offset
	global_load_b64 v[8:9], v0, s[22:23] offset:3072 scale_offset
	v_mov_b32_e32 v5, 0
	s_delay_alu instid0(VALU_DEP_1)
	v_add_nc_u64_e32 v[12:13], s[20:21], v[4:5]
	s_wait_loadcnt 0x0
	v_cmp_ne_u64_e32 vcc_lo, v[6:7], v[8:9]
	v_cndmask_b32_e64 v24, 0, 1, vcc_lo
.LBB234_38:
	s_or_b32 exec_lo, exec_lo, s2
	v_or_b32_e32 v4, 0x200, v0
	v_mov_b64_e32 v[8:9], 0
	v_mov_b64_e32 v[10:11], 0
	v_dual_mov_b32 v22, 0 :: v_dual_mov_b32 v23, 0
	s_delay_alu instid0(VALU_DEP_4)
	v_cmp_gt_u32_e64 s4, s26, v4
	s_and_saveexec_b32 s2, s4
	s_cbranch_execz .LBB234_40
; %bb.39:
	s_clause 0x1
	global_load_b64 v[6:7], v0, s[8:9] offset:4096 scale_offset
	global_load_b64 v[18:19], v0, s[22:23] offset:4096 scale_offset
	v_mov_b32_e32 v5, 0
	s_delay_alu instid0(VALU_DEP_1)
	v_add_nc_u64_e32 v[10:11], s[20:21], v[4:5]
	s_wait_loadcnt 0x0
	v_cmp_ne_u64_e32 vcc_lo, v[6:7], v[18:19]
	v_cndmask_b32_e64 v23, 0, 1, vcc_lo
.LBB234_40:
	;; [unrolled: 37-line block ×3, first 2 shown]
	s_or_b32 exec_lo, exec_lo, s27
	v_or_b32_e32 v18, 0x380, v0
	s_delay_alu instid0(VALU_DEP_1)
	v_cmp_gt_u32_e32 vcc_lo, s26, v18
	s_and_saveexec_b32 s27, vcc_lo
	s_cbranch_execnz .LBB234_63
; %bb.45:
	s_or_b32 exec_lo, exec_lo, s27
	s_and_saveexec_b32 s9, s7
	s_cbranch_execnz .LBB234_64
.LBB234_46:
	s_or_b32 exec_lo, exec_lo, s9
	s_and_saveexec_b32 s8, s6
	s_cbranch_execnz .LBB234_69
.LBB234_47:
	s_or_b32 exec_lo, exec_lo, s8
	s_and_saveexec_b32 s7, s5
	s_cbranch_execnz .LBB234_74
.LBB234_48:
	s_or_b32 exec_lo, exec_lo, s7
	s_and_saveexec_b32 s6, s4
	s_cbranch_execnz .LBB234_79
.LBB234_49:
	s_or_b32 exec_lo, exec_lo, s6
	s_and_saveexec_b32 s5, s3
	s_cbranch_execnz .LBB234_84
.LBB234_50:
	s_or_b32 exec_lo, exec_lo, s5
	s_and_saveexec_b32 s4, s2
	s_cbranch_execnz .LBB234_89
.LBB234_51:
	s_or_b32 exec_lo, exec_lo, s4
	s_and_saveexec_b32 s3, vcc_lo
	s_cbranch_execnz .LBB234_94
	s_branch .LBB234_99
.LBB234_52:
                                        ; implicit-def: $vgpr2_vgpr3
                                        ; implicit-def: $vgpr20
	s_cbranch_execz .LBB234_154
; %bb.53:
	v_mov_b64_e32 v[8:9], 0
	v_mov_b64_e32 v[2:3], 0
	v_dual_mov_b32 v13, 0 :: v_dual_mov_b32 v20, 0
	s_sub_co_i32 s20, s14, s20
	s_mov_b32 s2, exec_lo
	v_cmpx_gt_u32_e64 s20, v0
	s_cbranch_execz .LBB234_55
; %bb.54:
	s_wait_dscnt 0x0
	s_clause 0x1
	global_load_b64 v[4:5], v0, s[6:7] scale_offset
	global_load_b64 v[6:7], v0, s[8:9] scale_offset
	v_mov_b32_e32 v1, 0
	s_delay_alu instid0(VALU_DEP_1)
	v_add_nc_u64_e32 v[2:3], s[4:5], v[0:1]
	s_wait_loadcnt 0x0
	v_cmp_ne_u64_e32 vcc_lo, v[4:5], v[6:7]
	v_cndmask_b32_e64 v20, 0, 1, vcc_lo
.LBB234_55:
	s_or_b32 exec_lo, exec_lo, s2
	s_wait_dscnt 0x1
	v_or_b32_e32 v4, 0x80, v0
	s_delay_alu instid0(VALU_DEP_1)
	v_cmp_gt_u32_e64 s3, s20, v4
	s_and_saveexec_b32 s2, s3
	s_cbranch_execz .LBB234_57
; %bb.56:
	s_clause 0x1
	global_load_b64 v[6:7], v0, s[6:7] offset:1024 scale_offset
	global_load_b64 v[10:11], v0, s[8:9] offset:1024 scale_offset
	s_wait_dscnt 0x0
	v_mov_b32_e32 v5, 0
	s_delay_alu instid0(VALU_DEP_1)
	v_add_nc_u64_e32 v[8:9], s[4:5], v[4:5]
	s_wait_loadcnt 0x0
	v_cmp_ne_u64_e32 vcc_lo, v[6:7], v[10:11]
	v_cndmask_b32_e64 v13, 0, 1, vcc_lo
.LBB234_57:
	s_or_b32 exec_lo, exec_lo, s2
	v_or_b32_e32 v10, 0x100, v0
	s_wait_dscnt 0x0
	v_mov_b64_e32 v[4:5], 0
	v_mov_b64_e32 v[6:7], 0
	v_dual_mov_b32 v1, 0 :: v_dual_mov_b32 v12, 0
	v_cmp_gt_u32_e64 s2, s20, v10
	s_and_saveexec_b32 s21, s2
	s_cbranch_execz .LBB234_59
; %bb.58:
	s_clause 0x1
	global_load_b64 v[14:15], v0, s[6:7] offset:2048 scale_offset
	global_load_b64 v[16:17], v0, s[8:9] offset:2048 scale_offset
	v_mov_b32_e32 v11, 0
	s_delay_alu instid0(VALU_DEP_1)
	v_add_nc_u64_e32 v[6:7], s[4:5], v[10:11]
	s_wait_loadcnt 0x0
	v_cmp_ne_u64_e32 vcc_lo, v[14:15], v[16:17]
	v_cndmask_b32_e64 v12, 0, 1, vcc_lo
.LBB234_59:
	s_or_b32 exec_lo, exec_lo, s21
	v_or_b32_e32 v10, 0x180, v0
	s_delay_alu instid0(VALU_DEP_1)
	v_cmp_gt_u32_e32 vcc_lo, s20, v10
	s_and_saveexec_b32 s21, vcc_lo
	s_cbranch_execnz .LBB234_119
; %bb.60:
	s_or_b32 exec_lo, exec_lo, s21
	s_and_saveexec_b32 s5, s3
	s_cbranch_execnz .LBB234_120
.LBB234_61:
	s_or_b32 exec_lo, exec_lo, s5
	s_and_saveexec_b32 s4, s2
	s_cbranch_execnz .LBB234_125
.LBB234_62:
	s_or_b32 exec_lo, exec_lo, s4
	s_and_saveexec_b32 s3, vcc_lo
	s_cbranch_execnz .LBB234_130
	s_branch .LBB234_135
.LBB234_63:
	s_clause 0x1
	global_load_b64 v[28:29], v0, s[8:9] offset:7168 scale_offset
	global_load_b64 v[30:31], v0, s[22:23] offset:7168 scale_offset
	v_mov_b32_e32 v19, 0
	s_delay_alu instid0(VALU_DEP_1) | instskip(SKIP_2) | instid1(VALU_DEP_1)
	v_add_nc_u64_e32 v[4:5], s[20:21], v[18:19]
	s_wait_loadcnt 0x0
	v_cmp_ne_u64_e64 s8, v[28:29], v[30:31]
	v_cndmask_b32_e64 v1, 0, 1, s8
	s_or_b32 exec_lo, exec_lo, s27
	s_and_saveexec_b32 s9, s7
	s_cbranch_execz .LBB234_46
.LBB234_64:
	v_and_b32_e32 v18, 1, v20
	v_and_b32_e32 v19, 1, v26
                                        ; implicit-def: $vgpr20
	s_delay_alu instid0(VALU_DEP_2) | instskip(NEXT) | instid1(VALU_DEP_2)
	v_cmp_eq_u32_e64 s7, 1, v18
	v_cmp_eq_u32_e64 s8, 1, v19
	s_and_b32 s8, s7, s8
	s_delay_alu instid0(SALU_CYCLE_1) | instskip(NEXT) | instid1(SALU_CYCLE_1)
	s_xor_b32 s8, s8, -1
	s_and_saveexec_b32 s20, s8
	s_delay_alu instid0(SALU_CYCLE_1)
	s_xor_b32 s8, exec_lo, s20
; %bb.65:
	v_and_b32_e32 v18, 0xffff, v26
	v_dual_cndmask_b32 v3, v17, v3, s7 :: v_dual_cndmask_b32 v2, v16, v2, s7
                                        ; implicit-def: $vgpr16_vgpr17
	s_delay_alu instid0(VALU_DEP_2)
	v_cndmask_b32_e64 v20, v18, 1, s7
; %bb.66:
	s_and_not1_saveexec_b32 s7, s8
	s_cbranch_execz .LBB234_68
; %bb.67:
	s_delay_alu instid0(VALU_DEP_2)
	v_min_i64 v[2:3], v[16:17], v[2:3]
	v_mov_b32_e32 v20, 1
.LBB234_68:
	s_or_b32 exec_lo, exec_lo, s7
	s_delay_alu instid0(SALU_CYCLE_1)
	s_or_b32 exec_lo, exec_lo, s9
	s_and_saveexec_b32 s8, s6
	s_cbranch_execz .LBB234_47
.LBB234_69:
	v_and_b32_e32 v16, 1, v20
	v_and_b32_e32 v17, 1, v25
                                        ; implicit-def: $vgpr20
	s_delay_alu instid0(VALU_DEP_2) | instskip(NEXT) | instid1(VALU_DEP_2)
	v_cmp_eq_u32_e64 s6, 1, v16
	v_cmp_eq_u32_e64 s7, 1, v17
	s_and_b32 s7, s6, s7
	s_delay_alu instid0(SALU_CYCLE_1) | instskip(NEXT) | instid1(SALU_CYCLE_1)
	s_xor_b32 s7, s7, -1
	s_and_saveexec_b32 s9, s7
	s_delay_alu instid0(SALU_CYCLE_1)
	s_xor_b32 s7, exec_lo, s9
; %bb.70:
	v_and_b32_e32 v16, 0xffff, v25
	v_dual_cndmask_b32 v3, v15, v3, s6 :: v_dual_cndmask_b32 v2, v14, v2, s6
                                        ; implicit-def: $vgpr14_vgpr15
	s_delay_alu instid0(VALU_DEP_2)
	v_cndmask_b32_e64 v20, v16, 1, s6
; %bb.71:
	s_and_not1_saveexec_b32 s6, s7
	s_cbranch_execz .LBB234_73
; %bb.72:
	s_delay_alu instid0(VALU_DEP_2)
	v_min_i64 v[2:3], v[14:15], v[2:3]
	v_mov_b32_e32 v20, 1
.LBB234_73:
	s_or_b32 exec_lo, exec_lo, s6
	s_delay_alu instid0(SALU_CYCLE_1)
	s_or_b32 exec_lo, exec_lo, s8
	s_and_saveexec_b32 s7, s5
	s_cbranch_execz .LBB234_48
.LBB234_74:
	v_and_b32_e32 v14, 1, v20
	v_and_b32_e32 v15, 1, v24
                                        ; implicit-def: $vgpr20
	s_delay_alu instid0(VALU_DEP_2) | instskip(NEXT) | instid1(VALU_DEP_2)
	v_cmp_eq_u32_e64 s5, 1, v14
	v_cmp_eq_u32_e64 s6, 1, v15
	s_and_b32 s6, s5, s6
	s_delay_alu instid0(SALU_CYCLE_1) | instskip(NEXT) | instid1(SALU_CYCLE_1)
	s_xor_b32 s6, s6, -1
	s_and_saveexec_b32 s8, s6
	s_delay_alu instid0(SALU_CYCLE_1)
	s_xor_b32 s6, exec_lo, s8
; %bb.75:
	v_and_b32_e32 v14, 0xffff, v24
	v_dual_cndmask_b32 v3, v13, v3, s5 :: v_dual_cndmask_b32 v2, v12, v2, s5
                                        ; implicit-def: $vgpr12_vgpr13
	s_delay_alu instid0(VALU_DEP_2)
	v_cndmask_b32_e64 v20, v14, 1, s5
; %bb.76:
	s_and_not1_saveexec_b32 s5, s6
	s_cbranch_execz .LBB234_78
; %bb.77:
	s_delay_alu instid0(VALU_DEP_2)
	v_min_i64 v[2:3], v[12:13], v[2:3]
	v_mov_b32_e32 v20, 1
.LBB234_78:
	s_or_b32 exec_lo, exec_lo, s5
	s_delay_alu instid0(SALU_CYCLE_1)
	s_or_b32 exec_lo, exec_lo, s7
	s_and_saveexec_b32 s6, s4
	s_cbranch_execz .LBB234_49
.LBB234_79:
	v_and_b32_e32 v12, 1, v20
	v_and_b32_e32 v13, 1, v23
                                        ; implicit-def: $vgpr20
	s_delay_alu instid0(VALU_DEP_2) | instskip(NEXT) | instid1(VALU_DEP_2)
	v_cmp_eq_u32_e64 s4, 1, v12
	v_cmp_eq_u32_e64 s5, 1, v13
	s_and_b32 s5, s4, s5
	s_delay_alu instid0(SALU_CYCLE_1) | instskip(NEXT) | instid1(SALU_CYCLE_1)
	s_xor_b32 s5, s5, -1
	s_and_saveexec_b32 s7, s5
	s_delay_alu instid0(SALU_CYCLE_1)
	s_xor_b32 s5, exec_lo, s7
; %bb.80:
	v_and_b32_e32 v12, 0xffff, v23
	v_dual_cndmask_b32 v3, v11, v3, s4 :: v_dual_cndmask_b32 v2, v10, v2, s4
                                        ; implicit-def: $vgpr10_vgpr11
	s_delay_alu instid0(VALU_DEP_2)
	v_cndmask_b32_e64 v20, v12, 1, s4
; %bb.81:
	s_and_not1_saveexec_b32 s4, s5
	s_cbranch_execz .LBB234_83
; %bb.82:
	s_delay_alu instid0(VALU_DEP_2)
	v_min_i64 v[2:3], v[10:11], v[2:3]
	v_mov_b32_e32 v20, 1
.LBB234_83:
	s_or_b32 exec_lo, exec_lo, s4
	s_delay_alu instid0(SALU_CYCLE_1)
	s_or_b32 exec_lo, exec_lo, s6
	s_and_saveexec_b32 s5, s3
	s_cbranch_execz .LBB234_50
.LBB234_84:
	v_and_b32_e32 v10, 1, v20
	v_and_b32_e32 v11, 1, v22
                                        ; implicit-def: $vgpr20
	s_delay_alu instid0(VALU_DEP_2) | instskip(NEXT) | instid1(VALU_DEP_2)
	v_cmp_eq_u32_e64 s3, 1, v10
	v_cmp_eq_u32_e64 s4, 1, v11
	s_and_b32 s4, s3, s4
	s_delay_alu instid0(SALU_CYCLE_1) | instskip(NEXT) | instid1(SALU_CYCLE_1)
	s_xor_b32 s4, s4, -1
	s_and_saveexec_b32 s6, s4
	s_delay_alu instid0(SALU_CYCLE_1)
	s_xor_b32 s4, exec_lo, s6
; %bb.85:
	v_and_b32_e32 v10, 0xffff, v22
	v_dual_cndmask_b32 v3, v9, v3, s3 :: v_dual_cndmask_b32 v2, v8, v2, s3
                                        ; implicit-def: $vgpr8_vgpr9
	s_delay_alu instid0(VALU_DEP_2)
	v_cndmask_b32_e64 v20, v10, 1, s3
; %bb.86:
	s_and_not1_saveexec_b32 s3, s4
	s_cbranch_execz .LBB234_88
; %bb.87:
	s_delay_alu instid0(VALU_DEP_2)
	v_min_i64 v[2:3], v[8:9], v[2:3]
	v_mov_b32_e32 v20, 1
.LBB234_88:
	s_or_b32 exec_lo, exec_lo, s3
	s_delay_alu instid0(SALU_CYCLE_1)
	s_or_b32 exec_lo, exec_lo, s5
	s_and_saveexec_b32 s4, s2
	s_cbranch_execz .LBB234_51
.LBB234_89:
	v_and_b32_e32 v8, 1, v20
	v_and_b32_e32 v9, 1, v21
                                        ; implicit-def: $vgpr20
	s_delay_alu instid0(VALU_DEP_2) | instskip(NEXT) | instid1(VALU_DEP_2)
	v_cmp_eq_u32_e64 s2, 1, v8
	v_cmp_eq_u32_e64 s3, 1, v9
	s_and_b32 s3, s2, s3
	s_delay_alu instid0(SALU_CYCLE_1) | instskip(NEXT) | instid1(SALU_CYCLE_1)
	s_xor_b32 s3, s3, -1
	s_and_saveexec_b32 s5, s3
	s_delay_alu instid0(SALU_CYCLE_1)
	s_xor_b32 s3, exec_lo, s5
; %bb.90:
	v_and_b32_e32 v8, 0xffff, v21
	v_dual_cndmask_b32 v3, v7, v3, s2 :: v_dual_cndmask_b32 v2, v6, v2, s2
                                        ; implicit-def: $vgpr6_vgpr7
	s_delay_alu instid0(VALU_DEP_2)
	v_cndmask_b32_e64 v20, v8, 1, s2
; %bb.91:
	s_and_not1_saveexec_b32 s2, s3
	s_cbranch_execz .LBB234_93
; %bb.92:
	s_delay_alu instid0(VALU_DEP_2)
	v_min_i64 v[2:3], v[6:7], v[2:3]
	v_mov_b32_e32 v20, 1
.LBB234_93:
	s_or_b32 exec_lo, exec_lo, s2
	s_delay_alu instid0(SALU_CYCLE_1)
	s_or_b32 exec_lo, exec_lo, s4
	s_and_saveexec_b32 s3, vcc_lo
	s_cbranch_execz .LBB234_99
.LBB234_94:
	v_and_b32_e32 v6, 1, v20
	v_and_b32_e32 v7, 1, v1
                                        ; implicit-def: $vgpr20
	s_delay_alu instid0(VALU_DEP_2) | instskip(NEXT) | instid1(VALU_DEP_2)
	v_cmp_eq_u32_e32 vcc_lo, 1, v6
	v_cmp_eq_u32_e64 s2, 1, v7
	s_and_b32 s2, vcc_lo, s2
	s_delay_alu instid0(SALU_CYCLE_1) | instskip(NEXT) | instid1(SALU_CYCLE_1)
	s_xor_b32 s2, s2, -1
	s_and_saveexec_b32 s4, s2
	s_delay_alu instid0(SALU_CYCLE_1)
	s_xor_b32 s2, exec_lo, s4
; %bb.95:
	v_and_b32_e32 v1, 0xffff, v1
	v_dual_cndmask_b32 v3, v5, v3 :: v_dual_cndmask_b32 v2, v4, v2
                                        ; implicit-def: $vgpr4_vgpr5
	s_delay_alu instid0(VALU_DEP_2)
	v_cndmask_b32_e64 v20, v1, 1, vcc_lo
; %bb.96:
	s_and_not1_saveexec_b32 s2, s2
	s_cbranch_execz .LBB234_98
; %bb.97:
	s_delay_alu instid0(VALU_DEP_2)
	v_min_i64 v[2:3], v[4:5], v[2:3]
	v_mov_b32_e32 v20, 1
.LBB234_98:
	s_or_b32 exec_lo, exec_lo, s2
.LBB234_99:
	s_delay_alu instid0(SALU_CYCLE_1) | instskip(SKIP_4) | instid1(VALU_DEP_2)
	s_or_b32 exec_lo, exec_lo, s3
	v_mbcnt_lo_u32_b32 v1, -1, 0
	v_and_b32_e32 v6, 0x60, v0
	s_min_u32 s3, s26, 0x80
	s_mov_b32 s2, exec_lo
	v_cmp_ne_u32_e32 vcc_lo, 31, v1
	s_delay_alu instid0(VALU_DEP_2) | instskip(SKIP_2) | instid1(VALU_DEP_1)
	v_sub_nc_u32_e64 v6, s3, v6 clamp
	v_add_nc_u32_e32 v8, 1, v1
	v_add_co_ci_u32_e64 v4, null, 0, v1, vcc_lo
	v_lshlrev_b32_e32 v5, 2, v4
	ds_bpermute_b32 v7, v5, v20
	ds_bpermute_b32 v4, v5, v2
	ds_bpermute_b32 v5, v5, v3
	v_cmpx_lt_u32_e64 v8, v6
	s_xor_b32 s4, exec_lo, s2
	s_cbranch_execz .LBB234_101
; %bb.100:
	s_wait_dscnt 0x0
	v_min_i64 v[8:9], v[4:5], v[2:3]
	v_and_b32_e32 v10, 1, v20
	s_delay_alu instid0(VALU_DEP_1) | instskip(SKIP_3) | instid1(VALU_DEP_3)
	v_cmp_eq_u32_e32 vcc_lo, 1, v10
	v_and_b32_e32 v10, v7, v20
	v_and_b32_e32 v7, 0xff, v7
	v_dual_cndmask_b32 v2, v4, v2 :: v_dual_cndmask_b32 v3, v5, v3
	v_cmp_eq_u32_e64 s2, 0, v10
	s_delay_alu instid0(VALU_DEP_3) | instskip(NEXT) | instid1(VALU_DEP_1)
	v_cndmask_b32_e64 v4, v7, 1, vcc_lo
	v_dual_cndmask_b32 v20, 1, v4, s2 :: v_dual_cndmask_b32 v3, v9, v3, s2
	s_delay_alu instid0(VALU_DEP_4)
	v_cndmask_b32_e64 v2, v8, v2, s2
.LBB234_101:
	s_or_b32 exec_lo, exec_lo, s4
	v_cmp_gt_u32_e32 vcc_lo, 30, v1
	v_add_nc_u32_e32 v8, 2, v1
	s_mov_b32 s4, exec_lo
	s_wait_dscnt 0x1
	v_cndmask_b32_e64 v4, 0, 2, vcc_lo
	s_wait_dscnt 0x0
	s_delay_alu instid0(VALU_DEP_1)
	v_add_lshl_u32 v5, v4, v1, 2
	ds_bpermute_b32 v7, v5, v20
	ds_bpermute_b32 v4, v5, v2
	ds_bpermute_b32 v5, v5, v3
	v_cmpx_lt_u32_e64 v8, v6
	s_cbranch_execz .LBB234_103
; %bb.102:
	s_wait_dscnt 0x0
	v_min_i64 v[8:9], v[4:5], v[2:3]
	v_and_b32_e32 v10, 1, v20
	s_delay_alu instid0(VALU_DEP_1) | instskip(SKIP_3) | instid1(VALU_DEP_3)
	v_cmp_eq_u32_e32 vcc_lo, 1, v10
	v_bitop3_b32 v10, v20, 1, v7 bitop3:0x80
	v_and_b32_e32 v7, 0xff, v7
	v_cndmask_b32_e32 v2, v4, v2, vcc_lo
	v_cmp_eq_u32_e64 s2, 0, v10
	v_cndmask_b32_e32 v3, v5, v3, vcc_lo
	s_delay_alu instid0(VALU_DEP_4) | instskip(NEXT) | instid1(VALU_DEP_1)
	v_cndmask_b32_e64 v4, v7, 1, vcc_lo
	v_dual_cndmask_b32 v20, 1, v4, s2 :: v_dual_cndmask_b32 v2, v8, v2, s2
	s_delay_alu instid0(VALU_DEP_3)
	v_cndmask_b32_e64 v3, v9, v3, s2
.LBB234_103:
	s_or_b32 exec_lo, exec_lo, s4
	v_cmp_gt_u32_e32 vcc_lo, 28, v1
	v_add_nc_u32_e32 v8, 4, v1
	s_mov_b32 s4, exec_lo
	s_wait_dscnt 0x1
	v_cndmask_b32_e64 v4, 0, 4, vcc_lo
	s_wait_dscnt 0x0
	s_delay_alu instid0(VALU_DEP_1)
	v_add_lshl_u32 v5, v4, v1, 2
	ds_bpermute_b32 v7, v5, v20
	ds_bpermute_b32 v4, v5, v2
	ds_bpermute_b32 v5, v5, v3
	v_cmpx_lt_u32_e64 v8, v6
	s_cbranch_execz .LBB234_105
; %bb.104:
	s_wait_dscnt 0x0
	v_min_i64 v[8:9], v[4:5], v[2:3]
	v_and_b32_e32 v10, 1, v20
	s_delay_alu instid0(VALU_DEP_1) | instskip(SKIP_3) | instid1(VALU_DEP_3)
	v_cmp_eq_u32_e32 vcc_lo, 1, v10
	v_bitop3_b32 v10, v20, 1, v7 bitop3:0x80
	v_and_b32_e32 v7, 0xff, v7
	v_cndmask_b32_e32 v2, v4, v2, vcc_lo
	v_cmp_eq_u32_e64 s2, 0, v10
	v_cndmask_b32_e32 v3, v5, v3, vcc_lo
	s_delay_alu instid0(VALU_DEP_4) | instskip(NEXT) | instid1(VALU_DEP_1)
	v_cndmask_b32_e64 v4, v7, 1, vcc_lo
	v_dual_cndmask_b32 v20, 1, v4, s2 :: v_dual_cndmask_b32 v2, v8, v2, s2
	s_delay_alu instid0(VALU_DEP_3)
	v_cndmask_b32_e64 v3, v9, v3, s2
.LBB234_105:
	;; [unrolled: 31-line block ×3, first 2 shown]
	s_or_b32 exec_lo, exec_lo, s4
	s_wait_dscnt 0x2
	v_dual_lshlrev_b32 v7, 2, v1 :: v_dual_add_nc_u32 v9, 16, v1
	s_wait_dscnt 0x0
	s_delay_alu instid0(VALU_DEP_1) | instskip(NEXT) | instid1(VALU_DEP_2)
	v_or_b32_e32 v5, 64, v7
	v_cmp_lt_u32_e32 vcc_lo, v9, v6
	v_mov_b32_e32 v6, v20
	ds_bpermute_b32 v8, v5, v20
	ds_bpermute_b32 v4, v5, v2
	;; [unrolled: 1-line block ×3, first 2 shown]
	s_and_saveexec_b32 s4, vcc_lo
	s_cbranch_execz .LBB234_109
; %bb.108:
	s_wait_dscnt 0x0
	v_min_i64 v[10:11], v[4:5], v[2:3]
	v_and_b32_e32 v6, 1, v20
	v_bitop3_b32 v9, v20, 1, v8 bitop3:0x80
	s_delay_alu instid0(VALU_DEP_2) | instskip(NEXT) | instid1(VALU_DEP_2)
	v_cmp_eq_u32_e32 vcc_lo, 1, v6
	v_cmp_eq_u32_e64 s2, 0, v9
	v_cndmask_b32_e64 v6, v8, 1, vcc_lo
	v_dual_cndmask_b32 v3, v5, v3 :: v_dual_cndmask_b32 v2, v4, v2
	s_delay_alu instid0(VALU_DEP_2) | instskip(NEXT) | instid1(VALU_DEP_1)
	v_cndmask_b32_e64 v6, 1, v6, s2
	v_and_b32_e32 v20, 0xff, v6
	s_delay_alu instid0(VALU_DEP_3)
	v_dual_cndmask_b32 v3, v11, v3, s2 :: v_dual_cndmask_b32 v2, v10, v2, s2
.LBB234_109:
	s_or_b32 exec_lo, exec_lo, s4
	s_delay_alu instid0(SALU_CYCLE_1)
	s_mov_b32 s2, exec_lo
	v_cmpx_eq_u32_e32 0, v1
	s_cbranch_execz .LBB234_111
; %bb.110:
	s_wait_dscnt 0x1
	v_lshrrev_b32_e32 v4, 1, v0
	s_delay_alu instid0(VALU_DEP_1)
	v_and_b32_e32 v4, 48, v4
	ds_store_b8 v4, v6 offset:256
	ds_store_b64 v4, v[2:3] offset:264
.LBB234_111:
	s_or_b32 exec_lo, exec_lo, s2
	s_delay_alu instid0(SALU_CYCLE_1)
	s_mov_b32 s4, exec_lo
	s_wait_dscnt 0x0
	s_barrier_signal -1
	s_barrier_wait -1
	v_cmpx_gt_u32_e32 4, v0
	s_cbranch_execz .LBB234_117
; %bb.112:
	v_dual_lshlrev_b32 v2, 4, v1 :: v_dual_bitop2_b32 v6, 3, v1 bitop3:0x40
	s_add_co_i32 s3, s3, 31
	s_mov_b32 s5, exec_lo
	s_lshr_b32 s3, s3, 5
	ds_load_u8 v8, v2 offset:256
	ds_load_b64 v[2:3], v2 offset:264
	v_cmp_ne_u32_e32 vcc_lo, 3, v6
	v_add_nc_u32_e32 v9, 1, v6
	v_add_co_ci_u32_e64 v1, null, 0, v1, vcc_lo
	s_delay_alu instid0(VALU_DEP_1)
	v_lshlrev_b32_e32 v5, 2, v1
	s_wait_dscnt 0x1
	v_and_b32_e32 v20, 0xff, v8
	s_wait_dscnt 0x0
	ds_bpermute_b32 v4, v5, v2
	ds_bpermute_b32 v1, v5, v20
	ds_bpermute_b32 v5, v5, v3
	v_cmpx_gt_u32_e64 s3, v9
	s_cbranch_execz .LBB234_114
; %bb.113:
	s_wait_dscnt 0x0
	v_min_i64 v[10:11], v[4:5], v[2:3]
	v_and_b32_e32 v8, 1, v8
	s_delay_alu instid0(VALU_DEP_1) | instskip(SKIP_3) | instid1(VALU_DEP_3)
	v_cmp_eq_u32_e32 vcc_lo, 1, v8
	v_bitop3_b32 v8, v20, 1, v1 bitop3:0x80
	v_and_b32_e32 v1, 0xff, v1
	v_cndmask_b32_e32 v2, v4, v2, vcc_lo
	v_cmp_eq_u32_e64 s2, 0, v8
	v_cndmask_b32_e32 v3, v5, v3, vcc_lo
	s_delay_alu instid0(VALU_DEP_4) | instskip(NEXT) | instid1(VALU_DEP_1)
	v_cndmask_b32_e64 v1, v1, 1, vcc_lo
	v_dual_cndmask_b32 v20, 1, v1, s2 :: v_dual_cndmask_b32 v2, v10, v2, s2
	s_delay_alu instid0(VALU_DEP_3)
	v_cndmask_b32_e64 v3, v11, v3, s2
.LBB234_114:
	s_or_b32 exec_lo, exec_lo, s5
	s_wait_dscnt 0x0
	v_dual_add_nc_u32 v6, 2, v6 :: v_dual_bitop2_b32 v5, 8, v7 bitop3:0x54
	ds_bpermute_b32 v1, v5, v20
	ds_bpermute_b32 v4, v5, v2
	;; [unrolled: 1-line block ×3, first 2 shown]
	v_cmp_gt_u32_e32 vcc_lo, s3, v6
	s_and_saveexec_b32 s3, vcc_lo
	s_cbranch_execz .LBB234_116
; %bb.115:
	s_wait_dscnt 0x0
	v_min_i64 v[6:7], v[4:5], v[2:3]
	v_and_b32_e32 v8, 1, v20
	s_delay_alu instid0(VALU_DEP_1) | instskip(SKIP_2) | instid1(VALU_DEP_2)
	v_cmp_eq_u32_e32 vcc_lo, 1, v8
	v_bitop3_b32 v8, v20, 1, v1 bitop3:0x80
	v_cndmask_b32_e32 v2, v4, v2, vcc_lo
	v_cmp_eq_u32_e64 s2, 0, v8
	v_cndmask_b32_e32 v3, v5, v3, vcc_lo
	v_cndmask_b32_e64 v1, v1, 1, vcc_lo
	s_delay_alu instid0(VALU_DEP_1) | instskip(NEXT) | instid1(VALU_DEP_3)
	v_dual_cndmask_b32 v20, 1, v1, s2 :: v_dual_cndmask_b32 v2, v6, v2, s2
	v_cndmask_b32_e64 v3, v7, v3, s2
.LBB234_116:
	s_or_b32 exec_lo, exec_lo, s3
.LBB234_117:
	s_delay_alu instid0(SALU_CYCLE_1)
	s_or_b32 exec_lo, exec_lo, s4
	v_cmp_eq_u32_e64 s2, 0, v0
	s_and_b32 vcc_lo, exec_lo, s25
	s_cbranch_vccnz .LBB234_17
.LBB234_118:
	s_branch .LBB234_211
.LBB234_119:
	s_clause 0x1
	global_load_b64 v[14:15], v0, s[6:7] offset:3072 scale_offset
	global_load_b64 v[16:17], v0, s[8:9] offset:3072 scale_offset
	v_mov_b32_e32 v11, 0
	s_delay_alu instid0(VALU_DEP_1) | instskip(SKIP_2) | instid1(VALU_DEP_1)
	v_add_nc_u64_e32 v[4:5], s[4:5], v[10:11]
	s_wait_loadcnt 0x0
	v_cmp_ne_u64_e64 s4, v[14:15], v[16:17]
	v_cndmask_b32_e64 v1, 0, 1, s4
	s_or_b32 exec_lo, exec_lo, s21
	s_and_saveexec_b32 s5, s3
	s_cbranch_execz .LBB234_61
.LBB234_120:
	v_and_b32_e32 v10, 1, v20
	v_and_b32_e32 v11, 1, v13
                                        ; implicit-def: $vgpr20
	s_delay_alu instid0(VALU_DEP_2) | instskip(NEXT) | instid1(VALU_DEP_2)
	v_cmp_eq_u32_e64 s3, 1, v10
	v_cmp_eq_u32_e64 s4, 1, v11
	s_and_b32 s4, s3, s4
	s_delay_alu instid0(SALU_CYCLE_1) | instskip(NEXT) | instid1(SALU_CYCLE_1)
	s_xor_b32 s4, s4, -1
	s_and_saveexec_b32 s6, s4
	s_delay_alu instid0(SALU_CYCLE_1)
	s_xor_b32 s4, exec_lo, s6
; %bb.121:
	v_and_b32_e32 v10, 0xffff, v13
	v_dual_cndmask_b32 v3, v9, v3, s3 :: v_dual_cndmask_b32 v2, v8, v2, s3
                                        ; implicit-def: $vgpr8_vgpr9
	s_delay_alu instid0(VALU_DEP_2)
	v_cndmask_b32_e64 v20, v10, 1, s3
; %bb.122:
	s_and_not1_saveexec_b32 s3, s4
	s_cbranch_execz .LBB234_124
; %bb.123:
	s_delay_alu instid0(VALU_DEP_2)
	v_min_i64 v[2:3], v[8:9], v[2:3]
	v_mov_b32_e32 v20, 1
.LBB234_124:
	s_or_b32 exec_lo, exec_lo, s3
	s_delay_alu instid0(SALU_CYCLE_1)
	s_or_b32 exec_lo, exec_lo, s5
	s_and_saveexec_b32 s4, s2
	s_cbranch_execz .LBB234_62
.LBB234_125:
	v_and_b32_e32 v8, 1, v20
	v_and_b32_e32 v9, 1, v12
                                        ; implicit-def: $vgpr20
	s_delay_alu instid0(VALU_DEP_2) | instskip(NEXT) | instid1(VALU_DEP_2)
	v_cmp_eq_u32_e64 s2, 1, v8
	v_cmp_eq_u32_e64 s3, 1, v9
	s_and_b32 s3, s2, s3
	s_delay_alu instid0(SALU_CYCLE_1) | instskip(NEXT) | instid1(SALU_CYCLE_1)
	s_xor_b32 s3, s3, -1
	s_and_saveexec_b32 s5, s3
	s_delay_alu instid0(SALU_CYCLE_1)
	s_xor_b32 s3, exec_lo, s5
; %bb.126:
	v_and_b32_e32 v8, 0xffff, v12
	v_dual_cndmask_b32 v3, v7, v3, s2 :: v_dual_cndmask_b32 v2, v6, v2, s2
                                        ; implicit-def: $vgpr6_vgpr7
	s_delay_alu instid0(VALU_DEP_2)
	v_cndmask_b32_e64 v20, v8, 1, s2
; %bb.127:
	s_and_not1_saveexec_b32 s2, s3
	s_cbranch_execz .LBB234_129
; %bb.128:
	s_delay_alu instid0(VALU_DEP_2)
	v_min_i64 v[2:3], v[6:7], v[2:3]
	v_mov_b32_e32 v20, 1
.LBB234_129:
	s_or_b32 exec_lo, exec_lo, s2
	s_delay_alu instid0(SALU_CYCLE_1)
	s_or_b32 exec_lo, exec_lo, s4
	s_and_saveexec_b32 s3, vcc_lo
	s_cbranch_execz .LBB234_135
.LBB234_130:
	v_and_b32_e32 v6, 1, v20
	v_and_b32_e32 v7, 1, v1
                                        ; implicit-def: $vgpr20
	s_delay_alu instid0(VALU_DEP_2) | instskip(NEXT) | instid1(VALU_DEP_2)
	v_cmp_eq_u32_e32 vcc_lo, 1, v6
	v_cmp_eq_u32_e64 s2, 1, v7
	s_and_b32 s2, vcc_lo, s2
	s_delay_alu instid0(SALU_CYCLE_1) | instskip(NEXT) | instid1(SALU_CYCLE_1)
	s_xor_b32 s2, s2, -1
	s_and_saveexec_b32 s4, s2
	s_delay_alu instid0(SALU_CYCLE_1)
	s_xor_b32 s2, exec_lo, s4
; %bb.131:
	v_and_b32_e32 v1, 0xffff, v1
	v_dual_cndmask_b32 v3, v5, v3 :: v_dual_cndmask_b32 v2, v4, v2
                                        ; implicit-def: $vgpr4_vgpr5
	s_delay_alu instid0(VALU_DEP_2)
	v_cndmask_b32_e64 v20, v1, 1, vcc_lo
; %bb.132:
	s_and_not1_saveexec_b32 s2, s2
	s_cbranch_execz .LBB234_134
; %bb.133:
	s_delay_alu instid0(VALU_DEP_2)
	v_min_i64 v[2:3], v[4:5], v[2:3]
	v_mov_b32_e32 v20, 1
.LBB234_134:
	s_or_b32 exec_lo, exec_lo, s2
.LBB234_135:
	s_delay_alu instid0(SALU_CYCLE_1) | instskip(SKIP_4) | instid1(VALU_DEP_2)
	s_or_b32 exec_lo, exec_lo, s3
	v_mbcnt_lo_u32_b32 v1, -1, 0
	v_and_b32_e32 v6, 0x60, v0
	s_min_u32 s3, s20, 0x80
	s_mov_b32 s2, exec_lo
	v_cmp_ne_u32_e32 vcc_lo, 31, v1
	s_delay_alu instid0(VALU_DEP_2) | instskip(SKIP_2) | instid1(VALU_DEP_1)
	v_sub_nc_u32_e64 v6, s3, v6 clamp
	v_add_nc_u32_e32 v8, 1, v1
	v_add_co_ci_u32_e64 v4, null, 0, v1, vcc_lo
	v_lshlrev_b32_e32 v5, 2, v4
	ds_bpermute_b32 v7, v5, v20
	ds_bpermute_b32 v4, v5, v2
	;; [unrolled: 1-line block ×3, first 2 shown]
	v_cmpx_lt_u32_e64 v8, v6
	s_xor_b32 s4, exec_lo, s2
	s_cbranch_execz .LBB234_137
; %bb.136:
	s_wait_dscnt 0x0
	v_min_i64 v[8:9], v[4:5], v[2:3]
	v_and_b32_e32 v10, 1, v20
	s_delay_alu instid0(VALU_DEP_1) | instskip(SKIP_3) | instid1(VALU_DEP_3)
	v_cmp_eq_u32_e32 vcc_lo, 1, v10
	v_and_b32_e32 v10, v7, v20
	v_and_b32_e32 v7, 0xff, v7
	v_dual_cndmask_b32 v2, v4, v2 :: v_dual_cndmask_b32 v3, v5, v3
	v_cmp_eq_u32_e64 s2, 0, v10
	s_delay_alu instid0(VALU_DEP_3) | instskip(NEXT) | instid1(VALU_DEP_1)
	v_cndmask_b32_e64 v4, v7, 1, vcc_lo
	v_dual_cndmask_b32 v20, 1, v4, s2 :: v_dual_cndmask_b32 v3, v9, v3, s2
	s_delay_alu instid0(VALU_DEP_4)
	v_cndmask_b32_e64 v2, v8, v2, s2
.LBB234_137:
	s_or_b32 exec_lo, exec_lo, s4
	v_cmp_gt_u32_e32 vcc_lo, 30, v1
	v_add_nc_u32_e32 v8, 2, v1
	s_mov_b32 s4, exec_lo
	s_wait_dscnt 0x1
	v_cndmask_b32_e64 v4, 0, 2, vcc_lo
	s_wait_dscnt 0x0
	s_delay_alu instid0(VALU_DEP_1)
	v_add_lshl_u32 v5, v4, v1, 2
	ds_bpermute_b32 v7, v5, v20
	ds_bpermute_b32 v4, v5, v2
	ds_bpermute_b32 v5, v5, v3
	v_cmpx_lt_u32_e64 v8, v6
	s_cbranch_execz .LBB234_139
; %bb.138:
	s_wait_dscnt 0x0
	v_min_i64 v[8:9], v[4:5], v[2:3]
	v_and_b32_e32 v10, 1, v20
	s_delay_alu instid0(VALU_DEP_1) | instskip(SKIP_3) | instid1(VALU_DEP_3)
	v_cmp_eq_u32_e32 vcc_lo, 1, v10
	v_bitop3_b32 v10, v20, 1, v7 bitop3:0x80
	v_and_b32_e32 v7, 0xff, v7
	v_cndmask_b32_e32 v2, v4, v2, vcc_lo
	v_cmp_eq_u32_e64 s2, 0, v10
	v_cndmask_b32_e32 v3, v5, v3, vcc_lo
	s_delay_alu instid0(VALU_DEP_4) | instskip(NEXT) | instid1(VALU_DEP_1)
	v_cndmask_b32_e64 v4, v7, 1, vcc_lo
	v_dual_cndmask_b32 v20, 1, v4, s2 :: v_dual_cndmask_b32 v2, v8, v2, s2
	s_delay_alu instid0(VALU_DEP_3)
	v_cndmask_b32_e64 v3, v9, v3, s2
.LBB234_139:
	s_or_b32 exec_lo, exec_lo, s4
	v_cmp_gt_u32_e32 vcc_lo, 28, v1
	v_add_nc_u32_e32 v8, 4, v1
	s_mov_b32 s4, exec_lo
	s_wait_dscnt 0x1
	v_cndmask_b32_e64 v4, 0, 4, vcc_lo
	s_wait_dscnt 0x0
	s_delay_alu instid0(VALU_DEP_1)
	v_add_lshl_u32 v5, v4, v1, 2
	ds_bpermute_b32 v7, v5, v20
	ds_bpermute_b32 v4, v5, v2
	ds_bpermute_b32 v5, v5, v3
	v_cmpx_lt_u32_e64 v8, v6
	s_cbranch_execz .LBB234_141
; %bb.140:
	s_wait_dscnt 0x0
	v_min_i64 v[8:9], v[4:5], v[2:3]
	v_and_b32_e32 v10, 1, v20
	s_delay_alu instid0(VALU_DEP_1) | instskip(SKIP_3) | instid1(VALU_DEP_3)
	v_cmp_eq_u32_e32 vcc_lo, 1, v10
	v_bitop3_b32 v10, v20, 1, v7 bitop3:0x80
	v_and_b32_e32 v7, 0xff, v7
	v_cndmask_b32_e32 v2, v4, v2, vcc_lo
	v_cmp_eq_u32_e64 s2, 0, v10
	v_cndmask_b32_e32 v3, v5, v3, vcc_lo
	s_delay_alu instid0(VALU_DEP_4) | instskip(NEXT) | instid1(VALU_DEP_1)
	v_cndmask_b32_e64 v4, v7, 1, vcc_lo
	v_dual_cndmask_b32 v20, 1, v4, s2 :: v_dual_cndmask_b32 v2, v8, v2, s2
	s_delay_alu instid0(VALU_DEP_3)
	v_cndmask_b32_e64 v3, v9, v3, s2
.LBB234_141:
	;; [unrolled: 31-line block ×3, first 2 shown]
	s_or_b32 exec_lo, exec_lo, s4
	s_wait_dscnt 0x2
	v_dual_lshlrev_b32 v7, 2, v1 :: v_dual_add_nc_u32 v9, 16, v1
	s_wait_dscnt 0x0
	s_delay_alu instid0(VALU_DEP_1) | instskip(NEXT) | instid1(VALU_DEP_2)
	v_or_b32_e32 v5, 64, v7
	v_cmp_lt_u32_e32 vcc_lo, v9, v6
	v_mov_b32_e32 v6, v20
	ds_bpermute_b32 v8, v5, v20
	ds_bpermute_b32 v4, v5, v2
	;; [unrolled: 1-line block ×3, first 2 shown]
	s_and_saveexec_b32 s4, vcc_lo
	s_cbranch_execz .LBB234_145
; %bb.144:
	s_wait_dscnt 0x0
	v_min_i64 v[10:11], v[4:5], v[2:3]
	v_and_b32_e32 v6, 1, v20
	v_bitop3_b32 v9, v20, 1, v8 bitop3:0x80
	s_delay_alu instid0(VALU_DEP_2) | instskip(NEXT) | instid1(VALU_DEP_2)
	v_cmp_eq_u32_e32 vcc_lo, 1, v6
	v_cmp_eq_u32_e64 s2, 0, v9
	v_cndmask_b32_e64 v6, v8, 1, vcc_lo
	v_dual_cndmask_b32 v3, v5, v3 :: v_dual_cndmask_b32 v2, v4, v2
	s_delay_alu instid0(VALU_DEP_2) | instskip(NEXT) | instid1(VALU_DEP_1)
	v_cndmask_b32_e64 v6, 1, v6, s2
	v_and_b32_e32 v20, 0xff, v6
	s_delay_alu instid0(VALU_DEP_3)
	v_dual_cndmask_b32 v3, v11, v3, s2 :: v_dual_cndmask_b32 v2, v10, v2, s2
.LBB234_145:
	s_or_b32 exec_lo, exec_lo, s4
	s_delay_alu instid0(SALU_CYCLE_1)
	s_mov_b32 s2, exec_lo
	v_cmpx_eq_u32_e32 0, v1
	s_cbranch_execz .LBB234_147
; %bb.146:
	s_wait_dscnt 0x1
	v_lshrrev_b32_e32 v4, 1, v0
	s_delay_alu instid0(VALU_DEP_1)
	v_and_b32_e32 v4, 48, v4
	ds_store_b8 v4, v6 offset:256
	ds_store_b64 v4, v[2:3] offset:264
.LBB234_147:
	s_or_b32 exec_lo, exec_lo, s2
	s_delay_alu instid0(SALU_CYCLE_1)
	s_mov_b32 s4, exec_lo
	s_wait_dscnt 0x0
	s_barrier_signal -1
	s_barrier_wait -1
	v_cmpx_gt_u32_e32 4, v0
	s_cbranch_execz .LBB234_153
; %bb.148:
	v_dual_lshlrev_b32 v2, 4, v1 :: v_dual_bitop2_b32 v6, 3, v1 bitop3:0x40
	s_add_co_i32 s3, s3, 31
	s_mov_b32 s5, exec_lo
	s_lshr_b32 s3, s3, 5
	ds_load_u8 v8, v2 offset:256
	ds_load_b64 v[2:3], v2 offset:264
	v_cmp_ne_u32_e32 vcc_lo, 3, v6
	v_add_nc_u32_e32 v9, 1, v6
	v_add_co_ci_u32_e64 v1, null, 0, v1, vcc_lo
	s_delay_alu instid0(VALU_DEP_1)
	v_lshlrev_b32_e32 v5, 2, v1
	s_wait_dscnt 0x1
	v_and_b32_e32 v20, 0xff, v8
	s_wait_dscnt 0x0
	ds_bpermute_b32 v4, v5, v2
	ds_bpermute_b32 v1, v5, v20
	;; [unrolled: 1-line block ×3, first 2 shown]
	v_cmpx_gt_u32_e64 s3, v9
	s_cbranch_execz .LBB234_150
; %bb.149:
	s_wait_dscnt 0x0
	v_min_i64 v[10:11], v[4:5], v[2:3]
	v_and_b32_e32 v8, 1, v8
	s_delay_alu instid0(VALU_DEP_1) | instskip(SKIP_3) | instid1(VALU_DEP_3)
	v_cmp_eq_u32_e32 vcc_lo, 1, v8
	v_bitop3_b32 v8, v20, 1, v1 bitop3:0x80
	v_and_b32_e32 v1, 0xff, v1
	v_cndmask_b32_e32 v2, v4, v2, vcc_lo
	v_cmp_eq_u32_e64 s2, 0, v8
	v_cndmask_b32_e32 v3, v5, v3, vcc_lo
	s_delay_alu instid0(VALU_DEP_4) | instskip(NEXT) | instid1(VALU_DEP_1)
	v_cndmask_b32_e64 v1, v1, 1, vcc_lo
	v_dual_cndmask_b32 v20, 1, v1, s2 :: v_dual_cndmask_b32 v2, v10, v2, s2
	s_delay_alu instid0(VALU_DEP_3)
	v_cndmask_b32_e64 v3, v11, v3, s2
.LBB234_150:
	s_or_b32 exec_lo, exec_lo, s5
	s_wait_dscnt 0x0
	v_dual_add_nc_u32 v6, 2, v6 :: v_dual_bitop2_b32 v5, 8, v7 bitop3:0x54
	ds_bpermute_b32 v1, v5, v20
	ds_bpermute_b32 v4, v5, v2
	;; [unrolled: 1-line block ×3, first 2 shown]
	v_cmp_gt_u32_e32 vcc_lo, s3, v6
	s_and_saveexec_b32 s3, vcc_lo
	s_cbranch_execz .LBB234_152
; %bb.151:
	s_wait_dscnt 0x0
	v_min_i64 v[6:7], v[4:5], v[2:3]
	v_and_b32_e32 v8, 1, v20
	s_delay_alu instid0(VALU_DEP_1) | instskip(SKIP_2) | instid1(VALU_DEP_2)
	v_cmp_eq_u32_e32 vcc_lo, 1, v8
	v_bitop3_b32 v8, v20, 1, v1 bitop3:0x80
	v_cndmask_b32_e32 v2, v4, v2, vcc_lo
	v_cmp_eq_u32_e64 s2, 0, v8
	v_cndmask_b32_e32 v3, v5, v3, vcc_lo
	v_cndmask_b32_e64 v1, v1, 1, vcc_lo
	s_delay_alu instid0(VALU_DEP_1) | instskip(NEXT) | instid1(VALU_DEP_3)
	v_dual_cndmask_b32 v20, 1, v1, s2 :: v_dual_cndmask_b32 v2, v6, v2, s2
	v_cndmask_b32_e64 v3, v7, v3, s2
.LBB234_152:
	s_or_b32 exec_lo, exec_lo, s3
.LBB234_153:
	s_delay_alu instid0(SALU_CYCLE_1)
	s_or_b32 exec_lo, exec_lo, s4
.LBB234_154:
	v_cmp_eq_u32_e64 s2, 0, v0
	s_branch .LBB234_211
.LBB234_155:
	s_cmp_gt_i32 s24, 1
	s_cbranch_scc0 .LBB234_167
; %bb.156:
	s_cmp_eq_u32 s24, 2
	s_cbranch_scc0 .LBB234_168
; %bb.157:
	s_bfe_u32 s2, ttmp6, 0x4000c
	s_and_b32 s3, ttmp6, 15
	s_add_co_i32 s2, s2, 1
	s_getreg_b32 s4, hwreg(HW_REG_IB_STS2, 6, 4)
	s_mul_i32 s2, ttmp9, s2
	s_mov_b32 s11, 0
	s_add_co_i32 s3, s3, s2
	s_cmp_eq_u32 s4, 0
	s_mov_b32 s21, s11
	s_cselect_b32 s10, ttmp9, s3
	s_lshr_b64 s[2:3], s[14:15], 8
	s_lshl_b32 s20, s10, 8
	s_delay_alu instid0(SALU_CYCLE_1)
	s_lshl_b64 s[6:7], s[20:21], 3
	s_cmp_lg_u64 s[2:3], s[10:11]
	s_add_nc_u64 s[4:5], s[16:17], s[6:7]
	s_add_nc_u64 s[8:9], s[18:19], s[6:7]
	;; [unrolled: 1-line block ×3, first 2 shown]
	s_cbranch_scc0 .LBB234_169
; %bb.158:
	global_load_b64 v[2:3], v0, s[4:5] scale_offset
	s_wait_dscnt 0x0
	s_clause 0x2
	global_load_b64 v[4:5], v0, s[8:9] scale_offset
	global_load_b64 v[6:7], v0, s[8:9] offset:1024 scale_offset
	global_load_b64 v[8:9], v0, s[4:5] offset:1024 scale_offset
	s_wait_loadcnt 0x2
	v_cmp_ne_u64_e32 vcc_lo, v[2:3], v[4:5]
	v_mov_b32_e32 v1, 0
	s_wait_loadcnt 0x0
	v_cmp_ne_u64_e64 s2, v[8:9], v[6:7]
	s_delay_alu instid0(VALU_DEP_2) | instskip(NEXT) | instid1(VALU_DEP_1)
	v_add_nc_u64_e32 v[10:11], s[6:7], v[0:1]
	v_add_nc_u64_e32 v[12:13], 0x80, v[10:11]
	s_delay_alu instid0(VALU_DEP_1) | instskip(NEXT) | instid1(VALU_DEP_1)
	v_cndmask_b32_e32 v3, v13, v11, vcc_lo
	v_mov_b32_dpp v5, v3 quad_perm:[1,0,3,2] row_mask:0xf bank_mask:0xf
	s_delay_alu instid0(VALU_DEP_3) | instskip(SKIP_3) | instid1(VALU_DEP_2)
	v_cndmask_b32_e32 v2, v12, v10, vcc_lo
	s_or_b32 vcc_lo, vcc_lo, s2
	s_mov_b32 s2, exec_lo
	v_cndmask_b32_e64 v8, 0, 1, vcc_lo
	v_mov_b32_dpp v4, v2 quad_perm:[1,0,3,2] row_mask:0xf bank_mask:0xf
	s_delay_alu instid0(VALU_DEP_2) | instskip(NEXT) | instid1(VALU_DEP_2)
	v_mov_b32_dpp v6, v8 quad_perm:[1,0,3,2] row_mask:0xf bank_mask:0xf
	v_min_i64 v[10:11], v[2:3], v[4:5]
	s_delay_alu instid0(VALU_DEP_1) | instskip(NEXT) | instid1(VALU_DEP_2)
	v_dual_cndmask_b32 v5, v5, v11, vcc_lo :: v_dual_bitop2_b32 v6, 1, v6 bitop3:0x40
	v_cndmask_b32_e32 v4, v4, v10, vcc_lo
	s_delay_alu instid0(VALU_DEP_2) | instskip(SKIP_1) | instid1(VALU_DEP_1)
	v_cmp_eq_u32_e32 vcc_lo, 1, v6
	v_cndmask_b32_e64 v8, v8, 1, vcc_lo
	v_dual_cndmask_b32 v3, v3, v5, vcc_lo :: v_dual_bitop2_b32 v9, 1, v8 bitop3:0x40
	v_mov_b32_dpp v10, v8 quad_perm:[2,3,0,1] row_mask:0xf bank_mask:0xf
	v_cndmask_b32_e32 v2, v2, v4, vcc_lo
	s_delay_alu instid0(VALU_DEP_3) | instskip(NEXT) | instid1(VALU_DEP_4)
	v_mov_b32_dpp v5, v3 quad_perm:[2,3,0,1] row_mask:0xf bank_mask:0xf
	v_cmp_eq_u32_e32 vcc_lo, 1, v9
	s_delay_alu instid0(VALU_DEP_4) | instskip(NEXT) | instid1(VALU_DEP_4)
	v_and_b32_e32 v9, 1, v10
	v_mov_b32_dpp v4, v2 quad_perm:[2,3,0,1] row_mask:0xf bank_mask:0xf
	s_delay_alu instid0(VALU_DEP_1) | instskip(NEXT) | instid1(VALU_DEP_1)
	v_min_i64 v[6:7], v[2:3], v[4:5]
	v_dual_cndmask_b32 v4, v4, v6 :: v_dual_cndmask_b32 v5, v5, v7
	s_delay_alu instid0(VALU_DEP_4) | instskip(NEXT) | instid1(VALU_DEP_2)
	v_cmp_eq_u32_e32 vcc_lo, 1, v9
	v_dual_cndmask_b32 v3, v3, v5 :: v_dual_cndmask_b32 v2, v2, v4
	v_cndmask_b32_e64 v8, v8, 1, vcc_lo
	s_delay_alu instid0(VALU_DEP_2) | instskip(NEXT) | instid1(VALU_DEP_3)
	v_mov_b32_dpp v5, v3 row_ror:4 row_mask:0xf bank_mask:0xf
	v_mov_b32_dpp v4, v2 row_ror:4 row_mask:0xf bank_mask:0xf
	s_delay_alu instid0(VALU_DEP_3) | instskip(NEXT) | instid1(VALU_DEP_2)
	v_mov_b32_dpp v10, v8 row_ror:4 row_mask:0xf bank_mask:0xf
	v_min_i64 v[6:7], v[2:3], v[4:5]
	v_and_b32_e32 v9, 1, v8
	s_delay_alu instid0(VALU_DEP_1) | instskip(NEXT) | instid1(VALU_DEP_3)
	v_cmp_eq_u32_e32 vcc_lo, 1, v9
	v_dual_cndmask_b32 v5, v5, v7, vcc_lo :: v_dual_bitop2_b32 v9, 1, v10 bitop3:0x40
	s_delay_alu instid0(VALU_DEP_4) | instskip(NEXT) | instid1(VALU_DEP_2)
	v_cndmask_b32_e32 v4, v4, v6, vcc_lo
	v_cmp_eq_u32_e32 vcc_lo, 1, v9
	s_delay_alu instid0(VALU_DEP_2) | instskip(SKIP_1) | instid1(VALU_DEP_2)
	v_dual_cndmask_b32 v3, v3, v5 :: v_dual_cndmask_b32 v2, v2, v4
	v_cndmask_b32_e64 v8, v8, 1, vcc_lo
	v_mov_b32_dpp v5, v3 row_ror:8 row_mask:0xf bank_mask:0xf
	s_delay_alu instid0(VALU_DEP_3) | instskip(NEXT) | instid1(VALU_DEP_3)
	v_mov_b32_dpp v4, v2 row_ror:8 row_mask:0xf bank_mask:0xf
	v_mov_b32_dpp v10, v8 row_ror:8 row_mask:0xf bank_mask:0xf
	s_delay_alu instid0(VALU_DEP_2) | instskip(SKIP_1) | instid1(VALU_DEP_1)
	v_min_i64 v[6:7], v[2:3], v[4:5]
	v_and_b32_e32 v9, 1, v8
	v_cmp_eq_u32_e32 vcc_lo, 1, v9
	s_delay_alu instid0(VALU_DEP_3) | instskip(NEXT) | instid1(VALU_DEP_4)
	v_dual_cndmask_b32 v5, v5, v7, vcc_lo :: v_dual_bitop2_b32 v9, 1, v10 bitop3:0x40
	v_cndmask_b32_e32 v4, v4, v6, vcc_lo
	s_delay_alu instid0(VALU_DEP_2) | instskip(NEXT) | instid1(VALU_DEP_2)
	v_cmp_eq_u32_e32 vcc_lo, 1, v9
	v_dual_cndmask_b32 v3, v3, v5 :: v_dual_cndmask_b32 v2, v2, v4
	v_cndmask_b32_e64 v8, v8, 1, vcc_lo
	ds_swizzle_b32 v5, v3 offset:swizzle(BROADCAST,32,15)
	ds_swizzle_b32 v4, v2 offset:swizzle(BROADCAST,32,15)
	;; [unrolled: 1-line block ×3, first 2 shown]
	s_wait_dscnt 0x1
	v_min_i64 v[6:7], v[2:3], v[4:5]
	v_and_b32_e32 v10, 1, v8
	s_delay_alu instid0(VALU_DEP_1) | instskip(SKIP_1) | instid1(VALU_DEP_3)
	v_cmp_eq_u32_e32 vcc_lo, 1, v10
	s_wait_dscnt 0x0
	v_dual_cndmask_b32 v5, v5, v7, vcc_lo :: v_dual_bitop2_b32 v9, 1, v9 bitop3:0x40
	s_delay_alu instid0(VALU_DEP_4) | instskip(NEXT) | instid1(VALU_DEP_2)
	v_cndmask_b32_e32 v4, v4, v6, vcc_lo
	v_cmp_eq_u32_e32 vcc_lo, 1, v9
	s_delay_alu instid0(VALU_DEP_2)
	v_dual_cndmask_b32 v3, v3, v5 :: v_dual_cndmask_b32 v2, v2, v4
	v_cndmask_b32_e64 v5, v8, 1, vcc_lo
	ds_bpermute_b32 v3, v1, v3 offset:124
	ds_bpermute_b32 v2, v1, v2 offset:124
	;; [unrolled: 1-line block ×3, first 2 shown]
	v_mbcnt_lo_u32_b32 v1, -1, 0
	s_delay_alu instid0(VALU_DEP_1)
	v_cmpx_eq_u32_e32 0, v1
	s_cbranch_execz .LBB234_160
; %bb.159:
	v_lshrrev_b32_e32 v4, 1, v0
	s_delay_alu instid0(VALU_DEP_1)
	v_and_b32_e32 v4, 48, v4
	s_wait_dscnt 0x0
	ds_store_b8 v4, v20 offset:64
	ds_store_b64 v4, v[2:3] offset:72
.LBB234_160:
	s_or_b32 exec_lo, exec_lo, s2
	s_delay_alu instid0(SALU_CYCLE_1)
	s_mov_b32 s2, exec_lo
	s_wait_dscnt 0x0
	s_barrier_signal -1
	s_barrier_wait -1
	v_cmpx_gt_u32_e32 32, v0
	s_cbranch_execz .LBB234_166
; %bb.161:
	v_and_b32_e32 v2, 3, v1
	s_delay_alu instid0(VALU_DEP_1) | instskip(SKIP_2) | instid1(VALU_DEP_1)
	v_cmp_ne_u32_e32 vcc_lo, 3, v2
	v_lshlrev_b32_e32 v3, 4, v2
	v_add_co_ci_u32_e64 v2, null, 0, v1, vcc_lo
	v_lshlrev_b32_e32 v2, 2, v2
	ds_load_u8 v8, v3 offset:64
	ds_load_b64 v[4:5], v3 offset:72
	s_wait_dscnt 0x1
	v_and_b32_e32 v3, 0xff, v8
	s_wait_dscnt 0x0
	ds_bpermute_b32 v6, v2, v4
	ds_bpermute_b32 v7, v2, v5
	;; [unrolled: 1-line block ×3, first 2 shown]
	s_wait_dscnt 0x0
	v_and_b32_e32 v2, v8, v9
	s_delay_alu instid0(VALU_DEP_1) | instskip(NEXT) | instid1(VALU_DEP_1)
	v_and_b32_e32 v2, 1, v2
	v_cmp_eq_u32_e32 vcc_lo, 1, v2
                                        ; implicit-def: $vgpr2_vgpr3
	s_and_saveexec_b32 s3, vcc_lo
	s_delay_alu instid0(SALU_CYCLE_1)
	s_xor_b32 s3, exec_lo, s3
; %bb.162:
	v_min_i64 v[2:3], v[6:7], v[4:5]
                                        ; implicit-def: $vgpr8
                                        ; implicit-def: $vgpr6_vgpr7
                                        ; implicit-def: $vgpr4_vgpr5
                                        ; implicit-def: $vgpr9
; %bb.163:
	s_or_saveexec_b32 s3, s3
	v_dual_mov_b32 v10, 1 :: v_dual_lshlrev_b32 v1, 2, v1
	s_xor_b32 exec_lo, exec_lo, s3
; %bb.164:
	v_and_b32_e32 v2, 1, v8
	v_and_b32_e32 v8, 0xff, v9
	s_delay_alu instid0(VALU_DEP_2) | instskip(SKIP_1) | instid1(VALU_DEP_3)
	v_cmp_eq_u32_e32 vcc_lo, 1, v2
	v_dual_cndmask_b32 v3, v7, v5 :: v_dual_cndmask_b32 v2, v6, v4
	v_cndmask_b32_e64 v10, v8, 1, vcc_lo
; %bb.165:
	s_or_b32 exec_lo, exec_lo, s3
	s_delay_alu instid0(VALU_DEP_1) | instskip(NEXT) | instid1(VALU_DEP_1)
	v_and_b32_e32 v8, 1, v10
	v_cmp_eq_u32_e32 vcc_lo, 1, v8
	v_or_b32_e32 v1, 8, v1
	ds_bpermute_b32 v4, v1, v2
	ds_bpermute_b32 v5, v1, v3
	s_wait_dscnt 0x0
	v_min_i64 v[6:7], v[4:5], v[2:3]
	v_cndmask_b32_e32 v2, v4, v2, vcc_lo
	ds_bpermute_b32 v1, v1, v10
	v_cndmask_b32_e32 v3, v5, v3, vcc_lo
	s_wait_dscnt 0x0
	v_bitop3_b32 v8, v10, 1, v1 bitop3:0x80
	v_cndmask_b32_e64 v1, v1, 1, vcc_lo
	s_delay_alu instid0(VALU_DEP_2) | instskip(NEXT) | instid1(VALU_DEP_2)
	v_cmp_eq_u32_e32 vcc_lo, 0, v8
	v_dual_cndmask_b32 v20, 1, v1 :: v_dual_cndmask_b32 v3, v7, v3
	v_cndmask_b32_e32 v2, v6, v2, vcc_lo
.LBB234_166:
	s_or_b32 exec_lo, exec_lo, s2
	s_branch .LBB234_193
.LBB234_167:
                                        ; implicit-def: $sgpr10_sgpr11
                                        ; implicit-def: $vgpr2_vgpr3
                                        ; implicit-def: $vgpr20
	s_cbranch_execnz .LBB234_194
	s_branch .LBB234_211
.LBB234_168:
                                        ; implicit-def: $sgpr10_sgpr11
                                        ; implicit-def: $vgpr2_vgpr3
                                        ; implicit-def: $vgpr20
	s_branch .LBB234_211
.LBB234_169:
                                        ; implicit-def: $vgpr2_vgpr3
                                        ; implicit-def: $vgpr20
	s_cbranch_execz .LBB234_193
; %bb.170:
	s_wait_dscnt 0x0
	v_mov_b64_e32 v[4:5], 0
	v_mov_b64_e32 v[2:3], 0
	v_dual_mov_b32 v7, 0 :: v_dual_mov_b32 v1, 0
	s_sub_co_i32 s20, s14, s20
	s_mov_b32 s2, exec_lo
	v_cmpx_gt_u32_e64 s20, v0
	s_cbranch_execz .LBB234_172
; %bb.171:
	s_clause 0x1
	global_load_b64 v[8:9], v0, s[4:5] scale_offset
	global_load_b64 v[10:11], v0, s[8:9] scale_offset
	v_mov_b32_e32 v1, 0
	s_delay_alu instid0(VALU_DEP_1)
	v_add_nc_u64_e32 v[2:3], s[6:7], v[0:1]
	s_wait_loadcnt 0x0
	v_cmp_ne_u64_e32 vcc_lo, v[8:9], v[10:11]
	v_cndmask_b32_e64 v1, 0, 1, vcc_lo
.LBB234_172:
	s_or_b32 exec_lo, exec_lo, s2
	v_or_b32_e32 v6, 0x80, v0
	s_delay_alu instid0(VALU_DEP_1)
	v_cmp_gt_u32_e32 vcc_lo, s20, v6
	s_and_saveexec_b32 s3, vcc_lo
	s_cbranch_execz .LBB234_174
; %bb.173:
	s_clause 0x1
	global_load_b64 v[8:9], v0, s[4:5] offset:1024 scale_offset
	global_load_b64 v[10:11], v0, s[8:9] offset:1024 scale_offset
	v_mov_b32_e32 v7, 0
	s_delay_alu instid0(VALU_DEP_1) | instskip(SKIP_2) | instid1(VALU_DEP_1)
	v_add_nc_u64_e32 v[4:5], s[6:7], v[6:7]
	s_wait_loadcnt 0x0
	v_cmp_ne_u64_e64 s2, v[8:9], v[10:11]
	v_cndmask_b32_e64 v7, 0, 1, s2
.LBB234_174:
	s_or_b32 exec_lo, exec_lo, s3
	s_delay_alu instid0(VALU_DEP_3) | instskip(NEXT) | instid1(VALU_DEP_2)
	v_min_i64 v[8:9], v[4:5], v[2:3]
	v_and_b32_e32 v6, 1, v7
	v_and_b32_e32 v10, 0xffff, v1
	;; [unrolled: 1-line block ×3, first 2 shown]
	s_mov_b32 s4, exec_lo
	s_delay_alu instid0(VALU_DEP_3) | instskip(SKIP_2) | instid1(VALU_DEP_1)
	v_cmp_eq_u32_e64 s2, 1, v6
	v_and_b32_e32 v6, 1, v1
	v_mbcnt_lo_u32_b32 v1, -1, 0
	v_cmp_ne_u32_e64 s3, 31, v1
	s_delay_alu instid0(VALU_DEP_4) | instskip(NEXT) | instid1(VALU_DEP_4)
	v_dual_cndmask_b32 v9, v3, v9, s2 :: v_dual_cndmask_b32 v8, v2, v8, s2
	v_cmp_eq_u32_e64 s2, 1, v6
	s_delay_alu instid0(VALU_DEP_1) | instskip(NEXT) | instid1(VALU_DEP_4)
	v_cndmask_b32_e64 v6, v7, 1, s2
	v_add_co_ci_u32_e64 v7, null, 0, v1, s3
	s_delay_alu instid0(VALU_DEP_4) | instskip(NEXT) | instid1(VALU_DEP_2)
	v_dual_cndmask_b32 v4, v4, v8, s2 :: v_dual_cndmask_b32 v5, v5, v9, s2
	v_dual_cndmask_b32 v20, v10, v6, vcc_lo :: v_dual_lshlrev_b32 v6, 2, v7
	s_min_u32 s3, s20, 0x80
	s_delay_alu instid0(VALU_DEP_2)
	v_dual_cndmask_b32 v2, v2, v4 :: v_dual_cndmask_b32 v3, v3, v5
	v_add_nc_u32_e32 v8, 1, v1
	ds_bpermute_b32 v7, v6, v20
	ds_bpermute_b32 v4, v6, v2
	ds_bpermute_b32 v5, v6, v3
	v_and_b32_e32 v6, 0x60, v0
	s_delay_alu instid0(VALU_DEP_1) | instskip(NEXT) | instid1(VALU_DEP_1)
	v_sub_nc_u32_e64 v6, s3, v6 clamp
	v_cmpx_lt_u32_e64 v8, v6
	s_cbranch_execz .LBB234_176
; %bb.175:
	s_wait_dscnt 0x0
	v_min_i64 v[8:9], v[4:5], v[2:3]
	v_and_b32_e32 v10, 1, v20
	s_delay_alu instid0(VALU_DEP_1) | instskip(SKIP_3) | instid1(VALU_DEP_3)
	v_cmp_eq_u32_e32 vcc_lo, 1, v10
	v_and_b32_e32 v10, v20, v7
	v_and_b32_e32 v7, 0xff, v7
	v_cndmask_b32_e32 v2, v4, v2, vcc_lo
	v_cmp_eq_u32_e64 s2, 0, v10
	v_cndmask_b32_e32 v3, v5, v3, vcc_lo
	s_delay_alu instid0(VALU_DEP_4) | instskip(NEXT) | instid1(VALU_DEP_1)
	v_cndmask_b32_e64 v4, v7, 1, vcc_lo
	v_dual_cndmask_b32 v20, 1, v4, s2 :: v_dual_cndmask_b32 v2, v8, v2, s2
	s_delay_alu instid0(VALU_DEP_3)
	v_cndmask_b32_e64 v3, v9, v3, s2
.LBB234_176:
	s_or_b32 exec_lo, exec_lo, s4
	v_cmp_gt_u32_e32 vcc_lo, 30, v1
	v_add_nc_u32_e32 v8, 2, v1
	s_mov_b32 s4, exec_lo
	s_wait_dscnt 0x1
	v_cndmask_b32_e64 v4, 0, 2, vcc_lo
	s_wait_dscnt 0x0
	s_delay_alu instid0(VALU_DEP_1)
	v_add_lshl_u32 v5, v4, v1, 2
	ds_bpermute_b32 v7, v5, v20
	ds_bpermute_b32 v4, v5, v2
	ds_bpermute_b32 v5, v5, v3
	v_cmpx_lt_u32_e64 v8, v6
	s_cbranch_execz .LBB234_178
; %bb.177:
	s_wait_dscnt 0x0
	v_min_i64 v[8:9], v[4:5], v[2:3]
	v_and_b32_e32 v10, 1, v20
	s_delay_alu instid0(VALU_DEP_1) | instskip(SKIP_3) | instid1(VALU_DEP_3)
	v_cmp_eq_u32_e32 vcc_lo, 1, v10
	v_bitop3_b32 v10, v20, 1, v7 bitop3:0x80
	v_and_b32_e32 v7, 0xff, v7
	v_cndmask_b32_e32 v2, v4, v2, vcc_lo
	v_cmp_eq_u32_e64 s2, 0, v10
	v_cndmask_b32_e32 v3, v5, v3, vcc_lo
	s_delay_alu instid0(VALU_DEP_4) | instskip(NEXT) | instid1(VALU_DEP_1)
	v_cndmask_b32_e64 v4, v7, 1, vcc_lo
	v_dual_cndmask_b32 v20, 1, v4, s2 :: v_dual_cndmask_b32 v2, v8, v2, s2
	s_delay_alu instid0(VALU_DEP_3)
	v_cndmask_b32_e64 v3, v9, v3, s2
.LBB234_178:
	s_or_b32 exec_lo, exec_lo, s4
	v_cmp_gt_u32_e32 vcc_lo, 28, v1
	v_add_nc_u32_e32 v8, 4, v1
	s_mov_b32 s4, exec_lo
	s_wait_dscnt 0x1
	v_cndmask_b32_e64 v4, 0, 4, vcc_lo
	s_wait_dscnt 0x0
	s_delay_alu instid0(VALU_DEP_1)
	v_add_lshl_u32 v5, v4, v1, 2
	ds_bpermute_b32 v7, v5, v20
	ds_bpermute_b32 v4, v5, v2
	ds_bpermute_b32 v5, v5, v3
	v_cmpx_lt_u32_e64 v8, v6
	s_cbranch_execz .LBB234_180
; %bb.179:
	s_wait_dscnt 0x0
	v_min_i64 v[8:9], v[4:5], v[2:3]
	v_and_b32_e32 v10, 1, v20
	s_delay_alu instid0(VALU_DEP_1) | instskip(SKIP_3) | instid1(VALU_DEP_3)
	v_cmp_eq_u32_e32 vcc_lo, 1, v10
	v_bitop3_b32 v10, v20, 1, v7 bitop3:0x80
	v_and_b32_e32 v7, 0xff, v7
	v_cndmask_b32_e32 v2, v4, v2, vcc_lo
	v_cmp_eq_u32_e64 s2, 0, v10
	v_cndmask_b32_e32 v3, v5, v3, vcc_lo
	s_delay_alu instid0(VALU_DEP_4) | instskip(NEXT) | instid1(VALU_DEP_1)
	v_cndmask_b32_e64 v4, v7, 1, vcc_lo
	v_dual_cndmask_b32 v20, 1, v4, s2 :: v_dual_cndmask_b32 v2, v8, v2, s2
	s_delay_alu instid0(VALU_DEP_3)
	v_cndmask_b32_e64 v3, v9, v3, s2
.LBB234_180:
	;; [unrolled: 31-line block ×3, first 2 shown]
	s_or_b32 exec_lo, exec_lo, s4
	s_wait_dscnt 0x2
	v_dual_lshlrev_b32 v7, 2, v1 :: v_dual_add_nc_u32 v9, 16, v1
	s_wait_dscnt 0x0
	s_delay_alu instid0(VALU_DEP_1) | instskip(NEXT) | instid1(VALU_DEP_2)
	v_or_b32_e32 v5, 64, v7
	v_cmp_lt_u32_e32 vcc_lo, v9, v6
	v_mov_b32_e32 v6, v20
	ds_bpermute_b32 v8, v5, v20
	ds_bpermute_b32 v4, v5, v2
	;; [unrolled: 1-line block ×3, first 2 shown]
	s_and_saveexec_b32 s4, vcc_lo
	s_cbranch_execz .LBB234_184
; %bb.183:
	s_wait_dscnt 0x0
	v_min_i64 v[10:11], v[4:5], v[2:3]
	v_and_b32_e32 v6, 1, v20
	v_bitop3_b32 v9, v20, 1, v8 bitop3:0x80
	s_delay_alu instid0(VALU_DEP_2) | instskip(NEXT) | instid1(VALU_DEP_2)
	v_cmp_eq_u32_e32 vcc_lo, 1, v6
	v_cmp_eq_u32_e64 s2, 0, v9
	v_cndmask_b32_e64 v6, v8, 1, vcc_lo
	v_dual_cndmask_b32 v3, v5, v3 :: v_dual_cndmask_b32 v2, v4, v2
	s_delay_alu instid0(VALU_DEP_2) | instskip(NEXT) | instid1(VALU_DEP_1)
	v_cndmask_b32_e64 v6, 1, v6, s2
	v_and_b32_e32 v20, 0xff, v6
	s_delay_alu instid0(VALU_DEP_3)
	v_dual_cndmask_b32 v3, v11, v3, s2 :: v_dual_cndmask_b32 v2, v10, v2, s2
.LBB234_184:
	s_or_b32 exec_lo, exec_lo, s4
	s_delay_alu instid0(SALU_CYCLE_1)
	s_mov_b32 s2, exec_lo
	v_cmpx_eq_u32_e32 0, v1
	s_cbranch_execz .LBB234_186
; %bb.185:
	s_wait_dscnt 0x1
	v_lshrrev_b32_e32 v4, 1, v0
	s_delay_alu instid0(VALU_DEP_1)
	v_and_b32_e32 v4, 48, v4
	ds_store_b8 v4, v6 offset:256
	ds_store_b64 v4, v[2:3] offset:264
.LBB234_186:
	s_or_b32 exec_lo, exec_lo, s2
	s_delay_alu instid0(SALU_CYCLE_1)
	s_mov_b32 s4, exec_lo
	s_wait_dscnt 0x0
	s_barrier_signal -1
	s_barrier_wait -1
	v_cmpx_gt_u32_e32 4, v0
	s_cbranch_execz .LBB234_192
; %bb.187:
	v_dual_lshlrev_b32 v2, 4, v1 :: v_dual_bitop2_b32 v6, 3, v1 bitop3:0x40
	s_add_co_i32 s3, s3, 31
	s_mov_b32 s5, exec_lo
	s_lshr_b32 s3, s3, 5
	ds_load_u8 v8, v2 offset:256
	ds_load_b64 v[2:3], v2 offset:264
	v_cmp_ne_u32_e32 vcc_lo, 3, v6
	v_add_nc_u32_e32 v9, 1, v6
	v_add_co_ci_u32_e64 v1, null, 0, v1, vcc_lo
	s_delay_alu instid0(VALU_DEP_1)
	v_lshlrev_b32_e32 v5, 2, v1
	s_wait_dscnt 0x1
	v_and_b32_e32 v20, 0xff, v8
	s_wait_dscnt 0x0
	ds_bpermute_b32 v4, v5, v2
	ds_bpermute_b32 v1, v5, v20
	;; [unrolled: 1-line block ×3, first 2 shown]
	v_cmpx_gt_u32_e64 s3, v9
	s_cbranch_execz .LBB234_189
; %bb.188:
	s_wait_dscnt 0x0
	v_min_i64 v[10:11], v[4:5], v[2:3]
	v_and_b32_e32 v8, 1, v8
	s_delay_alu instid0(VALU_DEP_1) | instskip(SKIP_3) | instid1(VALU_DEP_3)
	v_cmp_eq_u32_e32 vcc_lo, 1, v8
	v_bitop3_b32 v8, v20, 1, v1 bitop3:0x80
	v_and_b32_e32 v1, 0xff, v1
	v_cndmask_b32_e32 v2, v4, v2, vcc_lo
	v_cmp_eq_u32_e64 s2, 0, v8
	v_cndmask_b32_e32 v3, v5, v3, vcc_lo
	s_delay_alu instid0(VALU_DEP_4) | instskip(NEXT) | instid1(VALU_DEP_1)
	v_cndmask_b32_e64 v1, v1, 1, vcc_lo
	v_dual_cndmask_b32 v20, 1, v1, s2 :: v_dual_cndmask_b32 v2, v10, v2, s2
	s_delay_alu instid0(VALU_DEP_3)
	v_cndmask_b32_e64 v3, v11, v3, s2
.LBB234_189:
	s_or_b32 exec_lo, exec_lo, s5
	s_wait_dscnt 0x0
	v_dual_add_nc_u32 v6, 2, v6 :: v_dual_bitop2_b32 v5, 8, v7 bitop3:0x54
	ds_bpermute_b32 v1, v5, v20
	ds_bpermute_b32 v4, v5, v2
	;; [unrolled: 1-line block ×3, first 2 shown]
	v_cmp_gt_u32_e32 vcc_lo, s3, v6
	s_and_saveexec_b32 s3, vcc_lo
	s_cbranch_execz .LBB234_191
; %bb.190:
	s_wait_dscnt 0x0
	v_min_i64 v[6:7], v[4:5], v[2:3]
	v_and_b32_e32 v8, 1, v20
	s_delay_alu instid0(VALU_DEP_1) | instskip(SKIP_2) | instid1(VALU_DEP_2)
	v_cmp_eq_u32_e32 vcc_lo, 1, v8
	v_bitop3_b32 v8, v20, 1, v1 bitop3:0x80
	v_cndmask_b32_e32 v2, v4, v2, vcc_lo
	v_cmp_eq_u32_e64 s2, 0, v8
	v_cndmask_b32_e32 v3, v5, v3, vcc_lo
	v_cndmask_b32_e64 v1, v1, 1, vcc_lo
	s_delay_alu instid0(VALU_DEP_1) | instskip(NEXT) | instid1(VALU_DEP_3)
	v_dual_cndmask_b32 v20, 1, v1, s2 :: v_dual_cndmask_b32 v2, v6, v2, s2
	v_cndmask_b32_e64 v3, v7, v3, s2
.LBB234_191:
	s_or_b32 exec_lo, exec_lo, s3
.LBB234_192:
	s_delay_alu instid0(SALU_CYCLE_1)
	s_or_b32 exec_lo, exec_lo, s4
.LBB234_193:
	v_cmp_eq_u32_e64 s2, 0, v0
	s_branch .LBB234_211
.LBB234_194:
	s_cmp_eq_u32 s24, 1
	s_cbranch_scc0 .LBB234_210
; %bb.195:
	s_bfe_u32 s2, ttmp6, 0x4000c
	s_and_b32 s3, ttmp6, 15
	s_add_co_i32 s2, s2, 1
	s_getreg_b32 s4, hwreg(HW_REG_IB_STS2, 6, 4)
	s_mul_i32 s2, ttmp9, s2
	s_mov_b32 s5, 0
	s_add_co_i32 s3, s3, s2
	s_cmp_eq_u32 s4, 0
	v_mbcnt_lo_u32_b32 v8, -1, 0
	s_cselect_b32 s10, ttmp9, s3
	s_mov_b32 s11, s5
	s_lshr_b64 s[2:3], s[14:15], 7
	s_lshl_b32 s4, s10, 7
	s_cmp_lg_u64 s[2:3], s[10:11]
	s_cbranch_scc0 .LBB234_214
; %bb.196:
	s_lshl_b64 s[2:3], s[4:5], 3
	s_delay_alu instid0(SALU_CYCLE_1)
	s_add_nc_u64 s[6:7], s[16:17], s[2:3]
	s_add_nc_u64 s[2:3], s[18:19], s[2:3]
	global_load_b64 v[2:3], v0, s[6:7] scale_offset
	s_wait_dscnt 0x0
	global_load_b64 v[4:5], v0, s[2:3] scale_offset
	s_wait_xcnt 0x0
	s_add_nc_u64 s[2:3], s[12:13], s[4:5]
	s_wait_loadcnt 0x0
	v_cmp_ne_u64_e32 vcc_lo, v[2:3], v[4:5]
	v_cndmask_b32_e64 v2, 0, 1, vcc_lo
	s_delay_alu instid0(VALU_DEP_1) | instskip(NEXT) | instid1(VALU_DEP_1)
	v_mov_b32_dpp v2, v2 quad_perm:[1,0,3,2] row_mask:0xf bank_mask:0xf
	v_dual_mov_b32 v1, 0 :: v_dual_bitop2_b32 v2, 1, v2 bitop3:0x40
	s_delay_alu instid0(VALU_DEP_1) | instskip(NEXT) | instid1(VALU_DEP_2)
	v_add_nc_u64_e32 v[6:7], s[2:3], v[0:1]
	v_cmp_eq_u32_e64 s2, 1, v2
	s_delay_alu instid0(VALU_DEP_2) | instskip(NEXT) | instid1(VALU_DEP_3)
	v_mov_b32_dpp v10, v6 quad_perm:[1,0,3,2] row_mask:0xf bank_mask:0xf
	v_mov_b32_dpp v11, v7 quad_perm:[1,0,3,2] row_mask:0xf bank_mask:0xf
	s_delay_alu instid0(VALU_DEP_1) | instskip(NEXT) | instid1(VALU_DEP_1)
	v_min_i64 v[12:13], v[6:7], v[10:11]
	v_dual_cndmask_b32 v4, v10, v12 :: v_dual_cndmask_b32 v3, v11, v13
	s_or_b32 vcc_lo, s2, vcc_lo
	s_delay_alu instid0(SALU_CYCLE_1) | instskip(NEXT) | instid1(VALU_DEP_2)
	v_cndmask_b32_e64 v9, 0, 1, vcc_lo
	v_dual_cndmask_b32 v2, v6, v4, s2 :: v_dual_cndmask_b32 v3, v7, v3, s2
	s_delay_alu instid0(VALU_DEP_2) | instskip(NEXT) | instid1(VALU_DEP_2)
	v_mov_b32_dpp v9, v9 quad_perm:[2,3,0,1] row_mask:0xf bank_mask:0xf
	v_mov_b32_dpp v4, v2 quad_perm:[2,3,0,1] row_mask:0xf bank_mask:0xf
	s_delay_alu instid0(VALU_DEP_3) | instskip(NEXT) | instid1(VALU_DEP_1)
	v_mov_b32_dpp v5, v3 quad_perm:[2,3,0,1] row_mask:0xf bank_mask:0xf
	v_min_i64 v[6:7], v[2:3], v[4:5]
	s_delay_alu instid0(VALU_DEP_1) | instskip(NEXT) | instid1(VALU_DEP_1)
	v_dual_cndmask_b32 v4, v4, v6, vcc_lo :: v_dual_bitop2_b32 v9, 1, v9 bitop3:0x40
	v_cmp_eq_u32_e64 s2, 1, v9
	s_delay_alu instid0(VALU_DEP_1) | instskip(SKIP_1) | instid1(SALU_CYCLE_1)
	v_dual_cndmask_b32 v5, v5, v7, vcc_lo :: v_dual_cndmask_b32 v2, v2, v4, s2
	s_or_b32 vcc_lo, s2, vcc_lo
	v_cndmask_b32_e64 v9, 0, 1, vcc_lo
	s_delay_alu instid0(VALU_DEP_2) | instskip(NEXT) | instid1(VALU_DEP_3)
	v_mov_b32_dpp v4, v2 row_ror:4 row_mask:0xf bank_mask:0xf
	v_cndmask_b32_e64 v3, v3, v5, s2
	s_delay_alu instid0(VALU_DEP_3) | instskip(NEXT) | instid1(VALU_DEP_2)
	v_mov_b32_dpp v9, v9 row_ror:4 row_mask:0xf bank_mask:0xf
	v_mov_b32_dpp v5, v3 row_ror:4 row_mask:0xf bank_mask:0xf
	s_delay_alu instid0(VALU_DEP_1) | instskip(NEXT) | instid1(VALU_DEP_1)
	v_min_i64 v[6:7], v[2:3], v[4:5]
	v_dual_cndmask_b32 v5, v5, v7, vcc_lo :: v_dual_bitop2_b32 v9, 1, v9 bitop3:0x40
	s_delay_alu instid0(VALU_DEP_2) | instskip(NEXT) | instid1(VALU_DEP_2)
	v_cndmask_b32_e32 v4, v4, v6, vcc_lo
	v_cmp_eq_u32_e64 s2, 1, v9
	s_delay_alu instid0(VALU_DEP_1) | instskip(SKIP_1) | instid1(SALU_CYCLE_1)
	v_dual_cndmask_b32 v3, v3, v5, s2 :: v_dual_cndmask_b32 v2, v2, v4, s2
	s_or_b32 vcc_lo, s2, vcc_lo
	v_cndmask_b32_e64 v9, 0, 1, vcc_lo
	s_delay_alu instid0(VALU_DEP_2) | instskip(NEXT) | instid1(VALU_DEP_3)
	v_mov_b32_dpp v5, v3 row_ror:8 row_mask:0xf bank_mask:0xf
	v_mov_b32_dpp v4, v2 row_ror:8 row_mask:0xf bank_mask:0xf
	s_delay_alu instid0(VALU_DEP_3) | instskip(NEXT) | instid1(VALU_DEP_2)
	v_mov_b32_dpp v9, v9 row_ror:8 row_mask:0xf bank_mask:0xf
	v_min_i64 v[6:7], v[2:3], v[4:5]
	s_delay_alu instid0(VALU_DEP_1) | instskip(NEXT) | instid1(VALU_DEP_1)
	v_dual_cndmask_b32 v4, v4, v6, vcc_lo :: v_dual_bitop2_b32 v9, 1, v9 bitop3:0x40
	v_cmp_eq_u32_e64 s2, 1, v9
	s_delay_alu instid0(VALU_DEP_1) | instskip(SKIP_1) | instid1(VALU_DEP_1)
	v_dual_cndmask_b32 v5, v5, v7, vcc_lo :: v_dual_cndmask_b32 v2, v2, v4, s2
	s_or_b32 vcc_lo, s2, vcc_lo
	v_cndmask_b32_e64 v3, v3, v5, s2
	v_cndmask_b32_e64 v9, 0, 1, vcc_lo
	ds_swizzle_b32 v4, v2 offset:swizzle(BROADCAST,32,15)
	ds_swizzle_b32 v5, v3 offset:swizzle(BROADCAST,32,15)
	;; [unrolled: 1-line block ×3, first 2 shown]
	s_wait_dscnt 0x1
	v_min_i64 v[6:7], v[2:3], v[4:5]
	s_wait_dscnt 0x0
	s_delay_alu instid0(VALU_DEP_1) | instskip(NEXT) | instid1(VALU_DEP_1)
	v_dual_cndmask_b32 v4, v4, v6, vcc_lo :: v_dual_bitop2_b32 v9, 1, v9 bitop3:0x40
	v_cmp_eq_u32_e64 s2, 1, v9
	s_delay_alu instid0(VALU_DEP_3) | instskip(SKIP_1) | instid1(VALU_DEP_1)
	v_cndmask_b32_e32 v5, v5, v7, vcc_lo
	s_or_b32 s3, s2, vcc_lo
	v_dual_cndmask_b32 v3, v3, v5, s2 :: v_dual_cndmask_b32 v2, v2, v4, s2
	v_cndmask_b32_e64 v5, 0, 1, s3
	s_mov_b32 s2, exec_lo
	ds_bpermute_b32 v3, v1, v3 offset:124
	ds_bpermute_b32 v2, v1, v2 offset:124
	;; [unrolled: 1-line block ×3, first 2 shown]
	v_cmpx_eq_u32_e32 0, v8
	s_cbranch_execz .LBB234_198
; %bb.197:
	v_lshrrev_b32_e32 v1, 1, v0
	s_delay_alu instid0(VALU_DEP_1)
	v_and_b32_e32 v1, 48, v1
	s_wait_dscnt 0x0
	ds_store_b8 v1, v20
	ds_store_b64 v1, v[2:3] offset:8
.LBB234_198:
	s_or_b32 exec_lo, exec_lo, s2
	s_delay_alu instid0(SALU_CYCLE_1)
	s_mov_b32 s2, exec_lo
	s_wait_dscnt 0x0
	s_barrier_signal -1
	s_barrier_wait -1
	v_cmpx_gt_u32_e32 32, v0
	s_cbranch_execz .LBB234_208
; %bb.199:
	v_and_b32_e32 v1, 3, v8
	s_mov_b32 s3, exec_lo
	s_delay_alu instid0(VALU_DEP_1) | instskip(SKIP_2) | instid1(VALU_DEP_1)
	v_cmp_ne_u32_e32 vcc_lo, 3, v1
	v_lshlrev_b32_e32 v2, 4, v1
	v_add_co_ci_u32_e64 v1, null, 0, v8, vcc_lo
	v_lshlrev_b32_e32 v1, 2, v1
	ds_load_u8 v9, v2
	ds_load_b64 v[2:3], v2 offset:8
	s_wait_dscnt 0x1
	v_and_b32_e32 v4, 0xff, v9
	s_wait_dscnt 0x0
	ds_bpermute_b32 v6, v1, v2
	ds_bpermute_b32 v7, v1, v3
	;; [unrolled: 1-line block ×3, first 2 shown]
                                        ; implicit-def: $vgpr4_vgpr5
	s_wait_dscnt 0x0
	v_and_b32_e32 v1, v9, v10
	s_delay_alu instid0(VALU_DEP_1) | instskip(NEXT) | instid1(VALU_DEP_1)
	v_and_b32_e32 v1, 1, v1
	v_cmpx_eq_u32_e32 1, v1
	s_xor_b32 s3, exec_lo, s3
; %bb.200:
	v_min_i64 v[4:5], v[6:7], v[2:3]
                                        ; implicit-def: $vgpr9
                                        ; implicit-def: $vgpr6_vgpr7
                                        ; implicit-def: $vgpr2_vgpr3
                                        ; implicit-def: $vgpr10
; %bb.201:
	s_or_saveexec_b32 s3, s3
	v_dual_lshlrev_b32 v11, 2, v8 :: v_dual_mov_b32 v1, 1
	s_xor_b32 exec_lo, exec_lo, s3
; %bb.202:
	v_and_b32_e32 v1, 1, v9
	s_delay_alu instid0(VALU_DEP_1) | instskip(SKIP_2) | instid1(VALU_DEP_2)
	v_cmp_eq_u32_e32 vcc_lo, 1, v1
	v_and_b32_e32 v1, 0xff, v10
	v_dual_cndmask_b32 v5, v7, v3 :: v_dual_cndmask_b32 v4, v6, v2
	v_cndmask_b32_e64 v1, v1, 1, vcc_lo
; %bb.203:
	s_or_b32 exec_lo, exec_lo, s3
	v_or_b32_e32 v2, 8, v11
	ds_bpermute_b32 v9, v2, v1
	ds_bpermute_b32 v6, v2, v4
	;; [unrolled: 1-line block ×3, first 2 shown]
	s_wait_dscnt 0x2
	v_and_b32_e32 v2, v1, v9
	s_delay_alu instid0(VALU_DEP_1) | instskip(NEXT) | instid1(VALU_DEP_1)
	v_and_b32_e32 v2, 1, v2
	v_cmp_eq_u32_e32 vcc_lo, 1, v2
                                        ; implicit-def: $vgpr2_vgpr3
	s_and_saveexec_b32 s3, vcc_lo
	s_delay_alu instid0(SALU_CYCLE_1)
	s_xor_b32 s3, exec_lo, s3
	s_cbranch_execz .LBB234_205
; %bb.204:
	s_wait_dscnt 0x0
	v_min_i64 v[2:3], v[6:7], v[4:5]
                                        ; implicit-def: $vgpr1
                                        ; implicit-def: $vgpr6_vgpr7
                                        ; implicit-def: $vgpr4_vgpr5
                                        ; implicit-def: $vgpr9
.LBB234_205:
	s_or_saveexec_b32 s3, s3
	v_mov_b32_e32 v20, 1
	s_xor_b32 exec_lo, exec_lo, s3
	s_cbranch_execz .LBB234_207
; %bb.206:
	v_and_b32_e32 v1, 1, v1
	s_delay_alu instid0(VALU_DEP_1)
	v_cmp_eq_u32_e32 vcc_lo, 1, v1
	s_wait_dscnt 0x0
	v_dual_cndmask_b32 v3, v7, v5 :: v_dual_cndmask_b32 v2, v6, v4
	v_cndmask_b32_e64 v20, v9, 1, vcc_lo
.LBB234_207:
	s_or_b32 exec_lo, exec_lo, s3
.LBB234_208:
	s_delay_alu instid0(SALU_CYCLE_1)
	s_or_b32 exec_lo, exec_lo, s2
.LBB234_209:
	v_cmp_eq_u32_e64 s2, 0, v0
	s_and_saveexec_b32 s3, s2
	s_cbranch_execnz .LBB234_212
	s_branch .LBB234_213
.LBB234_210:
                                        ; implicit-def: $sgpr10_sgpr11
                                        ; implicit-def: $vgpr2_vgpr3
                                        ; implicit-def: $vgpr20
.LBB234_211:
	s_delay_alu instid0(VALU_DEP_1)
	s_and_saveexec_b32 s3, s2
	s_cbranch_execz .LBB234_213
.LBB234_212:
	s_clause 0x1
	s_load_b64 s[2:3], s[0:1], 0x48
	s_load_b96 s[4:6], s[0:1], 0x38
	s_cmp_eq_u64 s[14:15], 0
	s_wait_xcnt 0x0
	s_cselect_b32 s0, -1, 0
	s_wait_dscnt 0x2
	s_wait_kmcnt 0x0
	v_min_i64 v[0:1], v[2:3], s[2:3]
	s_wait_dscnt 0x1
	v_and_b32_e32 v4, 1, v20
	s_bitcmp1_b32 s6, 0
	s_delay_alu instid0(VALU_DEP_1) | instskip(NEXT) | instid1(VALU_DEP_3)
	v_cmp_eq_u32_e32 vcc_lo, 1, v4
	v_cndmask_b32_e32 v1, s3, v1, vcc_lo
	s_delay_alu instid0(VALU_DEP_4) | instskip(SKIP_1) | instid1(SALU_CYCLE_1)
	v_cndmask_b32_e32 v0, s2, v0, vcc_lo
	s_cselect_b32 vcc_lo, -1, 0
	v_cndmask_b32_e64 v4, v20, 1, vcc_lo
	s_delay_alu instid0(VALU_DEP_2) | instskip(SKIP_1) | instid1(VALU_DEP_3)
	v_dual_cndmask_b32 v1, v3, v1 :: v_dual_cndmask_b32 v0, v2, v0
	v_mov_b32_e32 v2, 0
	v_cndmask_b32_e64 v3, v4, s6, s0
	s_delay_alu instid0(VALU_DEP_3) | instskip(NEXT) | instid1(VALU_DEP_4)
	v_cndmask_b32_e64 v1, v1, s3, s0
	v_cndmask_b32_e64 v0, v0, s2, s0
	s_lshl_b64 s[0:1], s[10:11], 4
	s_delay_alu instid0(SALU_CYCLE_1)
	s_add_nc_u64 s[0:1], s[4:5], s[0:1]
	s_clause 0x1
	global_store_b8 v2, v3, s[0:1]
	global_store_b64 v2, v[0:1], s[0:1] offset:8
.LBB234_213:
	s_endpgm
.LBB234_214:
                                        ; implicit-def: $vgpr2_vgpr3
                                        ; implicit-def: $vgpr20
	s_cbranch_execz .LBB234_209
; %bb.215:
	v_mov_b64_e32 v[2:3], 0
	s_wait_dscnt 0x1
	v_mov_b32_e32 v6, 0
	s_sub_co_i32 s2, s14, s4
	s_mov_b32 s3, exec_lo
	v_cmpx_gt_u32_e64 s2, v0
	s_cbranch_execz .LBB234_217
; %bb.216:
	s_lshl_b64 s[6:7], s[4:5], 3
	v_mov_b32_e32 v1, 0
	s_add_nc_u64 s[8:9], s[16:17], s[6:7]
	s_add_nc_u64 s[6:7], s[18:19], s[6:7]
	s_wait_dscnt 0x0
	s_clause 0x1
	global_load_b64 v[4:5], v0, s[8:9] scale_offset
	global_load_b64 v[6:7], v0, s[6:7] scale_offset
	s_add_nc_u64 s[4:5], s[12:13], s[4:5]
	s_delay_alu instid0(SALU_CYCLE_1)
	v_add_nc_u64_e32 v[2:3], s[4:5], v[0:1]
	s_wait_loadcnt 0x0
	v_cmp_ne_u64_e32 vcc_lo, v[4:5], v[6:7]
	v_cndmask_b32_e64 v6, 0, 1, vcc_lo
.LBB234_217:
	s_or_b32 exec_lo, exec_lo, s3
	v_cmp_ne_u32_e32 vcc_lo, 31, v8
	s_delay_alu instid0(VALU_DEP_2) | instskip(SKIP_4) | instid1(VALU_DEP_1)
	v_and_b32_e32 v20, 0xffff, v6
	s_min_u32 s3, s2, 0x80
	s_mov_b32 s4, exec_lo
	v_add_nc_u32_e32 v9, 1, v8
	v_add_co_ci_u32_e64 v1, null, 0, v8, vcc_lo
	v_lshlrev_b32_e32 v1, 2, v1
	s_wait_dscnt 0x0
	ds_bpermute_b32 v7, v1, v20
	ds_bpermute_b32 v4, v1, v2
	;; [unrolled: 1-line block ×3, first 2 shown]
	v_and_b32_e32 v1, 0x60, v0
	s_delay_alu instid0(VALU_DEP_1) | instskip(NEXT) | instid1(VALU_DEP_1)
	v_sub_nc_u32_e64 v1, s3, v1 clamp
	v_cmpx_lt_u32_e64 v9, v1
	s_cbranch_execz .LBB234_219
; %bb.218:
	s_wait_dscnt 0x0
	v_min_i64 v[10:11], v[4:5], v[2:3]
	v_and_b32_e32 v6, 1, v6
	s_delay_alu instid0(VALU_DEP_1) | instskip(SKIP_3) | instid1(VALU_DEP_3)
	v_cmp_eq_u32_e32 vcc_lo, 1, v6
	v_and_b32_e32 v6, v7, v20
	v_and_b32_e32 v7, 0xff, v7
	v_dual_cndmask_b32 v2, v4, v2 :: v_dual_cndmask_b32 v3, v5, v3
	v_cmp_eq_u32_e64 s2, 0, v6
	s_delay_alu instid0(VALU_DEP_3) | instskip(NEXT) | instid1(VALU_DEP_1)
	v_cndmask_b32_e64 v4, v7, 1, vcc_lo
	v_dual_cndmask_b32 v20, 1, v4, s2 :: v_dual_cndmask_b32 v3, v11, v3, s2
	s_delay_alu instid0(VALU_DEP_4)
	v_cndmask_b32_e64 v2, v10, v2, s2
.LBB234_219:
	s_or_b32 exec_lo, exec_lo, s4
	v_cmp_gt_u32_e32 vcc_lo, 30, v8
	s_wait_dscnt 0x2
	v_add_nc_u32_e32 v7, 2, v8
	s_mov_b32 s4, exec_lo
	s_wait_dscnt 0x1
	v_cndmask_b32_e64 v4, 0, 2, vcc_lo
	s_wait_dscnt 0x0
	s_delay_alu instid0(VALU_DEP_1)
	v_add_lshl_u32 v5, v4, v8, 2
	ds_bpermute_b32 v6, v5, v20
	ds_bpermute_b32 v4, v5, v2
	ds_bpermute_b32 v5, v5, v3
	v_cmpx_lt_u32_e64 v7, v1
	s_cbranch_execz .LBB234_221
; %bb.220:
	s_wait_dscnt 0x0
	v_min_i64 v[10:11], v[4:5], v[2:3]
	v_and_b32_e32 v7, 1, v20
	s_delay_alu instid0(VALU_DEP_1) | instskip(SKIP_3) | instid1(VALU_DEP_3)
	v_cmp_eq_u32_e32 vcc_lo, 1, v7
	v_bitop3_b32 v7, v20, 1, v6 bitop3:0x80
	v_and_b32_e32 v6, 0xff, v6
	v_cndmask_b32_e32 v2, v4, v2, vcc_lo
	v_cmp_eq_u32_e64 s2, 0, v7
	v_cndmask_b32_e32 v3, v5, v3, vcc_lo
	s_delay_alu instid0(VALU_DEP_4) | instskip(NEXT) | instid1(VALU_DEP_1)
	v_cndmask_b32_e64 v4, v6, 1, vcc_lo
	v_dual_cndmask_b32 v20, 1, v4, s2 :: v_dual_cndmask_b32 v2, v10, v2, s2
	s_delay_alu instid0(VALU_DEP_3)
	v_cndmask_b32_e64 v3, v11, v3, s2
.LBB234_221:
	s_or_b32 exec_lo, exec_lo, s4
	v_cmp_gt_u32_e32 vcc_lo, 28, v8
	v_add_nc_u32_e32 v7, 4, v8
	s_mov_b32 s4, exec_lo
	s_wait_dscnt 0x1
	v_cndmask_b32_e64 v4, 0, 4, vcc_lo
	s_wait_dscnt 0x0
	s_delay_alu instid0(VALU_DEP_1)
	v_add_lshl_u32 v5, v4, v8, 2
	ds_bpermute_b32 v6, v5, v20
	ds_bpermute_b32 v4, v5, v2
	;; [unrolled: 1-line block ×3, first 2 shown]
	v_cmpx_lt_u32_e64 v7, v1
	s_cbranch_execz .LBB234_223
; %bb.222:
	s_wait_dscnt 0x0
	v_min_i64 v[10:11], v[4:5], v[2:3]
	v_and_b32_e32 v7, 1, v20
	s_delay_alu instid0(VALU_DEP_1) | instskip(SKIP_3) | instid1(VALU_DEP_3)
	v_cmp_eq_u32_e32 vcc_lo, 1, v7
	v_bitop3_b32 v7, v20, 1, v6 bitop3:0x80
	v_and_b32_e32 v6, 0xff, v6
	v_cndmask_b32_e32 v2, v4, v2, vcc_lo
	v_cmp_eq_u32_e64 s2, 0, v7
	v_cndmask_b32_e32 v3, v5, v3, vcc_lo
	s_delay_alu instid0(VALU_DEP_4) | instskip(NEXT) | instid1(VALU_DEP_1)
	v_cndmask_b32_e64 v4, v6, 1, vcc_lo
	v_dual_cndmask_b32 v20, 1, v4, s2 :: v_dual_cndmask_b32 v2, v10, v2, s2
	s_delay_alu instid0(VALU_DEP_3)
	v_cndmask_b32_e64 v3, v11, v3, s2
.LBB234_223:
	s_or_b32 exec_lo, exec_lo, s4
	v_cmp_gt_u32_e32 vcc_lo, 24, v8
	v_add_nc_u32_e32 v7, 8, v8
	s_mov_b32 s4, exec_lo
	s_wait_dscnt 0x1
	v_cndmask_b32_e64 v4, 0, 8, vcc_lo
	s_wait_dscnt 0x0
	s_delay_alu instid0(VALU_DEP_1)
	v_add_lshl_u32 v5, v4, v8, 2
	ds_bpermute_b32 v6, v5, v20
	ds_bpermute_b32 v4, v5, v2
	;; [unrolled: 1-line block ×3, first 2 shown]
	v_cmpx_lt_u32_e64 v7, v1
	s_cbranch_execz .LBB234_225
; %bb.224:
	s_wait_dscnt 0x0
	v_min_i64 v[10:11], v[4:5], v[2:3]
	v_and_b32_e32 v7, 1, v20
	s_delay_alu instid0(VALU_DEP_1) | instskip(SKIP_3) | instid1(VALU_DEP_3)
	v_cmp_eq_u32_e32 vcc_lo, 1, v7
	v_bitop3_b32 v7, v20, 1, v6 bitop3:0x80
	v_and_b32_e32 v6, 0xff, v6
	v_cndmask_b32_e32 v2, v4, v2, vcc_lo
	v_cmp_eq_u32_e64 s2, 0, v7
	v_cndmask_b32_e32 v3, v5, v3, vcc_lo
	s_delay_alu instid0(VALU_DEP_4) | instskip(NEXT) | instid1(VALU_DEP_1)
	v_cndmask_b32_e64 v4, v6, 1, vcc_lo
	v_dual_cndmask_b32 v20, 1, v4, s2 :: v_dual_cndmask_b32 v2, v10, v2, s2
	s_delay_alu instid0(VALU_DEP_3)
	v_cndmask_b32_e64 v3, v11, v3, s2
.LBB234_225:
	s_or_b32 exec_lo, exec_lo, s4
	s_wait_dscnt 0x2
	v_dual_lshlrev_b32 v6, 2, v8 :: v_dual_add_nc_u32 v9, 16, v8
	s_wait_dscnt 0x0
	s_delay_alu instid0(VALU_DEP_1) | instskip(NEXT) | instid1(VALU_DEP_2)
	v_or_b32_e32 v5, 64, v6
	v_cmp_lt_u32_e32 vcc_lo, v9, v1
	v_mov_b32_e32 v1, v20
	ds_bpermute_b32 v7, v5, v20
	ds_bpermute_b32 v4, v5, v2
	;; [unrolled: 1-line block ×3, first 2 shown]
	s_and_saveexec_b32 s4, vcc_lo
	s_cbranch_execz .LBB234_227
; %bb.226:
	s_wait_dscnt 0x0
	v_min_i64 v[10:11], v[4:5], v[2:3]
	v_and_b32_e32 v1, 1, v20
	v_bitop3_b32 v9, v20, 1, v7 bitop3:0x80
	s_delay_alu instid0(VALU_DEP_2) | instskip(NEXT) | instid1(VALU_DEP_2)
	v_cmp_eq_u32_e32 vcc_lo, 1, v1
	v_cmp_eq_u32_e64 s2, 0, v9
	v_cndmask_b32_e64 v1, v7, 1, vcc_lo
	v_dual_cndmask_b32 v3, v5, v3 :: v_dual_cndmask_b32 v2, v4, v2
	s_delay_alu instid0(VALU_DEP_2) | instskip(NEXT) | instid1(VALU_DEP_1)
	v_cndmask_b32_e64 v1, 1, v1, s2
	v_and_b32_e32 v20, 0xff, v1
	s_delay_alu instid0(VALU_DEP_3)
	v_dual_cndmask_b32 v3, v11, v3, s2 :: v_dual_cndmask_b32 v2, v10, v2, s2
.LBB234_227:
	s_or_b32 exec_lo, exec_lo, s4
	s_delay_alu instid0(SALU_CYCLE_1)
	s_mov_b32 s2, exec_lo
	v_cmpx_eq_u32_e32 0, v8
	s_cbranch_execz .LBB234_229
; %bb.228:
	s_wait_dscnt 0x1
	v_lshrrev_b32_e32 v4, 1, v0
	s_delay_alu instid0(VALU_DEP_1)
	v_and_b32_e32 v4, 48, v4
	ds_store_b8 v4, v1 offset:256
	ds_store_b64 v4, v[2:3] offset:264
.LBB234_229:
	s_or_b32 exec_lo, exec_lo, s2
	s_delay_alu instid0(SALU_CYCLE_1)
	s_mov_b32 s4, exec_lo
	s_wait_dscnt 0x0
	s_barrier_signal -1
	s_barrier_wait -1
	v_cmpx_gt_u32_e32 4, v0
	s_cbranch_execz .LBB234_235
; %bb.230:
	v_lshlrev_b32_e32 v1, 4, v8
	s_add_co_i32 s3, s3, 31
	s_mov_b32 s5, exec_lo
	s_lshr_b32 s3, s3, 5
	ds_load_u8 v7, v1 offset:256
	ds_load_b64 v[2:3], v1 offset:264
	v_and_b32_e32 v1, 3, v8
	s_delay_alu instid0(VALU_DEP_1) | instskip(SKIP_2) | instid1(VALU_DEP_1)
	v_cmp_ne_u32_e32 vcc_lo, 3, v1
	v_add_nc_u32_e32 v9, 1, v1
	v_add_co_ci_u32_e64 v4, null, 0, v8, vcc_lo
	v_lshlrev_b32_e32 v5, 2, v4
	s_wait_dscnt 0x1
	v_and_b32_e32 v20, 0xff, v7
	s_wait_dscnt 0x0
	ds_bpermute_b32 v4, v5, v2
	ds_bpermute_b32 v8, v5, v20
	;; [unrolled: 1-line block ×3, first 2 shown]
	v_cmpx_gt_u32_e64 s3, v9
	s_cbranch_execz .LBB234_232
; %bb.231:
	s_wait_dscnt 0x0
	v_min_i64 v[10:11], v[4:5], v[2:3]
	v_and_b32_e32 v7, 1, v7
	s_delay_alu instid0(VALU_DEP_1) | instskip(SKIP_3) | instid1(VALU_DEP_3)
	v_cmp_eq_u32_e32 vcc_lo, 1, v7
	v_bitop3_b32 v7, v20, 1, v8 bitop3:0x80
	v_and_b32_e32 v8, 0xff, v8
	v_cndmask_b32_e32 v2, v4, v2, vcc_lo
	v_cmp_eq_u32_e64 s2, 0, v7
	v_cndmask_b32_e32 v3, v5, v3, vcc_lo
	s_delay_alu instid0(VALU_DEP_4) | instskip(NEXT) | instid1(VALU_DEP_1)
	v_cndmask_b32_e64 v4, v8, 1, vcc_lo
	v_dual_cndmask_b32 v20, 1, v4, s2 :: v_dual_cndmask_b32 v2, v10, v2, s2
	s_delay_alu instid0(VALU_DEP_3)
	v_cndmask_b32_e64 v3, v11, v3, s2
.LBB234_232:
	s_or_b32 exec_lo, exec_lo, s5
	s_wait_dscnt 0x0
	v_dual_add_nc_u32 v1, 2, v1 :: v_dual_bitop2_b32 v5, 8, v6 bitop3:0x54
	ds_bpermute_b32 v6, v5, v20
	ds_bpermute_b32 v4, v5, v2
	;; [unrolled: 1-line block ×3, first 2 shown]
	v_cmp_gt_u32_e32 vcc_lo, s3, v1
	s_and_saveexec_b32 s3, vcc_lo
	s_cbranch_execz .LBB234_234
; %bb.233:
	s_wait_dscnt 0x0
	v_min_i64 v[8:9], v[4:5], v[2:3]
	v_and_b32_e32 v1, 1, v20
	s_delay_alu instid0(VALU_DEP_1) | instskip(SKIP_2) | instid1(VALU_DEP_2)
	v_cmp_eq_u32_e32 vcc_lo, 1, v1
	v_bitop3_b32 v1, v20, 1, v6 bitop3:0x80
	v_cndmask_b32_e32 v2, v4, v2, vcc_lo
	v_cmp_eq_u32_e64 s2, 0, v1
	v_cndmask_b32_e32 v3, v5, v3, vcc_lo
	v_cndmask_b32_e64 v1, v6, 1, vcc_lo
	s_delay_alu instid0(VALU_DEP_1) | instskip(NEXT) | instid1(VALU_DEP_3)
	v_dual_cndmask_b32 v20, 1, v1, s2 :: v_dual_cndmask_b32 v2, v8, v2, s2
	v_cndmask_b32_e64 v3, v9, v3, s2
.LBB234_234:
	s_or_b32 exec_lo, exec_lo, s3
.LBB234_235:
	s_delay_alu instid0(SALU_CYCLE_1)
	s_or_b32 exec_lo, exec_lo, s4
	v_cmp_eq_u32_e64 s2, 0, v0
	s_and_saveexec_b32 s3, s2
	s_cbranch_execnz .LBB234_212
	s_branch .LBB234_213
	.section	.rodata,"a",@progbits
	.p2align	6, 0x0
	.amdhsa_kernel _ZN7rocprim17ROCPRIM_400000_NS6detail17trampoline_kernelINS0_14default_configENS1_22reduce_config_selectorIN6thrust23THRUST_200600_302600_NS5tupleIblNS6_9null_typeES8_S8_S8_S8_S8_S8_S8_EEEEZNS1_11reduce_implILb1ES3_NS6_12zip_iteratorINS7_INS6_11hip_rocprim26transform_input_iterator_tIbNSD_35transform_pair_of_input_iterators_tIbNS6_6detail15normal_iteratorINS6_10device_ptrIKxEEEESL_NS6_8equal_toIxEEEENSG_9not_fun_tINSD_8identityEEEEENSD_19counting_iterator_tIlEES8_S8_S8_S8_S8_S8_S8_S8_EEEEPS9_S9_NSD_9__find_if7functorIS9_EEEE10hipError_tPvRmT1_T2_T3_mT4_P12ihipStream_tbEUlT_E1_NS1_11comp_targetILNS1_3genE0ELNS1_11target_archE4294967295ELNS1_3gpuE0ELNS1_3repE0EEENS1_30default_config_static_selectorELNS0_4arch9wavefront6targetE0EEEvS14_
		.amdhsa_group_segment_fixed_size 320
		.amdhsa_private_segment_fixed_size 0
		.amdhsa_kernarg_size 88
		.amdhsa_user_sgpr_count 2
		.amdhsa_user_sgpr_dispatch_ptr 0
		.amdhsa_user_sgpr_queue_ptr 0
		.amdhsa_user_sgpr_kernarg_segment_ptr 1
		.amdhsa_user_sgpr_dispatch_id 0
		.amdhsa_user_sgpr_kernarg_preload_length 0
		.amdhsa_user_sgpr_kernarg_preload_offset 0
		.amdhsa_user_sgpr_private_segment_size 0
		.amdhsa_wavefront_size32 1
		.amdhsa_uses_dynamic_stack 0
		.amdhsa_enable_private_segment 0
		.amdhsa_system_sgpr_workgroup_id_x 1
		.amdhsa_system_sgpr_workgroup_id_y 0
		.amdhsa_system_sgpr_workgroup_id_z 0
		.amdhsa_system_sgpr_workgroup_info 0
		.amdhsa_system_vgpr_workitem_id 0
		.amdhsa_next_free_vgpr 36
		.amdhsa_next_free_sgpr 28
		.amdhsa_named_barrier_count 0
		.amdhsa_reserve_vcc 1
		.amdhsa_float_round_mode_32 0
		.amdhsa_float_round_mode_16_64 0
		.amdhsa_float_denorm_mode_32 3
		.amdhsa_float_denorm_mode_16_64 3
		.amdhsa_fp16_overflow 0
		.amdhsa_memory_ordered 1
		.amdhsa_forward_progress 1
		.amdhsa_inst_pref_size 104
		.amdhsa_round_robin_scheduling 0
		.amdhsa_exception_fp_ieee_invalid_op 0
		.amdhsa_exception_fp_denorm_src 0
		.amdhsa_exception_fp_ieee_div_zero 0
		.amdhsa_exception_fp_ieee_overflow 0
		.amdhsa_exception_fp_ieee_underflow 0
		.amdhsa_exception_fp_ieee_inexact 0
		.amdhsa_exception_int_div_zero 0
	.end_amdhsa_kernel
	.section	.text._ZN7rocprim17ROCPRIM_400000_NS6detail17trampoline_kernelINS0_14default_configENS1_22reduce_config_selectorIN6thrust23THRUST_200600_302600_NS5tupleIblNS6_9null_typeES8_S8_S8_S8_S8_S8_S8_EEEEZNS1_11reduce_implILb1ES3_NS6_12zip_iteratorINS7_INS6_11hip_rocprim26transform_input_iterator_tIbNSD_35transform_pair_of_input_iterators_tIbNS6_6detail15normal_iteratorINS6_10device_ptrIKxEEEESL_NS6_8equal_toIxEEEENSG_9not_fun_tINSD_8identityEEEEENSD_19counting_iterator_tIlEES8_S8_S8_S8_S8_S8_S8_S8_EEEEPS9_S9_NSD_9__find_if7functorIS9_EEEE10hipError_tPvRmT1_T2_T3_mT4_P12ihipStream_tbEUlT_E1_NS1_11comp_targetILNS1_3genE0ELNS1_11target_archE4294967295ELNS1_3gpuE0ELNS1_3repE0EEENS1_30default_config_static_selectorELNS0_4arch9wavefront6targetE0EEEvS14_,"axG",@progbits,_ZN7rocprim17ROCPRIM_400000_NS6detail17trampoline_kernelINS0_14default_configENS1_22reduce_config_selectorIN6thrust23THRUST_200600_302600_NS5tupleIblNS6_9null_typeES8_S8_S8_S8_S8_S8_S8_EEEEZNS1_11reduce_implILb1ES3_NS6_12zip_iteratorINS7_INS6_11hip_rocprim26transform_input_iterator_tIbNSD_35transform_pair_of_input_iterators_tIbNS6_6detail15normal_iteratorINS6_10device_ptrIKxEEEESL_NS6_8equal_toIxEEEENSG_9not_fun_tINSD_8identityEEEEENSD_19counting_iterator_tIlEES8_S8_S8_S8_S8_S8_S8_S8_EEEEPS9_S9_NSD_9__find_if7functorIS9_EEEE10hipError_tPvRmT1_T2_T3_mT4_P12ihipStream_tbEUlT_E1_NS1_11comp_targetILNS1_3genE0ELNS1_11target_archE4294967295ELNS1_3gpuE0ELNS1_3repE0EEENS1_30default_config_static_selectorELNS0_4arch9wavefront6targetE0EEEvS14_,comdat
.Lfunc_end234:
	.size	_ZN7rocprim17ROCPRIM_400000_NS6detail17trampoline_kernelINS0_14default_configENS1_22reduce_config_selectorIN6thrust23THRUST_200600_302600_NS5tupleIblNS6_9null_typeES8_S8_S8_S8_S8_S8_S8_EEEEZNS1_11reduce_implILb1ES3_NS6_12zip_iteratorINS7_INS6_11hip_rocprim26transform_input_iterator_tIbNSD_35transform_pair_of_input_iterators_tIbNS6_6detail15normal_iteratorINS6_10device_ptrIKxEEEESL_NS6_8equal_toIxEEEENSG_9not_fun_tINSD_8identityEEEEENSD_19counting_iterator_tIlEES8_S8_S8_S8_S8_S8_S8_S8_EEEEPS9_S9_NSD_9__find_if7functorIS9_EEEE10hipError_tPvRmT1_T2_T3_mT4_P12ihipStream_tbEUlT_E1_NS1_11comp_targetILNS1_3genE0ELNS1_11target_archE4294967295ELNS1_3gpuE0ELNS1_3repE0EEENS1_30default_config_static_selectorELNS0_4arch9wavefront6targetE0EEEvS14_, .Lfunc_end234-_ZN7rocprim17ROCPRIM_400000_NS6detail17trampoline_kernelINS0_14default_configENS1_22reduce_config_selectorIN6thrust23THRUST_200600_302600_NS5tupleIblNS6_9null_typeES8_S8_S8_S8_S8_S8_S8_EEEEZNS1_11reduce_implILb1ES3_NS6_12zip_iteratorINS7_INS6_11hip_rocprim26transform_input_iterator_tIbNSD_35transform_pair_of_input_iterators_tIbNS6_6detail15normal_iteratorINS6_10device_ptrIKxEEEESL_NS6_8equal_toIxEEEENSG_9not_fun_tINSD_8identityEEEEENSD_19counting_iterator_tIlEES8_S8_S8_S8_S8_S8_S8_S8_EEEEPS9_S9_NSD_9__find_if7functorIS9_EEEE10hipError_tPvRmT1_T2_T3_mT4_P12ihipStream_tbEUlT_E1_NS1_11comp_targetILNS1_3genE0ELNS1_11target_archE4294967295ELNS1_3gpuE0ELNS1_3repE0EEENS1_30default_config_static_selectorELNS0_4arch9wavefront6targetE0EEEvS14_
                                        ; -- End function
	.set _ZN7rocprim17ROCPRIM_400000_NS6detail17trampoline_kernelINS0_14default_configENS1_22reduce_config_selectorIN6thrust23THRUST_200600_302600_NS5tupleIblNS6_9null_typeES8_S8_S8_S8_S8_S8_S8_EEEEZNS1_11reduce_implILb1ES3_NS6_12zip_iteratorINS7_INS6_11hip_rocprim26transform_input_iterator_tIbNSD_35transform_pair_of_input_iterators_tIbNS6_6detail15normal_iteratorINS6_10device_ptrIKxEEEESL_NS6_8equal_toIxEEEENSG_9not_fun_tINSD_8identityEEEEENSD_19counting_iterator_tIlEES8_S8_S8_S8_S8_S8_S8_S8_EEEEPS9_S9_NSD_9__find_if7functorIS9_EEEE10hipError_tPvRmT1_T2_T3_mT4_P12ihipStream_tbEUlT_E1_NS1_11comp_targetILNS1_3genE0ELNS1_11target_archE4294967295ELNS1_3gpuE0ELNS1_3repE0EEENS1_30default_config_static_selectorELNS0_4arch9wavefront6targetE0EEEvS14_.num_vgpr, 36
	.set _ZN7rocprim17ROCPRIM_400000_NS6detail17trampoline_kernelINS0_14default_configENS1_22reduce_config_selectorIN6thrust23THRUST_200600_302600_NS5tupleIblNS6_9null_typeES8_S8_S8_S8_S8_S8_S8_EEEEZNS1_11reduce_implILb1ES3_NS6_12zip_iteratorINS7_INS6_11hip_rocprim26transform_input_iterator_tIbNSD_35transform_pair_of_input_iterators_tIbNS6_6detail15normal_iteratorINS6_10device_ptrIKxEEEESL_NS6_8equal_toIxEEEENSG_9not_fun_tINSD_8identityEEEEENSD_19counting_iterator_tIlEES8_S8_S8_S8_S8_S8_S8_S8_EEEEPS9_S9_NSD_9__find_if7functorIS9_EEEE10hipError_tPvRmT1_T2_T3_mT4_P12ihipStream_tbEUlT_E1_NS1_11comp_targetILNS1_3genE0ELNS1_11target_archE4294967295ELNS1_3gpuE0ELNS1_3repE0EEENS1_30default_config_static_selectorELNS0_4arch9wavefront6targetE0EEEvS14_.num_agpr, 0
	.set _ZN7rocprim17ROCPRIM_400000_NS6detail17trampoline_kernelINS0_14default_configENS1_22reduce_config_selectorIN6thrust23THRUST_200600_302600_NS5tupleIblNS6_9null_typeES8_S8_S8_S8_S8_S8_S8_EEEEZNS1_11reduce_implILb1ES3_NS6_12zip_iteratorINS7_INS6_11hip_rocprim26transform_input_iterator_tIbNSD_35transform_pair_of_input_iterators_tIbNS6_6detail15normal_iteratorINS6_10device_ptrIKxEEEESL_NS6_8equal_toIxEEEENSG_9not_fun_tINSD_8identityEEEEENSD_19counting_iterator_tIlEES8_S8_S8_S8_S8_S8_S8_S8_EEEEPS9_S9_NSD_9__find_if7functorIS9_EEEE10hipError_tPvRmT1_T2_T3_mT4_P12ihipStream_tbEUlT_E1_NS1_11comp_targetILNS1_3genE0ELNS1_11target_archE4294967295ELNS1_3gpuE0ELNS1_3repE0EEENS1_30default_config_static_selectorELNS0_4arch9wavefront6targetE0EEEvS14_.numbered_sgpr, 28
	.set _ZN7rocprim17ROCPRIM_400000_NS6detail17trampoline_kernelINS0_14default_configENS1_22reduce_config_selectorIN6thrust23THRUST_200600_302600_NS5tupleIblNS6_9null_typeES8_S8_S8_S8_S8_S8_S8_EEEEZNS1_11reduce_implILb1ES3_NS6_12zip_iteratorINS7_INS6_11hip_rocprim26transform_input_iterator_tIbNSD_35transform_pair_of_input_iterators_tIbNS6_6detail15normal_iteratorINS6_10device_ptrIKxEEEESL_NS6_8equal_toIxEEEENSG_9not_fun_tINSD_8identityEEEEENSD_19counting_iterator_tIlEES8_S8_S8_S8_S8_S8_S8_S8_EEEEPS9_S9_NSD_9__find_if7functorIS9_EEEE10hipError_tPvRmT1_T2_T3_mT4_P12ihipStream_tbEUlT_E1_NS1_11comp_targetILNS1_3genE0ELNS1_11target_archE4294967295ELNS1_3gpuE0ELNS1_3repE0EEENS1_30default_config_static_selectorELNS0_4arch9wavefront6targetE0EEEvS14_.num_named_barrier, 0
	.set _ZN7rocprim17ROCPRIM_400000_NS6detail17trampoline_kernelINS0_14default_configENS1_22reduce_config_selectorIN6thrust23THRUST_200600_302600_NS5tupleIblNS6_9null_typeES8_S8_S8_S8_S8_S8_S8_EEEEZNS1_11reduce_implILb1ES3_NS6_12zip_iteratorINS7_INS6_11hip_rocprim26transform_input_iterator_tIbNSD_35transform_pair_of_input_iterators_tIbNS6_6detail15normal_iteratorINS6_10device_ptrIKxEEEESL_NS6_8equal_toIxEEEENSG_9not_fun_tINSD_8identityEEEEENSD_19counting_iterator_tIlEES8_S8_S8_S8_S8_S8_S8_S8_EEEEPS9_S9_NSD_9__find_if7functorIS9_EEEE10hipError_tPvRmT1_T2_T3_mT4_P12ihipStream_tbEUlT_E1_NS1_11comp_targetILNS1_3genE0ELNS1_11target_archE4294967295ELNS1_3gpuE0ELNS1_3repE0EEENS1_30default_config_static_selectorELNS0_4arch9wavefront6targetE0EEEvS14_.private_seg_size, 0
	.set _ZN7rocprim17ROCPRIM_400000_NS6detail17trampoline_kernelINS0_14default_configENS1_22reduce_config_selectorIN6thrust23THRUST_200600_302600_NS5tupleIblNS6_9null_typeES8_S8_S8_S8_S8_S8_S8_EEEEZNS1_11reduce_implILb1ES3_NS6_12zip_iteratorINS7_INS6_11hip_rocprim26transform_input_iterator_tIbNSD_35transform_pair_of_input_iterators_tIbNS6_6detail15normal_iteratorINS6_10device_ptrIKxEEEESL_NS6_8equal_toIxEEEENSG_9not_fun_tINSD_8identityEEEEENSD_19counting_iterator_tIlEES8_S8_S8_S8_S8_S8_S8_S8_EEEEPS9_S9_NSD_9__find_if7functorIS9_EEEE10hipError_tPvRmT1_T2_T3_mT4_P12ihipStream_tbEUlT_E1_NS1_11comp_targetILNS1_3genE0ELNS1_11target_archE4294967295ELNS1_3gpuE0ELNS1_3repE0EEENS1_30default_config_static_selectorELNS0_4arch9wavefront6targetE0EEEvS14_.uses_vcc, 1
	.set _ZN7rocprim17ROCPRIM_400000_NS6detail17trampoline_kernelINS0_14default_configENS1_22reduce_config_selectorIN6thrust23THRUST_200600_302600_NS5tupleIblNS6_9null_typeES8_S8_S8_S8_S8_S8_S8_EEEEZNS1_11reduce_implILb1ES3_NS6_12zip_iteratorINS7_INS6_11hip_rocprim26transform_input_iterator_tIbNSD_35transform_pair_of_input_iterators_tIbNS6_6detail15normal_iteratorINS6_10device_ptrIKxEEEESL_NS6_8equal_toIxEEEENSG_9not_fun_tINSD_8identityEEEEENSD_19counting_iterator_tIlEES8_S8_S8_S8_S8_S8_S8_S8_EEEEPS9_S9_NSD_9__find_if7functorIS9_EEEE10hipError_tPvRmT1_T2_T3_mT4_P12ihipStream_tbEUlT_E1_NS1_11comp_targetILNS1_3genE0ELNS1_11target_archE4294967295ELNS1_3gpuE0ELNS1_3repE0EEENS1_30default_config_static_selectorELNS0_4arch9wavefront6targetE0EEEvS14_.uses_flat_scratch, 0
	.set _ZN7rocprim17ROCPRIM_400000_NS6detail17trampoline_kernelINS0_14default_configENS1_22reduce_config_selectorIN6thrust23THRUST_200600_302600_NS5tupleIblNS6_9null_typeES8_S8_S8_S8_S8_S8_S8_EEEEZNS1_11reduce_implILb1ES3_NS6_12zip_iteratorINS7_INS6_11hip_rocprim26transform_input_iterator_tIbNSD_35transform_pair_of_input_iterators_tIbNS6_6detail15normal_iteratorINS6_10device_ptrIKxEEEESL_NS6_8equal_toIxEEEENSG_9not_fun_tINSD_8identityEEEEENSD_19counting_iterator_tIlEES8_S8_S8_S8_S8_S8_S8_S8_EEEEPS9_S9_NSD_9__find_if7functorIS9_EEEE10hipError_tPvRmT1_T2_T3_mT4_P12ihipStream_tbEUlT_E1_NS1_11comp_targetILNS1_3genE0ELNS1_11target_archE4294967295ELNS1_3gpuE0ELNS1_3repE0EEENS1_30default_config_static_selectorELNS0_4arch9wavefront6targetE0EEEvS14_.has_dyn_sized_stack, 0
	.set _ZN7rocprim17ROCPRIM_400000_NS6detail17trampoline_kernelINS0_14default_configENS1_22reduce_config_selectorIN6thrust23THRUST_200600_302600_NS5tupleIblNS6_9null_typeES8_S8_S8_S8_S8_S8_S8_EEEEZNS1_11reduce_implILb1ES3_NS6_12zip_iteratorINS7_INS6_11hip_rocprim26transform_input_iterator_tIbNSD_35transform_pair_of_input_iterators_tIbNS6_6detail15normal_iteratorINS6_10device_ptrIKxEEEESL_NS6_8equal_toIxEEEENSG_9not_fun_tINSD_8identityEEEEENSD_19counting_iterator_tIlEES8_S8_S8_S8_S8_S8_S8_S8_EEEEPS9_S9_NSD_9__find_if7functorIS9_EEEE10hipError_tPvRmT1_T2_T3_mT4_P12ihipStream_tbEUlT_E1_NS1_11comp_targetILNS1_3genE0ELNS1_11target_archE4294967295ELNS1_3gpuE0ELNS1_3repE0EEENS1_30default_config_static_selectorELNS0_4arch9wavefront6targetE0EEEvS14_.has_recursion, 0
	.set _ZN7rocprim17ROCPRIM_400000_NS6detail17trampoline_kernelINS0_14default_configENS1_22reduce_config_selectorIN6thrust23THRUST_200600_302600_NS5tupleIblNS6_9null_typeES8_S8_S8_S8_S8_S8_S8_EEEEZNS1_11reduce_implILb1ES3_NS6_12zip_iteratorINS7_INS6_11hip_rocprim26transform_input_iterator_tIbNSD_35transform_pair_of_input_iterators_tIbNS6_6detail15normal_iteratorINS6_10device_ptrIKxEEEESL_NS6_8equal_toIxEEEENSG_9not_fun_tINSD_8identityEEEEENSD_19counting_iterator_tIlEES8_S8_S8_S8_S8_S8_S8_S8_EEEEPS9_S9_NSD_9__find_if7functorIS9_EEEE10hipError_tPvRmT1_T2_T3_mT4_P12ihipStream_tbEUlT_E1_NS1_11comp_targetILNS1_3genE0ELNS1_11target_archE4294967295ELNS1_3gpuE0ELNS1_3repE0EEENS1_30default_config_static_selectorELNS0_4arch9wavefront6targetE0EEEvS14_.has_indirect_call, 0
	.section	.AMDGPU.csdata,"",@progbits
; Kernel info:
; codeLenInByte = 13308
; TotalNumSgprs: 30
; NumVgprs: 36
; ScratchSize: 0
; MemoryBound: 0
; FloatMode: 240
; IeeeMode: 1
; LDSByteSize: 320 bytes/workgroup (compile time only)
; SGPRBlocks: 0
; VGPRBlocks: 2
; NumSGPRsForWavesPerEU: 30
; NumVGPRsForWavesPerEU: 36
; NamedBarCnt: 0
; Occupancy: 16
; WaveLimiterHint : 0
; COMPUTE_PGM_RSRC2:SCRATCH_EN: 0
; COMPUTE_PGM_RSRC2:USER_SGPR: 2
; COMPUTE_PGM_RSRC2:TRAP_HANDLER: 0
; COMPUTE_PGM_RSRC2:TGID_X_EN: 1
; COMPUTE_PGM_RSRC2:TGID_Y_EN: 0
; COMPUTE_PGM_RSRC2:TGID_Z_EN: 0
; COMPUTE_PGM_RSRC2:TIDIG_COMP_CNT: 0
	.section	.text._ZN7rocprim17ROCPRIM_400000_NS6detail17trampoline_kernelINS0_14default_configENS1_22reduce_config_selectorIN6thrust23THRUST_200600_302600_NS5tupleIblNS6_9null_typeES8_S8_S8_S8_S8_S8_S8_EEEEZNS1_11reduce_implILb1ES3_NS6_12zip_iteratorINS7_INS6_11hip_rocprim26transform_input_iterator_tIbNSD_35transform_pair_of_input_iterators_tIbNS6_6detail15normal_iteratorINS6_10device_ptrIKxEEEESL_NS6_8equal_toIxEEEENSG_9not_fun_tINSD_8identityEEEEENSD_19counting_iterator_tIlEES8_S8_S8_S8_S8_S8_S8_S8_EEEEPS9_S9_NSD_9__find_if7functorIS9_EEEE10hipError_tPvRmT1_T2_T3_mT4_P12ihipStream_tbEUlT_E1_NS1_11comp_targetILNS1_3genE5ELNS1_11target_archE942ELNS1_3gpuE9ELNS1_3repE0EEENS1_30default_config_static_selectorELNS0_4arch9wavefront6targetE0EEEvS14_,"axG",@progbits,_ZN7rocprim17ROCPRIM_400000_NS6detail17trampoline_kernelINS0_14default_configENS1_22reduce_config_selectorIN6thrust23THRUST_200600_302600_NS5tupleIblNS6_9null_typeES8_S8_S8_S8_S8_S8_S8_EEEEZNS1_11reduce_implILb1ES3_NS6_12zip_iteratorINS7_INS6_11hip_rocprim26transform_input_iterator_tIbNSD_35transform_pair_of_input_iterators_tIbNS6_6detail15normal_iteratorINS6_10device_ptrIKxEEEESL_NS6_8equal_toIxEEEENSG_9not_fun_tINSD_8identityEEEEENSD_19counting_iterator_tIlEES8_S8_S8_S8_S8_S8_S8_S8_EEEEPS9_S9_NSD_9__find_if7functorIS9_EEEE10hipError_tPvRmT1_T2_T3_mT4_P12ihipStream_tbEUlT_E1_NS1_11comp_targetILNS1_3genE5ELNS1_11target_archE942ELNS1_3gpuE9ELNS1_3repE0EEENS1_30default_config_static_selectorELNS0_4arch9wavefront6targetE0EEEvS14_,comdat
	.protected	_ZN7rocprim17ROCPRIM_400000_NS6detail17trampoline_kernelINS0_14default_configENS1_22reduce_config_selectorIN6thrust23THRUST_200600_302600_NS5tupleIblNS6_9null_typeES8_S8_S8_S8_S8_S8_S8_EEEEZNS1_11reduce_implILb1ES3_NS6_12zip_iteratorINS7_INS6_11hip_rocprim26transform_input_iterator_tIbNSD_35transform_pair_of_input_iterators_tIbNS6_6detail15normal_iteratorINS6_10device_ptrIKxEEEESL_NS6_8equal_toIxEEEENSG_9not_fun_tINSD_8identityEEEEENSD_19counting_iterator_tIlEES8_S8_S8_S8_S8_S8_S8_S8_EEEEPS9_S9_NSD_9__find_if7functorIS9_EEEE10hipError_tPvRmT1_T2_T3_mT4_P12ihipStream_tbEUlT_E1_NS1_11comp_targetILNS1_3genE5ELNS1_11target_archE942ELNS1_3gpuE9ELNS1_3repE0EEENS1_30default_config_static_selectorELNS0_4arch9wavefront6targetE0EEEvS14_ ; -- Begin function _ZN7rocprim17ROCPRIM_400000_NS6detail17trampoline_kernelINS0_14default_configENS1_22reduce_config_selectorIN6thrust23THRUST_200600_302600_NS5tupleIblNS6_9null_typeES8_S8_S8_S8_S8_S8_S8_EEEEZNS1_11reduce_implILb1ES3_NS6_12zip_iteratorINS7_INS6_11hip_rocprim26transform_input_iterator_tIbNSD_35transform_pair_of_input_iterators_tIbNS6_6detail15normal_iteratorINS6_10device_ptrIKxEEEESL_NS6_8equal_toIxEEEENSG_9not_fun_tINSD_8identityEEEEENSD_19counting_iterator_tIlEES8_S8_S8_S8_S8_S8_S8_S8_EEEEPS9_S9_NSD_9__find_if7functorIS9_EEEE10hipError_tPvRmT1_T2_T3_mT4_P12ihipStream_tbEUlT_E1_NS1_11comp_targetILNS1_3genE5ELNS1_11target_archE942ELNS1_3gpuE9ELNS1_3repE0EEENS1_30default_config_static_selectorELNS0_4arch9wavefront6targetE0EEEvS14_
	.globl	_ZN7rocprim17ROCPRIM_400000_NS6detail17trampoline_kernelINS0_14default_configENS1_22reduce_config_selectorIN6thrust23THRUST_200600_302600_NS5tupleIblNS6_9null_typeES8_S8_S8_S8_S8_S8_S8_EEEEZNS1_11reduce_implILb1ES3_NS6_12zip_iteratorINS7_INS6_11hip_rocprim26transform_input_iterator_tIbNSD_35transform_pair_of_input_iterators_tIbNS6_6detail15normal_iteratorINS6_10device_ptrIKxEEEESL_NS6_8equal_toIxEEEENSG_9not_fun_tINSD_8identityEEEEENSD_19counting_iterator_tIlEES8_S8_S8_S8_S8_S8_S8_S8_EEEEPS9_S9_NSD_9__find_if7functorIS9_EEEE10hipError_tPvRmT1_T2_T3_mT4_P12ihipStream_tbEUlT_E1_NS1_11comp_targetILNS1_3genE5ELNS1_11target_archE942ELNS1_3gpuE9ELNS1_3repE0EEENS1_30default_config_static_selectorELNS0_4arch9wavefront6targetE0EEEvS14_
	.p2align	8
	.type	_ZN7rocprim17ROCPRIM_400000_NS6detail17trampoline_kernelINS0_14default_configENS1_22reduce_config_selectorIN6thrust23THRUST_200600_302600_NS5tupleIblNS6_9null_typeES8_S8_S8_S8_S8_S8_S8_EEEEZNS1_11reduce_implILb1ES3_NS6_12zip_iteratorINS7_INS6_11hip_rocprim26transform_input_iterator_tIbNSD_35transform_pair_of_input_iterators_tIbNS6_6detail15normal_iteratorINS6_10device_ptrIKxEEEESL_NS6_8equal_toIxEEEENSG_9not_fun_tINSD_8identityEEEEENSD_19counting_iterator_tIlEES8_S8_S8_S8_S8_S8_S8_S8_EEEEPS9_S9_NSD_9__find_if7functorIS9_EEEE10hipError_tPvRmT1_T2_T3_mT4_P12ihipStream_tbEUlT_E1_NS1_11comp_targetILNS1_3genE5ELNS1_11target_archE942ELNS1_3gpuE9ELNS1_3repE0EEENS1_30default_config_static_selectorELNS0_4arch9wavefront6targetE0EEEvS14_,@function
_ZN7rocprim17ROCPRIM_400000_NS6detail17trampoline_kernelINS0_14default_configENS1_22reduce_config_selectorIN6thrust23THRUST_200600_302600_NS5tupleIblNS6_9null_typeES8_S8_S8_S8_S8_S8_S8_EEEEZNS1_11reduce_implILb1ES3_NS6_12zip_iteratorINS7_INS6_11hip_rocprim26transform_input_iterator_tIbNSD_35transform_pair_of_input_iterators_tIbNS6_6detail15normal_iteratorINS6_10device_ptrIKxEEEESL_NS6_8equal_toIxEEEENSG_9not_fun_tINSD_8identityEEEEENSD_19counting_iterator_tIlEES8_S8_S8_S8_S8_S8_S8_S8_EEEEPS9_S9_NSD_9__find_if7functorIS9_EEEE10hipError_tPvRmT1_T2_T3_mT4_P12ihipStream_tbEUlT_E1_NS1_11comp_targetILNS1_3genE5ELNS1_11target_archE942ELNS1_3gpuE9ELNS1_3repE0EEENS1_30default_config_static_selectorELNS0_4arch9wavefront6targetE0EEEvS14_: ; @_ZN7rocprim17ROCPRIM_400000_NS6detail17trampoline_kernelINS0_14default_configENS1_22reduce_config_selectorIN6thrust23THRUST_200600_302600_NS5tupleIblNS6_9null_typeES8_S8_S8_S8_S8_S8_S8_EEEEZNS1_11reduce_implILb1ES3_NS6_12zip_iteratorINS7_INS6_11hip_rocprim26transform_input_iterator_tIbNSD_35transform_pair_of_input_iterators_tIbNS6_6detail15normal_iteratorINS6_10device_ptrIKxEEEESL_NS6_8equal_toIxEEEENSG_9not_fun_tINSD_8identityEEEEENSD_19counting_iterator_tIlEES8_S8_S8_S8_S8_S8_S8_S8_EEEEPS9_S9_NSD_9__find_if7functorIS9_EEEE10hipError_tPvRmT1_T2_T3_mT4_P12ihipStream_tbEUlT_E1_NS1_11comp_targetILNS1_3genE5ELNS1_11target_archE942ELNS1_3gpuE9ELNS1_3repE0EEENS1_30default_config_static_selectorELNS0_4arch9wavefront6targetE0EEEvS14_
; %bb.0:
	.section	.rodata,"a",@progbits
	.p2align	6, 0x0
	.amdhsa_kernel _ZN7rocprim17ROCPRIM_400000_NS6detail17trampoline_kernelINS0_14default_configENS1_22reduce_config_selectorIN6thrust23THRUST_200600_302600_NS5tupleIblNS6_9null_typeES8_S8_S8_S8_S8_S8_S8_EEEEZNS1_11reduce_implILb1ES3_NS6_12zip_iteratorINS7_INS6_11hip_rocprim26transform_input_iterator_tIbNSD_35transform_pair_of_input_iterators_tIbNS6_6detail15normal_iteratorINS6_10device_ptrIKxEEEESL_NS6_8equal_toIxEEEENSG_9not_fun_tINSD_8identityEEEEENSD_19counting_iterator_tIlEES8_S8_S8_S8_S8_S8_S8_S8_EEEEPS9_S9_NSD_9__find_if7functorIS9_EEEE10hipError_tPvRmT1_T2_T3_mT4_P12ihipStream_tbEUlT_E1_NS1_11comp_targetILNS1_3genE5ELNS1_11target_archE942ELNS1_3gpuE9ELNS1_3repE0EEENS1_30default_config_static_selectorELNS0_4arch9wavefront6targetE0EEEvS14_
		.amdhsa_group_segment_fixed_size 0
		.amdhsa_private_segment_fixed_size 0
		.amdhsa_kernarg_size 88
		.amdhsa_user_sgpr_count 2
		.amdhsa_user_sgpr_dispatch_ptr 0
		.amdhsa_user_sgpr_queue_ptr 0
		.amdhsa_user_sgpr_kernarg_segment_ptr 1
		.amdhsa_user_sgpr_dispatch_id 0
		.amdhsa_user_sgpr_kernarg_preload_length 0
		.amdhsa_user_sgpr_kernarg_preload_offset 0
		.amdhsa_user_sgpr_private_segment_size 0
		.amdhsa_wavefront_size32 1
		.amdhsa_uses_dynamic_stack 0
		.amdhsa_enable_private_segment 0
		.amdhsa_system_sgpr_workgroup_id_x 1
		.amdhsa_system_sgpr_workgroup_id_y 0
		.amdhsa_system_sgpr_workgroup_id_z 0
		.amdhsa_system_sgpr_workgroup_info 0
		.amdhsa_system_vgpr_workitem_id 0
		.amdhsa_next_free_vgpr 1
		.amdhsa_next_free_sgpr 1
		.amdhsa_named_barrier_count 0
		.amdhsa_reserve_vcc 0
		.amdhsa_float_round_mode_32 0
		.amdhsa_float_round_mode_16_64 0
		.amdhsa_float_denorm_mode_32 3
		.amdhsa_float_denorm_mode_16_64 3
		.amdhsa_fp16_overflow 0
		.amdhsa_memory_ordered 1
		.amdhsa_forward_progress 1
		.amdhsa_inst_pref_size 0
		.amdhsa_round_robin_scheduling 0
		.amdhsa_exception_fp_ieee_invalid_op 0
		.amdhsa_exception_fp_denorm_src 0
		.amdhsa_exception_fp_ieee_div_zero 0
		.amdhsa_exception_fp_ieee_overflow 0
		.amdhsa_exception_fp_ieee_underflow 0
		.amdhsa_exception_fp_ieee_inexact 0
		.amdhsa_exception_int_div_zero 0
	.end_amdhsa_kernel
	.section	.text._ZN7rocprim17ROCPRIM_400000_NS6detail17trampoline_kernelINS0_14default_configENS1_22reduce_config_selectorIN6thrust23THRUST_200600_302600_NS5tupleIblNS6_9null_typeES8_S8_S8_S8_S8_S8_S8_EEEEZNS1_11reduce_implILb1ES3_NS6_12zip_iteratorINS7_INS6_11hip_rocprim26transform_input_iterator_tIbNSD_35transform_pair_of_input_iterators_tIbNS6_6detail15normal_iteratorINS6_10device_ptrIKxEEEESL_NS6_8equal_toIxEEEENSG_9not_fun_tINSD_8identityEEEEENSD_19counting_iterator_tIlEES8_S8_S8_S8_S8_S8_S8_S8_EEEEPS9_S9_NSD_9__find_if7functorIS9_EEEE10hipError_tPvRmT1_T2_T3_mT4_P12ihipStream_tbEUlT_E1_NS1_11comp_targetILNS1_3genE5ELNS1_11target_archE942ELNS1_3gpuE9ELNS1_3repE0EEENS1_30default_config_static_selectorELNS0_4arch9wavefront6targetE0EEEvS14_,"axG",@progbits,_ZN7rocprim17ROCPRIM_400000_NS6detail17trampoline_kernelINS0_14default_configENS1_22reduce_config_selectorIN6thrust23THRUST_200600_302600_NS5tupleIblNS6_9null_typeES8_S8_S8_S8_S8_S8_S8_EEEEZNS1_11reduce_implILb1ES3_NS6_12zip_iteratorINS7_INS6_11hip_rocprim26transform_input_iterator_tIbNSD_35transform_pair_of_input_iterators_tIbNS6_6detail15normal_iteratorINS6_10device_ptrIKxEEEESL_NS6_8equal_toIxEEEENSG_9not_fun_tINSD_8identityEEEEENSD_19counting_iterator_tIlEES8_S8_S8_S8_S8_S8_S8_S8_EEEEPS9_S9_NSD_9__find_if7functorIS9_EEEE10hipError_tPvRmT1_T2_T3_mT4_P12ihipStream_tbEUlT_E1_NS1_11comp_targetILNS1_3genE5ELNS1_11target_archE942ELNS1_3gpuE9ELNS1_3repE0EEENS1_30default_config_static_selectorELNS0_4arch9wavefront6targetE0EEEvS14_,comdat
.Lfunc_end235:
	.size	_ZN7rocprim17ROCPRIM_400000_NS6detail17trampoline_kernelINS0_14default_configENS1_22reduce_config_selectorIN6thrust23THRUST_200600_302600_NS5tupleIblNS6_9null_typeES8_S8_S8_S8_S8_S8_S8_EEEEZNS1_11reduce_implILb1ES3_NS6_12zip_iteratorINS7_INS6_11hip_rocprim26transform_input_iterator_tIbNSD_35transform_pair_of_input_iterators_tIbNS6_6detail15normal_iteratorINS6_10device_ptrIKxEEEESL_NS6_8equal_toIxEEEENSG_9not_fun_tINSD_8identityEEEEENSD_19counting_iterator_tIlEES8_S8_S8_S8_S8_S8_S8_S8_EEEEPS9_S9_NSD_9__find_if7functorIS9_EEEE10hipError_tPvRmT1_T2_T3_mT4_P12ihipStream_tbEUlT_E1_NS1_11comp_targetILNS1_3genE5ELNS1_11target_archE942ELNS1_3gpuE9ELNS1_3repE0EEENS1_30default_config_static_selectorELNS0_4arch9wavefront6targetE0EEEvS14_, .Lfunc_end235-_ZN7rocprim17ROCPRIM_400000_NS6detail17trampoline_kernelINS0_14default_configENS1_22reduce_config_selectorIN6thrust23THRUST_200600_302600_NS5tupleIblNS6_9null_typeES8_S8_S8_S8_S8_S8_S8_EEEEZNS1_11reduce_implILb1ES3_NS6_12zip_iteratorINS7_INS6_11hip_rocprim26transform_input_iterator_tIbNSD_35transform_pair_of_input_iterators_tIbNS6_6detail15normal_iteratorINS6_10device_ptrIKxEEEESL_NS6_8equal_toIxEEEENSG_9not_fun_tINSD_8identityEEEEENSD_19counting_iterator_tIlEES8_S8_S8_S8_S8_S8_S8_S8_EEEEPS9_S9_NSD_9__find_if7functorIS9_EEEE10hipError_tPvRmT1_T2_T3_mT4_P12ihipStream_tbEUlT_E1_NS1_11comp_targetILNS1_3genE5ELNS1_11target_archE942ELNS1_3gpuE9ELNS1_3repE0EEENS1_30default_config_static_selectorELNS0_4arch9wavefront6targetE0EEEvS14_
                                        ; -- End function
	.set _ZN7rocprim17ROCPRIM_400000_NS6detail17trampoline_kernelINS0_14default_configENS1_22reduce_config_selectorIN6thrust23THRUST_200600_302600_NS5tupleIblNS6_9null_typeES8_S8_S8_S8_S8_S8_S8_EEEEZNS1_11reduce_implILb1ES3_NS6_12zip_iteratorINS7_INS6_11hip_rocprim26transform_input_iterator_tIbNSD_35transform_pair_of_input_iterators_tIbNS6_6detail15normal_iteratorINS6_10device_ptrIKxEEEESL_NS6_8equal_toIxEEEENSG_9not_fun_tINSD_8identityEEEEENSD_19counting_iterator_tIlEES8_S8_S8_S8_S8_S8_S8_S8_EEEEPS9_S9_NSD_9__find_if7functorIS9_EEEE10hipError_tPvRmT1_T2_T3_mT4_P12ihipStream_tbEUlT_E1_NS1_11comp_targetILNS1_3genE5ELNS1_11target_archE942ELNS1_3gpuE9ELNS1_3repE0EEENS1_30default_config_static_selectorELNS0_4arch9wavefront6targetE0EEEvS14_.num_vgpr, 0
	.set _ZN7rocprim17ROCPRIM_400000_NS6detail17trampoline_kernelINS0_14default_configENS1_22reduce_config_selectorIN6thrust23THRUST_200600_302600_NS5tupleIblNS6_9null_typeES8_S8_S8_S8_S8_S8_S8_EEEEZNS1_11reduce_implILb1ES3_NS6_12zip_iteratorINS7_INS6_11hip_rocprim26transform_input_iterator_tIbNSD_35transform_pair_of_input_iterators_tIbNS6_6detail15normal_iteratorINS6_10device_ptrIKxEEEESL_NS6_8equal_toIxEEEENSG_9not_fun_tINSD_8identityEEEEENSD_19counting_iterator_tIlEES8_S8_S8_S8_S8_S8_S8_S8_EEEEPS9_S9_NSD_9__find_if7functorIS9_EEEE10hipError_tPvRmT1_T2_T3_mT4_P12ihipStream_tbEUlT_E1_NS1_11comp_targetILNS1_3genE5ELNS1_11target_archE942ELNS1_3gpuE9ELNS1_3repE0EEENS1_30default_config_static_selectorELNS0_4arch9wavefront6targetE0EEEvS14_.num_agpr, 0
	.set _ZN7rocprim17ROCPRIM_400000_NS6detail17trampoline_kernelINS0_14default_configENS1_22reduce_config_selectorIN6thrust23THRUST_200600_302600_NS5tupleIblNS6_9null_typeES8_S8_S8_S8_S8_S8_S8_EEEEZNS1_11reduce_implILb1ES3_NS6_12zip_iteratorINS7_INS6_11hip_rocprim26transform_input_iterator_tIbNSD_35transform_pair_of_input_iterators_tIbNS6_6detail15normal_iteratorINS6_10device_ptrIKxEEEESL_NS6_8equal_toIxEEEENSG_9not_fun_tINSD_8identityEEEEENSD_19counting_iterator_tIlEES8_S8_S8_S8_S8_S8_S8_S8_EEEEPS9_S9_NSD_9__find_if7functorIS9_EEEE10hipError_tPvRmT1_T2_T3_mT4_P12ihipStream_tbEUlT_E1_NS1_11comp_targetILNS1_3genE5ELNS1_11target_archE942ELNS1_3gpuE9ELNS1_3repE0EEENS1_30default_config_static_selectorELNS0_4arch9wavefront6targetE0EEEvS14_.numbered_sgpr, 0
	.set _ZN7rocprim17ROCPRIM_400000_NS6detail17trampoline_kernelINS0_14default_configENS1_22reduce_config_selectorIN6thrust23THRUST_200600_302600_NS5tupleIblNS6_9null_typeES8_S8_S8_S8_S8_S8_S8_EEEEZNS1_11reduce_implILb1ES3_NS6_12zip_iteratorINS7_INS6_11hip_rocprim26transform_input_iterator_tIbNSD_35transform_pair_of_input_iterators_tIbNS6_6detail15normal_iteratorINS6_10device_ptrIKxEEEESL_NS6_8equal_toIxEEEENSG_9not_fun_tINSD_8identityEEEEENSD_19counting_iterator_tIlEES8_S8_S8_S8_S8_S8_S8_S8_EEEEPS9_S9_NSD_9__find_if7functorIS9_EEEE10hipError_tPvRmT1_T2_T3_mT4_P12ihipStream_tbEUlT_E1_NS1_11comp_targetILNS1_3genE5ELNS1_11target_archE942ELNS1_3gpuE9ELNS1_3repE0EEENS1_30default_config_static_selectorELNS0_4arch9wavefront6targetE0EEEvS14_.num_named_barrier, 0
	.set _ZN7rocprim17ROCPRIM_400000_NS6detail17trampoline_kernelINS0_14default_configENS1_22reduce_config_selectorIN6thrust23THRUST_200600_302600_NS5tupleIblNS6_9null_typeES8_S8_S8_S8_S8_S8_S8_EEEEZNS1_11reduce_implILb1ES3_NS6_12zip_iteratorINS7_INS6_11hip_rocprim26transform_input_iterator_tIbNSD_35transform_pair_of_input_iterators_tIbNS6_6detail15normal_iteratorINS6_10device_ptrIKxEEEESL_NS6_8equal_toIxEEEENSG_9not_fun_tINSD_8identityEEEEENSD_19counting_iterator_tIlEES8_S8_S8_S8_S8_S8_S8_S8_EEEEPS9_S9_NSD_9__find_if7functorIS9_EEEE10hipError_tPvRmT1_T2_T3_mT4_P12ihipStream_tbEUlT_E1_NS1_11comp_targetILNS1_3genE5ELNS1_11target_archE942ELNS1_3gpuE9ELNS1_3repE0EEENS1_30default_config_static_selectorELNS0_4arch9wavefront6targetE0EEEvS14_.private_seg_size, 0
	.set _ZN7rocprim17ROCPRIM_400000_NS6detail17trampoline_kernelINS0_14default_configENS1_22reduce_config_selectorIN6thrust23THRUST_200600_302600_NS5tupleIblNS6_9null_typeES8_S8_S8_S8_S8_S8_S8_EEEEZNS1_11reduce_implILb1ES3_NS6_12zip_iteratorINS7_INS6_11hip_rocprim26transform_input_iterator_tIbNSD_35transform_pair_of_input_iterators_tIbNS6_6detail15normal_iteratorINS6_10device_ptrIKxEEEESL_NS6_8equal_toIxEEEENSG_9not_fun_tINSD_8identityEEEEENSD_19counting_iterator_tIlEES8_S8_S8_S8_S8_S8_S8_S8_EEEEPS9_S9_NSD_9__find_if7functorIS9_EEEE10hipError_tPvRmT1_T2_T3_mT4_P12ihipStream_tbEUlT_E1_NS1_11comp_targetILNS1_3genE5ELNS1_11target_archE942ELNS1_3gpuE9ELNS1_3repE0EEENS1_30default_config_static_selectorELNS0_4arch9wavefront6targetE0EEEvS14_.uses_vcc, 0
	.set _ZN7rocprim17ROCPRIM_400000_NS6detail17trampoline_kernelINS0_14default_configENS1_22reduce_config_selectorIN6thrust23THRUST_200600_302600_NS5tupleIblNS6_9null_typeES8_S8_S8_S8_S8_S8_S8_EEEEZNS1_11reduce_implILb1ES3_NS6_12zip_iteratorINS7_INS6_11hip_rocprim26transform_input_iterator_tIbNSD_35transform_pair_of_input_iterators_tIbNS6_6detail15normal_iteratorINS6_10device_ptrIKxEEEESL_NS6_8equal_toIxEEEENSG_9not_fun_tINSD_8identityEEEEENSD_19counting_iterator_tIlEES8_S8_S8_S8_S8_S8_S8_S8_EEEEPS9_S9_NSD_9__find_if7functorIS9_EEEE10hipError_tPvRmT1_T2_T3_mT4_P12ihipStream_tbEUlT_E1_NS1_11comp_targetILNS1_3genE5ELNS1_11target_archE942ELNS1_3gpuE9ELNS1_3repE0EEENS1_30default_config_static_selectorELNS0_4arch9wavefront6targetE0EEEvS14_.uses_flat_scratch, 0
	.set _ZN7rocprim17ROCPRIM_400000_NS6detail17trampoline_kernelINS0_14default_configENS1_22reduce_config_selectorIN6thrust23THRUST_200600_302600_NS5tupleIblNS6_9null_typeES8_S8_S8_S8_S8_S8_S8_EEEEZNS1_11reduce_implILb1ES3_NS6_12zip_iteratorINS7_INS6_11hip_rocprim26transform_input_iterator_tIbNSD_35transform_pair_of_input_iterators_tIbNS6_6detail15normal_iteratorINS6_10device_ptrIKxEEEESL_NS6_8equal_toIxEEEENSG_9not_fun_tINSD_8identityEEEEENSD_19counting_iterator_tIlEES8_S8_S8_S8_S8_S8_S8_S8_EEEEPS9_S9_NSD_9__find_if7functorIS9_EEEE10hipError_tPvRmT1_T2_T3_mT4_P12ihipStream_tbEUlT_E1_NS1_11comp_targetILNS1_3genE5ELNS1_11target_archE942ELNS1_3gpuE9ELNS1_3repE0EEENS1_30default_config_static_selectorELNS0_4arch9wavefront6targetE0EEEvS14_.has_dyn_sized_stack, 0
	.set _ZN7rocprim17ROCPRIM_400000_NS6detail17trampoline_kernelINS0_14default_configENS1_22reduce_config_selectorIN6thrust23THRUST_200600_302600_NS5tupleIblNS6_9null_typeES8_S8_S8_S8_S8_S8_S8_EEEEZNS1_11reduce_implILb1ES3_NS6_12zip_iteratorINS7_INS6_11hip_rocprim26transform_input_iterator_tIbNSD_35transform_pair_of_input_iterators_tIbNS6_6detail15normal_iteratorINS6_10device_ptrIKxEEEESL_NS6_8equal_toIxEEEENSG_9not_fun_tINSD_8identityEEEEENSD_19counting_iterator_tIlEES8_S8_S8_S8_S8_S8_S8_S8_EEEEPS9_S9_NSD_9__find_if7functorIS9_EEEE10hipError_tPvRmT1_T2_T3_mT4_P12ihipStream_tbEUlT_E1_NS1_11comp_targetILNS1_3genE5ELNS1_11target_archE942ELNS1_3gpuE9ELNS1_3repE0EEENS1_30default_config_static_selectorELNS0_4arch9wavefront6targetE0EEEvS14_.has_recursion, 0
	.set _ZN7rocprim17ROCPRIM_400000_NS6detail17trampoline_kernelINS0_14default_configENS1_22reduce_config_selectorIN6thrust23THRUST_200600_302600_NS5tupleIblNS6_9null_typeES8_S8_S8_S8_S8_S8_S8_EEEEZNS1_11reduce_implILb1ES3_NS6_12zip_iteratorINS7_INS6_11hip_rocprim26transform_input_iterator_tIbNSD_35transform_pair_of_input_iterators_tIbNS6_6detail15normal_iteratorINS6_10device_ptrIKxEEEESL_NS6_8equal_toIxEEEENSG_9not_fun_tINSD_8identityEEEEENSD_19counting_iterator_tIlEES8_S8_S8_S8_S8_S8_S8_S8_EEEEPS9_S9_NSD_9__find_if7functorIS9_EEEE10hipError_tPvRmT1_T2_T3_mT4_P12ihipStream_tbEUlT_E1_NS1_11comp_targetILNS1_3genE5ELNS1_11target_archE942ELNS1_3gpuE9ELNS1_3repE0EEENS1_30default_config_static_selectorELNS0_4arch9wavefront6targetE0EEEvS14_.has_indirect_call, 0
	.section	.AMDGPU.csdata,"",@progbits
; Kernel info:
; codeLenInByte = 0
; TotalNumSgprs: 0
; NumVgprs: 0
; ScratchSize: 0
; MemoryBound: 0
; FloatMode: 240
; IeeeMode: 1
; LDSByteSize: 0 bytes/workgroup (compile time only)
; SGPRBlocks: 0
; VGPRBlocks: 0
; NumSGPRsForWavesPerEU: 1
; NumVGPRsForWavesPerEU: 1
; NamedBarCnt: 0
; Occupancy: 16
; WaveLimiterHint : 0
; COMPUTE_PGM_RSRC2:SCRATCH_EN: 0
; COMPUTE_PGM_RSRC2:USER_SGPR: 2
; COMPUTE_PGM_RSRC2:TRAP_HANDLER: 0
; COMPUTE_PGM_RSRC2:TGID_X_EN: 1
; COMPUTE_PGM_RSRC2:TGID_Y_EN: 0
; COMPUTE_PGM_RSRC2:TGID_Z_EN: 0
; COMPUTE_PGM_RSRC2:TIDIG_COMP_CNT: 0
	.section	.text._ZN7rocprim17ROCPRIM_400000_NS6detail17trampoline_kernelINS0_14default_configENS1_22reduce_config_selectorIN6thrust23THRUST_200600_302600_NS5tupleIblNS6_9null_typeES8_S8_S8_S8_S8_S8_S8_EEEEZNS1_11reduce_implILb1ES3_NS6_12zip_iteratorINS7_INS6_11hip_rocprim26transform_input_iterator_tIbNSD_35transform_pair_of_input_iterators_tIbNS6_6detail15normal_iteratorINS6_10device_ptrIKxEEEESL_NS6_8equal_toIxEEEENSG_9not_fun_tINSD_8identityEEEEENSD_19counting_iterator_tIlEES8_S8_S8_S8_S8_S8_S8_S8_EEEEPS9_S9_NSD_9__find_if7functorIS9_EEEE10hipError_tPvRmT1_T2_T3_mT4_P12ihipStream_tbEUlT_E1_NS1_11comp_targetILNS1_3genE4ELNS1_11target_archE910ELNS1_3gpuE8ELNS1_3repE0EEENS1_30default_config_static_selectorELNS0_4arch9wavefront6targetE0EEEvS14_,"axG",@progbits,_ZN7rocprim17ROCPRIM_400000_NS6detail17trampoline_kernelINS0_14default_configENS1_22reduce_config_selectorIN6thrust23THRUST_200600_302600_NS5tupleIblNS6_9null_typeES8_S8_S8_S8_S8_S8_S8_EEEEZNS1_11reduce_implILb1ES3_NS6_12zip_iteratorINS7_INS6_11hip_rocprim26transform_input_iterator_tIbNSD_35transform_pair_of_input_iterators_tIbNS6_6detail15normal_iteratorINS6_10device_ptrIKxEEEESL_NS6_8equal_toIxEEEENSG_9not_fun_tINSD_8identityEEEEENSD_19counting_iterator_tIlEES8_S8_S8_S8_S8_S8_S8_S8_EEEEPS9_S9_NSD_9__find_if7functorIS9_EEEE10hipError_tPvRmT1_T2_T3_mT4_P12ihipStream_tbEUlT_E1_NS1_11comp_targetILNS1_3genE4ELNS1_11target_archE910ELNS1_3gpuE8ELNS1_3repE0EEENS1_30default_config_static_selectorELNS0_4arch9wavefront6targetE0EEEvS14_,comdat
	.protected	_ZN7rocprim17ROCPRIM_400000_NS6detail17trampoline_kernelINS0_14default_configENS1_22reduce_config_selectorIN6thrust23THRUST_200600_302600_NS5tupleIblNS6_9null_typeES8_S8_S8_S8_S8_S8_S8_EEEEZNS1_11reduce_implILb1ES3_NS6_12zip_iteratorINS7_INS6_11hip_rocprim26transform_input_iterator_tIbNSD_35transform_pair_of_input_iterators_tIbNS6_6detail15normal_iteratorINS6_10device_ptrIKxEEEESL_NS6_8equal_toIxEEEENSG_9not_fun_tINSD_8identityEEEEENSD_19counting_iterator_tIlEES8_S8_S8_S8_S8_S8_S8_S8_EEEEPS9_S9_NSD_9__find_if7functorIS9_EEEE10hipError_tPvRmT1_T2_T3_mT4_P12ihipStream_tbEUlT_E1_NS1_11comp_targetILNS1_3genE4ELNS1_11target_archE910ELNS1_3gpuE8ELNS1_3repE0EEENS1_30default_config_static_selectorELNS0_4arch9wavefront6targetE0EEEvS14_ ; -- Begin function _ZN7rocprim17ROCPRIM_400000_NS6detail17trampoline_kernelINS0_14default_configENS1_22reduce_config_selectorIN6thrust23THRUST_200600_302600_NS5tupleIblNS6_9null_typeES8_S8_S8_S8_S8_S8_S8_EEEEZNS1_11reduce_implILb1ES3_NS6_12zip_iteratorINS7_INS6_11hip_rocprim26transform_input_iterator_tIbNSD_35transform_pair_of_input_iterators_tIbNS6_6detail15normal_iteratorINS6_10device_ptrIKxEEEESL_NS6_8equal_toIxEEEENSG_9not_fun_tINSD_8identityEEEEENSD_19counting_iterator_tIlEES8_S8_S8_S8_S8_S8_S8_S8_EEEEPS9_S9_NSD_9__find_if7functorIS9_EEEE10hipError_tPvRmT1_T2_T3_mT4_P12ihipStream_tbEUlT_E1_NS1_11comp_targetILNS1_3genE4ELNS1_11target_archE910ELNS1_3gpuE8ELNS1_3repE0EEENS1_30default_config_static_selectorELNS0_4arch9wavefront6targetE0EEEvS14_
	.globl	_ZN7rocprim17ROCPRIM_400000_NS6detail17trampoline_kernelINS0_14default_configENS1_22reduce_config_selectorIN6thrust23THRUST_200600_302600_NS5tupleIblNS6_9null_typeES8_S8_S8_S8_S8_S8_S8_EEEEZNS1_11reduce_implILb1ES3_NS6_12zip_iteratorINS7_INS6_11hip_rocprim26transform_input_iterator_tIbNSD_35transform_pair_of_input_iterators_tIbNS6_6detail15normal_iteratorINS6_10device_ptrIKxEEEESL_NS6_8equal_toIxEEEENSG_9not_fun_tINSD_8identityEEEEENSD_19counting_iterator_tIlEES8_S8_S8_S8_S8_S8_S8_S8_EEEEPS9_S9_NSD_9__find_if7functorIS9_EEEE10hipError_tPvRmT1_T2_T3_mT4_P12ihipStream_tbEUlT_E1_NS1_11comp_targetILNS1_3genE4ELNS1_11target_archE910ELNS1_3gpuE8ELNS1_3repE0EEENS1_30default_config_static_selectorELNS0_4arch9wavefront6targetE0EEEvS14_
	.p2align	8
	.type	_ZN7rocprim17ROCPRIM_400000_NS6detail17trampoline_kernelINS0_14default_configENS1_22reduce_config_selectorIN6thrust23THRUST_200600_302600_NS5tupleIblNS6_9null_typeES8_S8_S8_S8_S8_S8_S8_EEEEZNS1_11reduce_implILb1ES3_NS6_12zip_iteratorINS7_INS6_11hip_rocprim26transform_input_iterator_tIbNSD_35transform_pair_of_input_iterators_tIbNS6_6detail15normal_iteratorINS6_10device_ptrIKxEEEESL_NS6_8equal_toIxEEEENSG_9not_fun_tINSD_8identityEEEEENSD_19counting_iterator_tIlEES8_S8_S8_S8_S8_S8_S8_S8_EEEEPS9_S9_NSD_9__find_if7functorIS9_EEEE10hipError_tPvRmT1_T2_T3_mT4_P12ihipStream_tbEUlT_E1_NS1_11comp_targetILNS1_3genE4ELNS1_11target_archE910ELNS1_3gpuE8ELNS1_3repE0EEENS1_30default_config_static_selectorELNS0_4arch9wavefront6targetE0EEEvS14_,@function
_ZN7rocprim17ROCPRIM_400000_NS6detail17trampoline_kernelINS0_14default_configENS1_22reduce_config_selectorIN6thrust23THRUST_200600_302600_NS5tupleIblNS6_9null_typeES8_S8_S8_S8_S8_S8_S8_EEEEZNS1_11reduce_implILb1ES3_NS6_12zip_iteratorINS7_INS6_11hip_rocprim26transform_input_iterator_tIbNSD_35transform_pair_of_input_iterators_tIbNS6_6detail15normal_iteratorINS6_10device_ptrIKxEEEESL_NS6_8equal_toIxEEEENSG_9not_fun_tINSD_8identityEEEEENSD_19counting_iterator_tIlEES8_S8_S8_S8_S8_S8_S8_S8_EEEEPS9_S9_NSD_9__find_if7functorIS9_EEEE10hipError_tPvRmT1_T2_T3_mT4_P12ihipStream_tbEUlT_E1_NS1_11comp_targetILNS1_3genE4ELNS1_11target_archE910ELNS1_3gpuE8ELNS1_3repE0EEENS1_30default_config_static_selectorELNS0_4arch9wavefront6targetE0EEEvS14_: ; @_ZN7rocprim17ROCPRIM_400000_NS6detail17trampoline_kernelINS0_14default_configENS1_22reduce_config_selectorIN6thrust23THRUST_200600_302600_NS5tupleIblNS6_9null_typeES8_S8_S8_S8_S8_S8_S8_EEEEZNS1_11reduce_implILb1ES3_NS6_12zip_iteratorINS7_INS6_11hip_rocprim26transform_input_iterator_tIbNSD_35transform_pair_of_input_iterators_tIbNS6_6detail15normal_iteratorINS6_10device_ptrIKxEEEESL_NS6_8equal_toIxEEEENSG_9not_fun_tINSD_8identityEEEEENSD_19counting_iterator_tIlEES8_S8_S8_S8_S8_S8_S8_S8_EEEEPS9_S9_NSD_9__find_if7functorIS9_EEEE10hipError_tPvRmT1_T2_T3_mT4_P12ihipStream_tbEUlT_E1_NS1_11comp_targetILNS1_3genE4ELNS1_11target_archE910ELNS1_3gpuE8ELNS1_3repE0EEENS1_30default_config_static_selectorELNS0_4arch9wavefront6targetE0EEEvS14_
; %bb.0:
	.section	.rodata,"a",@progbits
	.p2align	6, 0x0
	.amdhsa_kernel _ZN7rocprim17ROCPRIM_400000_NS6detail17trampoline_kernelINS0_14default_configENS1_22reduce_config_selectorIN6thrust23THRUST_200600_302600_NS5tupleIblNS6_9null_typeES8_S8_S8_S8_S8_S8_S8_EEEEZNS1_11reduce_implILb1ES3_NS6_12zip_iteratorINS7_INS6_11hip_rocprim26transform_input_iterator_tIbNSD_35transform_pair_of_input_iterators_tIbNS6_6detail15normal_iteratorINS6_10device_ptrIKxEEEESL_NS6_8equal_toIxEEEENSG_9not_fun_tINSD_8identityEEEEENSD_19counting_iterator_tIlEES8_S8_S8_S8_S8_S8_S8_S8_EEEEPS9_S9_NSD_9__find_if7functorIS9_EEEE10hipError_tPvRmT1_T2_T3_mT4_P12ihipStream_tbEUlT_E1_NS1_11comp_targetILNS1_3genE4ELNS1_11target_archE910ELNS1_3gpuE8ELNS1_3repE0EEENS1_30default_config_static_selectorELNS0_4arch9wavefront6targetE0EEEvS14_
		.amdhsa_group_segment_fixed_size 0
		.amdhsa_private_segment_fixed_size 0
		.amdhsa_kernarg_size 88
		.amdhsa_user_sgpr_count 2
		.amdhsa_user_sgpr_dispatch_ptr 0
		.amdhsa_user_sgpr_queue_ptr 0
		.amdhsa_user_sgpr_kernarg_segment_ptr 1
		.amdhsa_user_sgpr_dispatch_id 0
		.amdhsa_user_sgpr_kernarg_preload_length 0
		.amdhsa_user_sgpr_kernarg_preload_offset 0
		.amdhsa_user_sgpr_private_segment_size 0
		.amdhsa_wavefront_size32 1
		.amdhsa_uses_dynamic_stack 0
		.amdhsa_enable_private_segment 0
		.amdhsa_system_sgpr_workgroup_id_x 1
		.amdhsa_system_sgpr_workgroup_id_y 0
		.amdhsa_system_sgpr_workgroup_id_z 0
		.amdhsa_system_sgpr_workgroup_info 0
		.amdhsa_system_vgpr_workitem_id 0
		.amdhsa_next_free_vgpr 1
		.amdhsa_next_free_sgpr 1
		.amdhsa_named_barrier_count 0
		.amdhsa_reserve_vcc 0
		.amdhsa_float_round_mode_32 0
		.amdhsa_float_round_mode_16_64 0
		.amdhsa_float_denorm_mode_32 3
		.amdhsa_float_denorm_mode_16_64 3
		.amdhsa_fp16_overflow 0
		.amdhsa_memory_ordered 1
		.amdhsa_forward_progress 1
		.amdhsa_inst_pref_size 0
		.amdhsa_round_robin_scheduling 0
		.amdhsa_exception_fp_ieee_invalid_op 0
		.amdhsa_exception_fp_denorm_src 0
		.amdhsa_exception_fp_ieee_div_zero 0
		.amdhsa_exception_fp_ieee_overflow 0
		.amdhsa_exception_fp_ieee_underflow 0
		.amdhsa_exception_fp_ieee_inexact 0
		.amdhsa_exception_int_div_zero 0
	.end_amdhsa_kernel
	.section	.text._ZN7rocprim17ROCPRIM_400000_NS6detail17trampoline_kernelINS0_14default_configENS1_22reduce_config_selectorIN6thrust23THRUST_200600_302600_NS5tupleIblNS6_9null_typeES8_S8_S8_S8_S8_S8_S8_EEEEZNS1_11reduce_implILb1ES3_NS6_12zip_iteratorINS7_INS6_11hip_rocprim26transform_input_iterator_tIbNSD_35transform_pair_of_input_iterators_tIbNS6_6detail15normal_iteratorINS6_10device_ptrIKxEEEESL_NS6_8equal_toIxEEEENSG_9not_fun_tINSD_8identityEEEEENSD_19counting_iterator_tIlEES8_S8_S8_S8_S8_S8_S8_S8_EEEEPS9_S9_NSD_9__find_if7functorIS9_EEEE10hipError_tPvRmT1_T2_T3_mT4_P12ihipStream_tbEUlT_E1_NS1_11comp_targetILNS1_3genE4ELNS1_11target_archE910ELNS1_3gpuE8ELNS1_3repE0EEENS1_30default_config_static_selectorELNS0_4arch9wavefront6targetE0EEEvS14_,"axG",@progbits,_ZN7rocprim17ROCPRIM_400000_NS6detail17trampoline_kernelINS0_14default_configENS1_22reduce_config_selectorIN6thrust23THRUST_200600_302600_NS5tupleIblNS6_9null_typeES8_S8_S8_S8_S8_S8_S8_EEEEZNS1_11reduce_implILb1ES3_NS6_12zip_iteratorINS7_INS6_11hip_rocprim26transform_input_iterator_tIbNSD_35transform_pair_of_input_iterators_tIbNS6_6detail15normal_iteratorINS6_10device_ptrIKxEEEESL_NS6_8equal_toIxEEEENSG_9not_fun_tINSD_8identityEEEEENSD_19counting_iterator_tIlEES8_S8_S8_S8_S8_S8_S8_S8_EEEEPS9_S9_NSD_9__find_if7functorIS9_EEEE10hipError_tPvRmT1_T2_T3_mT4_P12ihipStream_tbEUlT_E1_NS1_11comp_targetILNS1_3genE4ELNS1_11target_archE910ELNS1_3gpuE8ELNS1_3repE0EEENS1_30default_config_static_selectorELNS0_4arch9wavefront6targetE0EEEvS14_,comdat
.Lfunc_end236:
	.size	_ZN7rocprim17ROCPRIM_400000_NS6detail17trampoline_kernelINS0_14default_configENS1_22reduce_config_selectorIN6thrust23THRUST_200600_302600_NS5tupleIblNS6_9null_typeES8_S8_S8_S8_S8_S8_S8_EEEEZNS1_11reduce_implILb1ES3_NS6_12zip_iteratorINS7_INS6_11hip_rocprim26transform_input_iterator_tIbNSD_35transform_pair_of_input_iterators_tIbNS6_6detail15normal_iteratorINS6_10device_ptrIKxEEEESL_NS6_8equal_toIxEEEENSG_9not_fun_tINSD_8identityEEEEENSD_19counting_iterator_tIlEES8_S8_S8_S8_S8_S8_S8_S8_EEEEPS9_S9_NSD_9__find_if7functorIS9_EEEE10hipError_tPvRmT1_T2_T3_mT4_P12ihipStream_tbEUlT_E1_NS1_11comp_targetILNS1_3genE4ELNS1_11target_archE910ELNS1_3gpuE8ELNS1_3repE0EEENS1_30default_config_static_selectorELNS0_4arch9wavefront6targetE0EEEvS14_, .Lfunc_end236-_ZN7rocprim17ROCPRIM_400000_NS6detail17trampoline_kernelINS0_14default_configENS1_22reduce_config_selectorIN6thrust23THRUST_200600_302600_NS5tupleIblNS6_9null_typeES8_S8_S8_S8_S8_S8_S8_EEEEZNS1_11reduce_implILb1ES3_NS6_12zip_iteratorINS7_INS6_11hip_rocprim26transform_input_iterator_tIbNSD_35transform_pair_of_input_iterators_tIbNS6_6detail15normal_iteratorINS6_10device_ptrIKxEEEESL_NS6_8equal_toIxEEEENSG_9not_fun_tINSD_8identityEEEEENSD_19counting_iterator_tIlEES8_S8_S8_S8_S8_S8_S8_S8_EEEEPS9_S9_NSD_9__find_if7functorIS9_EEEE10hipError_tPvRmT1_T2_T3_mT4_P12ihipStream_tbEUlT_E1_NS1_11comp_targetILNS1_3genE4ELNS1_11target_archE910ELNS1_3gpuE8ELNS1_3repE0EEENS1_30default_config_static_selectorELNS0_4arch9wavefront6targetE0EEEvS14_
                                        ; -- End function
	.set _ZN7rocprim17ROCPRIM_400000_NS6detail17trampoline_kernelINS0_14default_configENS1_22reduce_config_selectorIN6thrust23THRUST_200600_302600_NS5tupleIblNS6_9null_typeES8_S8_S8_S8_S8_S8_S8_EEEEZNS1_11reduce_implILb1ES3_NS6_12zip_iteratorINS7_INS6_11hip_rocprim26transform_input_iterator_tIbNSD_35transform_pair_of_input_iterators_tIbNS6_6detail15normal_iteratorINS6_10device_ptrIKxEEEESL_NS6_8equal_toIxEEEENSG_9not_fun_tINSD_8identityEEEEENSD_19counting_iterator_tIlEES8_S8_S8_S8_S8_S8_S8_S8_EEEEPS9_S9_NSD_9__find_if7functorIS9_EEEE10hipError_tPvRmT1_T2_T3_mT4_P12ihipStream_tbEUlT_E1_NS1_11comp_targetILNS1_3genE4ELNS1_11target_archE910ELNS1_3gpuE8ELNS1_3repE0EEENS1_30default_config_static_selectorELNS0_4arch9wavefront6targetE0EEEvS14_.num_vgpr, 0
	.set _ZN7rocprim17ROCPRIM_400000_NS6detail17trampoline_kernelINS0_14default_configENS1_22reduce_config_selectorIN6thrust23THRUST_200600_302600_NS5tupleIblNS6_9null_typeES8_S8_S8_S8_S8_S8_S8_EEEEZNS1_11reduce_implILb1ES3_NS6_12zip_iteratorINS7_INS6_11hip_rocprim26transform_input_iterator_tIbNSD_35transform_pair_of_input_iterators_tIbNS6_6detail15normal_iteratorINS6_10device_ptrIKxEEEESL_NS6_8equal_toIxEEEENSG_9not_fun_tINSD_8identityEEEEENSD_19counting_iterator_tIlEES8_S8_S8_S8_S8_S8_S8_S8_EEEEPS9_S9_NSD_9__find_if7functorIS9_EEEE10hipError_tPvRmT1_T2_T3_mT4_P12ihipStream_tbEUlT_E1_NS1_11comp_targetILNS1_3genE4ELNS1_11target_archE910ELNS1_3gpuE8ELNS1_3repE0EEENS1_30default_config_static_selectorELNS0_4arch9wavefront6targetE0EEEvS14_.num_agpr, 0
	.set _ZN7rocprim17ROCPRIM_400000_NS6detail17trampoline_kernelINS0_14default_configENS1_22reduce_config_selectorIN6thrust23THRUST_200600_302600_NS5tupleIblNS6_9null_typeES8_S8_S8_S8_S8_S8_S8_EEEEZNS1_11reduce_implILb1ES3_NS6_12zip_iteratorINS7_INS6_11hip_rocprim26transform_input_iterator_tIbNSD_35transform_pair_of_input_iterators_tIbNS6_6detail15normal_iteratorINS6_10device_ptrIKxEEEESL_NS6_8equal_toIxEEEENSG_9not_fun_tINSD_8identityEEEEENSD_19counting_iterator_tIlEES8_S8_S8_S8_S8_S8_S8_S8_EEEEPS9_S9_NSD_9__find_if7functorIS9_EEEE10hipError_tPvRmT1_T2_T3_mT4_P12ihipStream_tbEUlT_E1_NS1_11comp_targetILNS1_3genE4ELNS1_11target_archE910ELNS1_3gpuE8ELNS1_3repE0EEENS1_30default_config_static_selectorELNS0_4arch9wavefront6targetE0EEEvS14_.numbered_sgpr, 0
	.set _ZN7rocprim17ROCPRIM_400000_NS6detail17trampoline_kernelINS0_14default_configENS1_22reduce_config_selectorIN6thrust23THRUST_200600_302600_NS5tupleIblNS6_9null_typeES8_S8_S8_S8_S8_S8_S8_EEEEZNS1_11reduce_implILb1ES3_NS6_12zip_iteratorINS7_INS6_11hip_rocprim26transform_input_iterator_tIbNSD_35transform_pair_of_input_iterators_tIbNS6_6detail15normal_iteratorINS6_10device_ptrIKxEEEESL_NS6_8equal_toIxEEEENSG_9not_fun_tINSD_8identityEEEEENSD_19counting_iterator_tIlEES8_S8_S8_S8_S8_S8_S8_S8_EEEEPS9_S9_NSD_9__find_if7functorIS9_EEEE10hipError_tPvRmT1_T2_T3_mT4_P12ihipStream_tbEUlT_E1_NS1_11comp_targetILNS1_3genE4ELNS1_11target_archE910ELNS1_3gpuE8ELNS1_3repE0EEENS1_30default_config_static_selectorELNS0_4arch9wavefront6targetE0EEEvS14_.num_named_barrier, 0
	.set _ZN7rocprim17ROCPRIM_400000_NS6detail17trampoline_kernelINS0_14default_configENS1_22reduce_config_selectorIN6thrust23THRUST_200600_302600_NS5tupleIblNS6_9null_typeES8_S8_S8_S8_S8_S8_S8_EEEEZNS1_11reduce_implILb1ES3_NS6_12zip_iteratorINS7_INS6_11hip_rocprim26transform_input_iterator_tIbNSD_35transform_pair_of_input_iterators_tIbNS6_6detail15normal_iteratorINS6_10device_ptrIKxEEEESL_NS6_8equal_toIxEEEENSG_9not_fun_tINSD_8identityEEEEENSD_19counting_iterator_tIlEES8_S8_S8_S8_S8_S8_S8_S8_EEEEPS9_S9_NSD_9__find_if7functorIS9_EEEE10hipError_tPvRmT1_T2_T3_mT4_P12ihipStream_tbEUlT_E1_NS1_11comp_targetILNS1_3genE4ELNS1_11target_archE910ELNS1_3gpuE8ELNS1_3repE0EEENS1_30default_config_static_selectorELNS0_4arch9wavefront6targetE0EEEvS14_.private_seg_size, 0
	.set _ZN7rocprim17ROCPRIM_400000_NS6detail17trampoline_kernelINS0_14default_configENS1_22reduce_config_selectorIN6thrust23THRUST_200600_302600_NS5tupleIblNS6_9null_typeES8_S8_S8_S8_S8_S8_S8_EEEEZNS1_11reduce_implILb1ES3_NS6_12zip_iteratorINS7_INS6_11hip_rocprim26transform_input_iterator_tIbNSD_35transform_pair_of_input_iterators_tIbNS6_6detail15normal_iteratorINS6_10device_ptrIKxEEEESL_NS6_8equal_toIxEEEENSG_9not_fun_tINSD_8identityEEEEENSD_19counting_iterator_tIlEES8_S8_S8_S8_S8_S8_S8_S8_EEEEPS9_S9_NSD_9__find_if7functorIS9_EEEE10hipError_tPvRmT1_T2_T3_mT4_P12ihipStream_tbEUlT_E1_NS1_11comp_targetILNS1_3genE4ELNS1_11target_archE910ELNS1_3gpuE8ELNS1_3repE0EEENS1_30default_config_static_selectorELNS0_4arch9wavefront6targetE0EEEvS14_.uses_vcc, 0
	.set _ZN7rocprim17ROCPRIM_400000_NS6detail17trampoline_kernelINS0_14default_configENS1_22reduce_config_selectorIN6thrust23THRUST_200600_302600_NS5tupleIblNS6_9null_typeES8_S8_S8_S8_S8_S8_S8_EEEEZNS1_11reduce_implILb1ES3_NS6_12zip_iteratorINS7_INS6_11hip_rocprim26transform_input_iterator_tIbNSD_35transform_pair_of_input_iterators_tIbNS6_6detail15normal_iteratorINS6_10device_ptrIKxEEEESL_NS6_8equal_toIxEEEENSG_9not_fun_tINSD_8identityEEEEENSD_19counting_iterator_tIlEES8_S8_S8_S8_S8_S8_S8_S8_EEEEPS9_S9_NSD_9__find_if7functorIS9_EEEE10hipError_tPvRmT1_T2_T3_mT4_P12ihipStream_tbEUlT_E1_NS1_11comp_targetILNS1_3genE4ELNS1_11target_archE910ELNS1_3gpuE8ELNS1_3repE0EEENS1_30default_config_static_selectorELNS0_4arch9wavefront6targetE0EEEvS14_.uses_flat_scratch, 0
	.set _ZN7rocprim17ROCPRIM_400000_NS6detail17trampoline_kernelINS0_14default_configENS1_22reduce_config_selectorIN6thrust23THRUST_200600_302600_NS5tupleIblNS6_9null_typeES8_S8_S8_S8_S8_S8_S8_EEEEZNS1_11reduce_implILb1ES3_NS6_12zip_iteratorINS7_INS6_11hip_rocprim26transform_input_iterator_tIbNSD_35transform_pair_of_input_iterators_tIbNS6_6detail15normal_iteratorINS6_10device_ptrIKxEEEESL_NS6_8equal_toIxEEEENSG_9not_fun_tINSD_8identityEEEEENSD_19counting_iterator_tIlEES8_S8_S8_S8_S8_S8_S8_S8_EEEEPS9_S9_NSD_9__find_if7functorIS9_EEEE10hipError_tPvRmT1_T2_T3_mT4_P12ihipStream_tbEUlT_E1_NS1_11comp_targetILNS1_3genE4ELNS1_11target_archE910ELNS1_3gpuE8ELNS1_3repE0EEENS1_30default_config_static_selectorELNS0_4arch9wavefront6targetE0EEEvS14_.has_dyn_sized_stack, 0
	.set _ZN7rocprim17ROCPRIM_400000_NS6detail17trampoline_kernelINS0_14default_configENS1_22reduce_config_selectorIN6thrust23THRUST_200600_302600_NS5tupleIblNS6_9null_typeES8_S8_S8_S8_S8_S8_S8_EEEEZNS1_11reduce_implILb1ES3_NS6_12zip_iteratorINS7_INS6_11hip_rocprim26transform_input_iterator_tIbNSD_35transform_pair_of_input_iterators_tIbNS6_6detail15normal_iteratorINS6_10device_ptrIKxEEEESL_NS6_8equal_toIxEEEENSG_9not_fun_tINSD_8identityEEEEENSD_19counting_iterator_tIlEES8_S8_S8_S8_S8_S8_S8_S8_EEEEPS9_S9_NSD_9__find_if7functorIS9_EEEE10hipError_tPvRmT1_T2_T3_mT4_P12ihipStream_tbEUlT_E1_NS1_11comp_targetILNS1_3genE4ELNS1_11target_archE910ELNS1_3gpuE8ELNS1_3repE0EEENS1_30default_config_static_selectorELNS0_4arch9wavefront6targetE0EEEvS14_.has_recursion, 0
	.set _ZN7rocprim17ROCPRIM_400000_NS6detail17trampoline_kernelINS0_14default_configENS1_22reduce_config_selectorIN6thrust23THRUST_200600_302600_NS5tupleIblNS6_9null_typeES8_S8_S8_S8_S8_S8_S8_EEEEZNS1_11reduce_implILb1ES3_NS6_12zip_iteratorINS7_INS6_11hip_rocprim26transform_input_iterator_tIbNSD_35transform_pair_of_input_iterators_tIbNS6_6detail15normal_iteratorINS6_10device_ptrIKxEEEESL_NS6_8equal_toIxEEEENSG_9not_fun_tINSD_8identityEEEEENSD_19counting_iterator_tIlEES8_S8_S8_S8_S8_S8_S8_S8_EEEEPS9_S9_NSD_9__find_if7functorIS9_EEEE10hipError_tPvRmT1_T2_T3_mT4_P12ihipStream_tbEUlT_E1_NS1_11comp_targetILNS1_3genE4ELNS1_11target_archE910ELNS1_3gpuE8ELNS1_3repE0EEENS1_30default_config_static_selectorELNS0_4arch9wavefront6targetE0EEEvS14_.has_indirect_call, 0
	.section	.AMDGPU.csdata,"",@progbits
; Kernel info:
; codeLenInByte = 0
; TotalNumSgprs: 0
; NumVgprs: 0
; ScratchSize: 0
; MemoryBound: 0
; FloatMode: 240
; IeeeMode: 1
; LDSByteSize: 0 bytes/workgroup (compile time only)
; SGPRBlocks: 0
; VGPRBlocks: 0
; NumSGPRsForWavesPerEU: 1
; NumVGPRsForWavesPerEU: 1
; NamedBarCnt: 0
; Occupancy: 16
; WaveLimiterHint : 0
; COMPUTE_PGM_RSRC2:SCRATCH_EN: 0
; COMPUTE_PGM_RSRC2:USER_SGPR: 2
; COMPUTE_PGM_RSRC2:TRAP_HANDLER: 0
; COMPUTE_PGM_RSRC2:TGID_X_EN: 1
; COMPUTE_PGM_RSRC2:TGID_Y_EN: 0
; COMPUTE_PGM_RSRC2:TGID_Z_EN: 0
; COMPUTE_PGM_RSRC2:TIDIG_COMP_CNT: 0
	.section	.text._ZN7rocprim17ROCPRIM_400000_NS6detail17trampoline_kernelINS0_14default_configENS1_22reduce_config_selectorIN6thrust23THRUST_200600_302600_NS5tupleIblNS6_9null_typeES8_S8_S8_S8_S8_S8_S8_EEEEZNS1_11reduce_implILb1ES3_NS6_12zip_iteratorINS7_INS6_11hip_rocprim26transform_input_iterator_tIbNSD_35transform_pair_of_input_iterators_tIbNS6_6detail15normal_iteratorINS6_10device_ptrIKxEEEESL_NS6_8equal_toIxEEEENSG_9not_fun_tINSD_8identityEEEEENSD_19counting_iterator_tIlEES8_S8_S8_S8_S8_S8_S8_S8_EEEEPS9_S9_NSD_9__find_if7functorIS9_EEEE10hipError_tPvRmT1_T2_T3_mT4_P12ihipStream_tbEUlT_E1_NS1_11comp_targetILNS1_3genE3ELNS1_11target_archE908ELNS1_3gpuE7ELNS1_3repE0EEENS1_30default_config_static_selectorELNS0_4arch9wavefront6targetE0EEEvS14_,"axG",@progbits,_ZN7rocprim17ROCPRIM_400000_NS6detail17trampoline_kernelINS0_14default_configENS1_22reduce_config_selectorIN6thrust23THRUST_200600_302600_NS5tupleIblNS6_9null_typeES8_S8_S8_S8_S8_S8_S8_EEEEZNS1_11reduce_implILb1ES3_NS6_12zip_iteratorINS7_INS6_11hip_rocprim26transform_input_iterator_tIbNSD_35transform_pair_of_input_iterators_tIbNS6_6detail15normal_iteratorINS6_10device_ptrIKxEEEESL_NS6_8equal_toIxEEEENSG_9not_fun_tINSD_8identityEEEEENSD_19counting_iterator_tIlEES8_S8_S8_S8_S8_S8_S8_S8_EEEEPS9_S9_NSD_9__find_if7functorIS9_EEEE10hipError_tPvRmT1_T2_T3_mT4_P12ihipStream_tbEUlT_E1_NS1_11comp_targetILNS1_3genE3ELNS1_11target_archE908ELNS1_3gpuE7ELNS1_3repE0EEENS1_30default_config_static_selectorELNS0_4arch9wavefront6targetE0EEEvS14_,comdat
	.protected	_ZN7rocprim17ROCPRIM_400000_NS6detail17trampoline_kernelINS0_14default_configENS1_22reduce_config_selectorIN6thrust23THRUST_200600_302600_NS5tupleIblNS6_9null_typeES8_S8_S8_S8_S8_S8_S8_EEEEZNS1_11reduce_implILb1ES3_NS6_12zip_iteratorINS7_INS6_11hip_rocprim26transform_input_iterator_tIbNSD_35transform_pair_of_input_iterators_tIbNS6_6detail15normal_iteratorINS6_10device_ptrIKxEEEESL_NS6_8equal_toIxEEEENSG_9not_fun_tINSD_8identityEEEEENSD_19counting_iterator_tIlEES8_S8_S8_S8_S8_S8_S8_S8_EEEEPS9_S9_NSD_9__find_if7functorIS9_EEEE10hipError_tPvRmT1_T2_T3_mT4_P12ihipStream_tbEUlT_E1_NS1_11comp_targetILNS1_3genE3ELNS1_11target_archE908ELNS1_3gpuE7ELNS1_3repE0EEENS1_30default_config_static_selectorELNS0_4arch9wavefront6targetE0EEEvS14_ ; -- Begin function _ZN7rocprim17ROCPRIM_400000_NS6detail17trampoline_kernelINS0_14default_configENS1_22reduce_config_selectorIN6thrust23THRUST_200600_302600_NS5tupleIblNS6_9null_typeES8_S8_S8_S8_S8_S8_S8_EEEEZNS1_11reduce_implILb1ES3_NS6_12zip_iteratorINS7_INS6_11hip_rocprim26transform_input_iterator_tIbNSD_35transform_pair_of_input_iterators_tIbNS6_6detail15normal_iteratorINS6_10device_ptrIKxEEEESL_NS6_8equal_toIxEEEENSG_9not_fun_tINSD_8identityEEEEENSD_19counting_iterator_tIlEES8_S8_S8_S8_S8_S8_S8_S8_EEEEPS9_S9_NSD_9__find_if7functorIS9_EEEE10hipError_tPvRmT1_T2_T3_mT4_P12ihipStream_tbEUlT_E1_NS1_11comp_targetILNS1_3genE3ELNS1_11target_archE908ELNS1_3gpuE7ELNS1_3repE0EEENS1_30default_config_static_selectorELNS0_4arch9wavefront6targetE0EEEvS14_
	.globl	_ZN7rocprim17ROCPRIM_400000_NS6detail17trampoline_kernelINS0_14default_configENS1_22reduce_config_selectorIN6thrust23THRUST_200600_302600_NS5tupleIblNS6_9null_typeES8_S8_S8_S8_S8_S8_S8_EEEEZNS1_11reduce_implILb1ES3_NS6_12zip_iteratorINS7_INS6_11hip_rocprim26transform_input_iterator_tIbNSD_35transform_pair_of_input_iterators_tIbNS6_6detail15normal_iteratorINS6_10device_ptrIKxEEEESL_NS6_8equal_toIxEEEENSG_9not_fun_tINSD_8identityEEEEENSD_19counting_iterator_tIlEES8_S8_S8_S8_S8_S8_S8_S8_EEEEPS9_S9_NSD_9__find_if7functorIS9_EEEE10hipError_tPvRmT1_T2_T3_mT4_P12ihipStream_tbEUlT_E1_NS1_11comp_targetILNS1_3genE3ELNS1_11target_archE908ELNS1_3gpuE7ELNS1_3repE0EEENS1_30default_config_static_selectorELNS0_4arch9wavefront6targetE0EEEvS14_
	.p2align	8
	.type	_ZN7rocprim17ROCPRIM_400000_NS6detail17trampoline_kernelINS0_14default_configENS1_22reduce_config_selectorIN6thrust23THRUST_200600_302600_NS5tupleIblNS6_9null_typeES8_S8_S8_S8_S8_S8_S8_EEEEZNS1_11reduce_implILb1ES3_NS6_12zip_iteratorINS7_INS6_11hip_rocprim26transform_input_iterator_tIbNSD_35transform_pair_of_input_iterators_tIbNS6_6detail15normal_iteratorINS6_10device_ptrIKxEEEESL_NS6_8equal_toIxEEEENSG_9not_fun_tINSD_8identityEEEEENSD_19counting_iterator_tIlEES8_S8_S8_S8_S8_S8_S8_S8_EEEEPS9_S9_NSD_9__find_if7functorIS9_EEEE10hipError_tPvRmT1_T2_T3_mT4_P12ihipStream_tbEUlT_E1_NS1_11comp_targetILNS1_3genE3ELNS1_11target_archE908ELNS1_3gpuE7ELNS1_3repE0EEENS1_30default_config_static_selectorELNS0_4arch9wavefront6targetE0EEEvS14_,@function
_ZN7rocprim17ROCPRIM_400000_NS6detail17trampoline_kernelINS0_14default_configENS1_22reduce_config_selectorIN6thrust23THRUST_200600_302600_NS5tupleIblNS6_9null_typeES8_S8_S8_S8_S8_S8_S8_EEEEZNS1_11reduce_implILb1ES3_NS6_12zip_iteratorINS7_INS6_11hip_rocprim26transform_input_iterator_tIbNSD_35transform_pair_of_input_iterators_tIbNS6_6detail15normal_iteratorINS6_10device_ptrIKxEEEESL_NS6_8equal_toIxEEEENSG_9not_fun_tINSD_8identityEEEEENSD_19counting_iterator_tIlEES8_S8_S8_S8_S8_S8_S8_S8_EEEEPS9_S9_NSD_9__find_if7functorIS9_EEEE10hipError_tPvRmT1_T2_T3_mT4_P12ihipStream_tbEUlT_E1_NS1_11comp_targetILNS1_3genE3ELNS1_11target_archE908ELNS1_3gpuE7ELNS1_3repE0EEENS1_30default_config_static_selectorELNS0_4arch9wavefront6targetE0EEEvS14_: ; @_ZN7rocprim17ROCPRIM_400000_NS6detail17trampoline_kernelINS0_14default_configENS1_22reduce_config_selectorIN6thrust23THRUST_200600_302600_NS5tupleIblNS6_9null_typeES8_S8_S8_S8_S8_S8_S8_EEEEZNS1_11reduce_implILb1ES3_NS6_12zip_iteratorINS7_INS6_11hip_rocprim26transform_input_iterator_tIbNSD_35transform_pair_of_input_iterators_tIbNS6_6detail15normal_iteratorINS6_10device_ptrIKxEEEESL_NS6_8equal_toIxEEEENSG_9not_fun_tINSD_8identityEEEEENSD_19counting_iterator_tIlEES8_S8_S8_S8_S8_S8_S8_S8_EEEEPS9_S9_NSD_9__find_if7functorIS9_EEEE10hipError_tPvRmT1_T2_T3_mT4_P12ihipStream_tbEUlT_E1_NS1_11comp_targetILNS1_3genE3ELNS1_11target_archE908ELNS1_3gpuE7ELNS1_3repE0EEENS1_30default_config_static_selectorELNS0_4arch9wavefront6targetE0EEEvS14_
; %bb.0:
	.section	.rodata,"a",@progbits
	.p2align	6, 0x0
	.amdhsa_kernel _ZN7rocprim17ROCPRIM_400000_NS6detail17trampoline_kernelINS0_14default_configENS1_22reduce_config_selectorIN6thrust23THRUST_200600_302600_NS5tupleIblNS6_9null_typeES8_S8_S8_S8_S8_S8_S8_EEEEZNS1_11reduce_implILb1ES3_NS6_12zip_iteratorINS7_INS6_11hip_rocprim26transform_input_iterator_tIbNSD_35transform_pair_of_input_iterators_tIbNS6_6detail15normal_iteratorINS6_10device_ptrIKxEEEESL_NS6_8equal_toIxEEEENSG_9not_fun_tINSD_8identityEEEEENSD_19counting_iterator_tIlEES8_S8_S8_S8_S8_S8_S8_S8_EEEEPS9_S9_NSD_9__find_if7functorIS9_EEEE10hipError_tPvRmT1_T2_T3_mT4_P12ihipStream_tbEUlT_E1_NS1_11comp_targetILNS1_3genE3ELNS1_11target_archE908ELNS1_3gpuE7ELNS1_3repE0EEENS1_30default_config_static_selectorELNS0_4arch9wavefront6targetE0EEEvS14_
		.amdhsa_group_segment_fixed_size 0
		.amdhsa_private_segment_fixed_size 0
		.amdhsa_kernarg_size 88
		.amdhsa_user_sgpr_count 2
		.amdhsa_user_sgpr_dispatch_ptr 0
		.amdhsa_user_sgpr_queue_ptr 0
		.amdhsa_user_sgpr_kernarg_segment_ptr 1
		.amdhsa_user_sgpr_dispatch_id 0
		.amdhsa_user_sgpr_kernarg_preload_length 0
		.amdhsa_user_sgpr_kernarg_preload_offset 0
		.amdhsa_user_sgpr_private_segment_size 0
		.amdhsa_wavefront_size32 1
		.amdhsa_uses_dynamic_stack 0
		.amdhsa_enable_private_segment 0
		.amdhsa_system_sgpr_workgroup_id_x 1
		.amdhsa_system_sgpr_workgroup_id_y 0
		.amdhsa_system_sgpr_workgroup_id_z 0
		.amdhsa_system_sgpr_workgroup_info 0
		.amdhsa_system_vgpr_workitem_id 0
		.amdhsa_next_free_vgpr 1
		.amdhsa_next_free_sgpr 1
		.amdhsa_named_barrier_count 0
		.amdhsa_reserve_vcc 0
		.amdhsa_float_round_mode_32 0
		.amdhsa_float_round_mode_16_64 0
		.amdhsa_float_denorm_mode_32 3
		.amdhsa_float_denorm_mode_16_64 3
		.amdhsa_fp16_overflow 0
		.amdhsa_memory_ordered 1
		.amdhsa_forward_progress 1
		.amdhsa_inst_pref_size 0
		.amdhsa_round_robin_scheduling 0
		.amdhsa_exception_fp_ieee_invalid_op 0
		.amdhsa_exception_fp_denorm_src 0
		.amdhsa_exception_fp_ieee_div_zero 0
		.amdhsa_exception_fp_ieee_overflow 0
		.amdhsa_exception_fp_ieee_underflow 0
		.amdhsa_exception_fp_ieee_inexact 0
		.amdhsa_exception_int_div_zero 0
	.end_amdhsa_kernel
	.section	.text._ZN7rocprim17ROCPRIM_400000_NS6detail17trampoline_kernelINS0_14default_configENS1_22reduce_config_selectorIN6thrust23THRUST_200600_302600_NS5tupleIblNS6_9null_typeES8_S8_S8_S8_S8_S8_S8_EEEEZNS1_11reduce_implILb1ES3_NS6_12zip_iteratorINS7_INS6_11hip_rocprim26transform_input_iterator_tIbNSD_35transform_pair_of_input_iterators_tIbNS6_6detail15normal_iteratorINS6_10device_ptrIKxEEEESL_NS6_8equal_toIxEEEENSG_9not_fun_tINSD_8identityEEEEENSD_19counting_iterator_tIlEES8_S8_S8_S8_S8_S8_S8_S8_EEEEPS9_S9_NSD_9__find_if7functorIS9_EEEE10hipError_tPvRmT1_T2_T3_mT4_P12ihipStream_tbEUlT_E1_NS1_11comp_targetILNS1_3genE3ELNS1_11target_archE908ELNS1_3gpuE7ELNS1_3repE0EEENS1_30default_config_static_selectorELNS0_4arch9wavefront6targetE0EEEvS14_,"axG",@progbits,_ZN7rocprim17ROCPRIM_400000_NS6detail17trampoline_kernelINS0_14default_configENS1_22reduce_config_selectorIN6thrust23THRUST_200600_302600_NS5tupleIblNS6_9null_typeES8_S8_S8_S8_S8_S8_S8_EEEEZNS1_11reduce_implILb1ES3_NS6_12zip_iteratorINS7_INS6_11hip_rocprim26transform_input_iterator_tIbNSD_35transform_pair_of_input_iterators_tIbNS6_6detail15normal_iteratorINS6_10device_ptrIKxEEEESL_NS6_8equal_toIxEEEENSG_9not_fun_tINSD_8identityEEEEENSD_19counting_iterator_tIlEES8_S8_S8_S8_S8_S8_S8_S8_EEEEPS9_S9_NSD_9__find_if7functorIS9_EEEE10hipError_tPvRmT1_T2_T3_mT4_P12ihipStream_tbEUlT_E1_NS1_11comp_targetILNS1_3genE3ELNS1_11target_archE908ELNS1_3gpuE7ELNS1_3repE0EEENS1_30default_config_static_selectorELNS0_4arch9wavefront6targetE0EEEvS14_,comdat
.Lfunc_end237:
	.size	_ZN7rocprim17ROCPRIM_400000_NS6detail17trampoline_kernelINS0_14default_configENS1_22reduce_config_selectorIN6thrust23THRUST_200600_302600_NS5tupleIblNS6_9null_typeES8_S8_S8_S8_S8_S8_S8_EEEEZNS1_11reduce_implILb1ES3_NS6_12zip_iteratorINS7_INS6_11hip_rocprim26transform_input_iterator_tIbNSD_35transform_pair_of_input_iterators_tIbNS6_6detail15normal_iteratorINS6_10device_ptrIKxEEEESL_NS6_8equal_toIxEEEENSG_9not_fun_tINSD_8identityEEEEENSD_19counting_iterator_tIlEES8_S8_S8_S8_S8_S8_S8_S8_EEEEPS9_S9_NSD_9__find_if7functorIS9_EEEE10hipError_tPvRmT1_T2_T3_mT4_P12ihipStream_tbEUlT_E1_NS1_11comp_targetILNS1_3genE3ELNS1_11target_archE908ELNS1_3gpuE7ELNS1_3repE0EEENS1_30default_config_static_selectorELNS0_4arch9wavefront6targetE0EEEvS14_, .Lfunc_end237-_ZN7rocprim17ROCPRIM_400000_NS6detail17trampoline_kernelINS0_14default_configENS1_22reduce_config_selectorIN6thrust23THRUST_200600_302600_NS5tupleIblNS6_9null_typeES8_S8_S8_S8_S8_S8_S8_EEEEZNS1_11reduce_implILb1ES3_NS6_12zip_iteratorINS7_INS6_11hip_rocprim26transform_input_iterator_tIbNSD_35transform_pair_of_input_iterators_tIbNS6_6detail15normal_iteratorINS6_10device_ptrIKxEEEESL_NS6_8equal_toIxEEEENSG_9not_fun_tINSD_8identityEEEEENSD_19counting_iterator_tIlEES8_S8_S8_S8_S8_S8_S8_S8_EEEEPS9_S9_NSD_9__find_if7functorIS9_EEEE10hipError_tPvRmT1_T2_T3_mT4_P12ihipStream_tbEUlT_E1_NS1_11comp_targetILNS1_3genE3ELNS1_11target_archE908ELNS1_3gpuE7ELNS1_3repE0EEENS1_30default_config_static_selectorELNS0_4arch9wavefront6targetE0EEEvS14_
                                        ; -- End function
	.set _ZN7rocprim17ROCPRIM_400000_NS6detail17trampoline_kernelINS0_14default_configENS1_22reduce_config_selectorIN6thrust23THRUST_200600_302600_NS5tupleIblNS6_9null_typeES8_S8_S8_S8_S8_S8_S8_EEEEZNS1_11reduce_implILb1ES3_NS6_12zip_iteratorINS7_INS6_11hip_rocprim26transform_input_iterator_tIbNSD_35transform_pair_of_input_iterators_tIbNS6_6detail15normal_iteratorINS6_10device_ptrIKxEEEESL_NS6_8equal_toIxEEEENSG_9not_fun_tINSD_8identityEEEEENSD_19counting_iterator_tIlEES8_S8_S8_S8_S8_S8_S8_S8_EEEEPS9_S9_NSD_9__find_if7functorIS9_EEEE10hipError_tPvRmT1_T2_T3_mT4_P12ihipStream_tbEUlT_E1_NS1_11comp_targetILNS1_3genE3ELNS1_11target_archE908ELNS1_3gpuE7ELNS1_3repE0EEENS1_30default_config_static_selectorELNS0_4arch9wavefront6targetE0EEEvS14_.num_vgpr, 0
	.set _ZN7rocprim17ROCPRIM_400000_NS6detail17trampoline_kernelINS0_14default_configENS1_22reduce_config_selectorIN6thrust23THRUST_200600_302600_NS5tupleIblNS6_9null_typeES8_S8_S8_S8_S8_S8_S8_EEEEZNS1_11reduce_implILb1ES3_NS6_12zip_iteratorINS7_INS6_11hip_rocprim26transform_input_iterator_tIbNSD_35transform_pair_of_input_iterators_tIbNS6_6detail15normal_iteratorINS6_10device_ptrIKxEEEESL_NS6_8equal_toIxEEEENSG_9not_fun_tINSD_8identityEEEEENSD_19counting_iterator_tIlEES8_S8_S8_S8_S8_S8_S8_S8_EEEEPS9_S9_NSD_9__find_if7functorIS9_EEEE10hipError_tPvRmT1_T2_T3_mT4_P12ihipStream_tbEUlT_E1_NS1_11comp_targetILNS1_3genE3ELNS1_11target_archE908ELNS1_3gpuE7ELNS1_3repE0EEENS1_30default_config_static_selectorELNS0_4arch9wavefront6targetE0EEEvS14_.num_agpr, 0
	.set _ZN7rocprim17ROCPRIM_400000_NS6detail17trampoline_kernelINS0_14default_configENS1_22reduce_config_selectorIN6thrust23THRUST_200600_302600_NS5tupleIblNS6_9null_typeES8_S8_S8_S8_S8_S8_S8_EEEEZNS1_11reduce_implILb1ES3_NS6_12zip_iteratorINS7_INS6_11hip_rocprim26transform_input_iterator_tIbNSD_35transform_pair_of_input_iterators_tIbNS6_6detail15normal_iteratorINS6_10device_ptrIKxEEEESL_NS6_8equal_toIxEEEENSG_9not_fun_tINSD_8identityEEEEENSD_19counting_iterator_tIlEES8_S8_S8_S8_S8_S8_S8_S8_EEEEPS9_S9_NSD_9__find_if7functorIS9_EEEE10hipError_tPvRmT1_T2_T3_mT4_P12ihipStream_tbEUlT_E1_NS1_11comp_targetILNS1_3genE3ELNS1_11target_archE908ELNS1_3gpuE7ELNS1_3repE0EEENS1_30default_config_static_selectorELNS0_4arch9wavefront6targetE0EEEvS14_.numbered_sgpr, 0
	.set _ZN7rocprim17ROCPRIM_400000_NS6detail17trampoline_kernelINS0_14default_configENS1_22reduce_config_selectorIN6thrust23THRUST_200600_302600_NS5tupleIblNS6_9null_typeES8_S8_S8_S8_S8_S8_S8_EEEEZNS1_11reduce_implILb1ES3_NS6_12zip_iteratorINS7_INS6_11hip_rocprim26transform_input_iterator_tIbNSD_35transform_pair_of_input_iterators_tIbNS6_6detail15normal_iteratorINS6_10device_ptrIKxEEEESL_NS6_8equal_toIxEEEENSG_9not_fun_tINSD_8identityEEEEENSD_19counting_iterator_tIlEES8_S8_S8_S8_S8_S8_S8_S8_EEEEPS9_S9_NSD_9__find_if7functorIS9_EEEE10hipError_tPvRmT1_T2_T3_mT4_P12ihipStream_tbEUlT_E1_NS1_11comp_targetILNS1_3genE3ELNS1_11target_archE908ELNS1_3gpuE7ELNS1_3repE0EEENS1_30default_config_static_selectorELNS0_4arch9wavefront6targetE0EEEvS14_.num_named_barrier, 0
	.set _ZN7rocprim17ROCPRIM_400000_NS6detail17trampoline_kernelINS0_14default_configENS1_22reduce_config_selectorIN6thrust23THRUST_200600_302600_NS5tupleIblNS6_9null_typeES8_S8_S8_S8_S8_S8_S8_EEEEZNS1_11reduce_implILb1ES3_NS6_12zip_iteratorINS7_INS6_11hip_rocprim26transform_input_iterator_tIbNSD_35transform_pair_of_input_iterators_tIbNS6_6detail15normal_iteratorINS6_10device_ptrIKxEEEESL_NS6_8equal_toIxEEEENSG_9not_fun_tINSD_8identityEEEEENSD_19counting_iterator_tIlEES8_S8_S8_S8_S8_S8_S8_S8_EEEEPS9_S9_NSD_9__find_if7functorIS9_EEEE10hipError_tPvRmT1_T2_T3_mT4_P12ihipStream_tbEUlT_E1_NS1_11comp_targetILNS1_3genE3ELNS1_11target_archE908ELNS1_3gpuE7ELNS1_3repE0EEENS1_30default_config_static_selectorELNS0_4arch9wavefront6targetE0EEEvS14_.private_seg_size, 0
	.set _ZN7rocprim17ROCPRIM_400000_NS6detail17trampoline_kernelINS0_14default_configENS1_22reduce_config_selectorIN6thrust23THRUST_200600_302600_NS5tupleIblNS6_9null_typeES8_S8_S8_S8_S8_S8_S8_EEEEZNS1_11reduce_implILb1ES3_NS6_12zip_iteratorINS7_INS6_11hip_rocprim26transform_input_iterator_tIbNSD_35transform_pair_of_input_iterators_tIbNS6_6detail15normal_iteratorINS6_10device_ptrIKxEEEESL_NS6_8equal_toIxEEEENSG_9not_fun_tINSD_8identityEEEEENSD_19counting_iterator_tIlEES8_S8_S8_S8_S8_S8_S8_S8_EEEEPS9_S9_NSD_9__find_if7functorIS9_EEEE10hipError_tPvRmT1_T2_T3_mT4_P12ihipStream_tbEUlT_E1_NS1_11comp_targetILNS1_3genE3ELNS1_11target_archE908ELNS1_3gpuE7ELNS1_3repE0EEENS1_30default_config_static_selectorELNS0_4arch9wavefront6targetE0EEEvS14_.uses_vcc, 0
	.set _ZN7rocprim17ROCPRIM_400000_NS6detail17trampoline_kernelINS0_14default_configENS1_22reduce_config_selectorIN6thrust23THRUST_200600_302600_NS5tupleIblNS6_9null_typeES8_S8_S8_S8_S8_S8_S8_EEEEZNS1_11reduce_implILb1ES3_NS6_12zip_iteratorINS7_INS6_11hip_rocprim26transform_input_iterator_tIbNSD_35transform_pair_of_input_iterators_tIbNS6_6detail15normal_iteratorINS6_10device_ptrIKxEEEESL_NS6_8equal_toIxEEEENSG_9not_fun_tINSD_8identityEEEEENSD_19counting_iterator_tIlEES8_S8_S8_S8_S8_S8_S8_S8_EEEEPS9_S9_NSD_9__find_if7functorIS9_EEEE10hipError_tPvRmT1_T2_T3_mT4_P12ihipStream_tbEUlT_E1_NS1_11comp_targetILNS1_3genE3ELNS1_11target_archE908ELNS1_3gpuE7ELNS1_3repE0EEENS1_30default_config_static_selectorELNS0_4arch9wavefront6targetE0EEEvS14_.uses_flat_scratch, 0
	.set _ZN7rocprim17ROCPRIM_400000_NS6detail17trampoline_kernelINS0_14default_configENS1_22reduce_config_selectorIN6thrust23THRUST_200600_302600_NS5tupleIblNS6_9null_typeES8_S8_S8_S8_S8_S8_S8_EEEEZNS1_11reduce_implILb1ES3_NS6_12zip_iteratorINS7_INS6_11hip_rocprim26transform_input_iterator_tIbNSD_35transform_pair_of_input_iterators_tIbNS6_6detail15normal_iteratorINS6_10device_ptrIKxEEEESL_NS6_8equal_toIxEEEENSG_9not_fun_tINSD_8identityEEEEENSD_19counting_iterator_tIlEES8_S8_S8_S8_S8_S8_S8_S8_EEEEPS9_S9_NSD_9__find_if7functorIS9_EEEE10hipError_tPvRmT1_T2_T3_mT4_P12ihipStream_tbEUlT_E1_NS1_11comp_targetILNS1_3genE3ELNS1_11target_archE908ELNS1_3gpuE7ELNS1_3repE0EEENS1_30default_config_static_selectorELNS0_4arch9wavefront6targetE0EEEvS14_.has_dyn_sized_stack, 0
	.set _ZN7rocprim17ROCPRIM_400000_NS6detail17trampoline_kernelINS0_14default_configENS1_22reduce_config_selectorIN6thrust23THRUST_200600_302600_NS5tupleIblNS6_9null_typeES8_S8_S8_S8_S8_S8_S8_EEEEZNS1_11reduce_implILb1ES3_NS6_12zip_iteratorINS7_INS6_11hip_rocprim26transform_input_iterator_tIbNSD_35transform_pair_of_input_iterators_tIbNS6_6detail15normal_iteratorINS6_10device_ptrIKxEEEESL_NS6_8equal_toIxEEEENSG_9not_fun_tINSD_8identityEEEEENSD_19counting_iterator_tIlEES8_S8_S8_S8_S8_S8_S8_S8_EEEEPS9_S9_NSD_9__find_if7functorIS9_EEEE10hipError_tPvRmT1_T2_T3_mT4_P12ihipStream_tbEUlT_E1_NS1_11comp_targetILNS1_3genE3ELNS1_11target_archE908ELNS1_3gpuE7ELNS1_3repE0EEENS1_30default_config_static_selectorELNS0_4arch9wavefront6targetE0EEEvS14_.has_recursion, 0
	.set _ZN7rocprim17ROCPRIM_400000_NS6detail17trampoline_kernelINS0_14default_configENS1_22reduce_config_selectorIN6thrust23THRUST_200600_302600_NS5tupleIblNS6_9null_typeES8_S8_S8_S8_S8_S8_S8_EEEEZNS1_11reduce_implILb1ES3_NS6_12zip_iteratorINS7_INS6_11hip_rocprim26transform_input_iterator_tIbNSD_35transform_pair_of_input_iterators_tIbNS6_6detail15normal_iteratorINS6_10device_ptrIKxEEEESL_NS6_8equal_toIxEEEENSG_9not_fun_tINSD_8identityEEEEENSD_19counting_iterator_tIlEES8_S8_S8_S8_S8_S8_S8_S8_EEEEPS9_S9_NSD_9__find_if7functorIS9_EEEE10hipError_tPvRmT1_T2_T3_mT4_P12ihipStream_tbEUlT_E1_NS1_11comp_targetILNS1_3genE3ELNS1_11target_archE908ELNS1_3gpuE7ELNS1_3repE0EEENS1_30default_config_static_selectorELNS0_4arch9wavefront6targetE0EEEvS14_.has_indirect_call, 0
	.section	.AMDGPU.csdata,"",@progbits
; Kernel info:
; codeLenInByte = 0
; TotalNumSgprs: 0
; NumVgprs: 0
; ScratchSize: 0
; MemoryBound: 0
; FloatMode: 240
; IeeeMode: 1
; LDSByteSize: 0 bytes/workgroup (compile time only)
; SGPRBlocks: 0
; VGPRBlocks: 0
; NumSGPRsForWavesPerEU: 1
; NumVGPRsForWavesPerEU: 1
; NamedBarCnt: 0
; Occupancy: 16
; WaveLimiterHint : 0
; COMPUTE_PGM_RSRC2:SCRATCH_EN: 0
; COMPUTE_PGM_RSRC2:USER_SGPR: 2
; COMPUTE_PGM_RSRC2:TRAP_HANDLER: 0
; COMPUTE_PGM_RSRC2:TGID_X_EN: 1
; COMPUTE_PGM_RSRC2:TGID_Y_EN: 0
; COMPUTE_PGM_RSRC2:TGID_Z_EN: 0
; COMPUTE_PGM_RSRC2:TIDIG_COMP_CNT: 0
	.section	.text._ZN7rocprim17ROCPRIM_400000_NS6detail17trampoline_kernelINS0_14default_configENS1_22reduce_config_selectorIN6thrust23THRUST_200600_302600_NS5tupleIblNS6_9null_typeES8_S8_S8_S8_S8_S8_S8_EEEEZNS1_11reduce_implILb1ES3_NS6_12zip_iteratorINS7_INS6_11hip_rocprim26transform_input_iterator_tIbNSD_35transform_pair_of_input_iterators_tIbNS6_6detail15normal_iteratorINS6_10device_ptrIKxEEEESL_NS6_8equal_toIxEEEENSG_9not_fun_tINSD_8identityEEEEENSD_19counting_iterator_tIlEES8_S8_S8_S8_S8_S8_S8_S8_EEEEPS9_S9_NSD_9__find_if7functorIS9_EEEE10hipError_tPvRmT1_T2_T3_mT4_P12ihipStream_tbEUlT_E1_NS1_11comp_targetILNS1_3genE2ELNS1_11target_archE906ELNS1_3gpuE6ELNS1_3repE0EEENS1_30default_config_static_selectorELNS0_4arch9wavefront6targetE0EEEvS14_,"axG",@progbits,_ZN7rocprim17ROCPRIM_400000_NS6detail17trampoline_kernelINS0_14default_configENS1_22reduce_config_selectorIN6thrust23THRUST_200600_302600_NS5tupleIblNS6_9null_typeES8_S8_S8_S8_S8_S8_S8_EEEEZNS1_11reduce_implILb1ES3_NS6_12zip_iteratorINS7_INS6_11hip_rocprim26transform_input_iterator_tIbNSD_35transform_pair_of_input_iterators_tIbNS6_6detail15normal_iteratorINS6_10device_ptrIKxEEEESL_NS6_8equal_toIxEEEENSG_9not_fun_tINSD_8identityEEEEENSD_19counting_iterator_tIlEES8_S8_S8_S8_S8_S8_S8_S8_EEEEPS9_S9_NSD_9__find_if7functorIS9_EEEE10hipError_tPvRmT1_T2_T3_mT4_P12ihipStream_tbEUlT_E1_NS1_11comp_targetILNS1_3genE2ELNS1_11target_archE906ELNS1_3gpuE6ELNS1_3repE0EEENS1_30default_config_static_selectorELNS0_4arch9wavefront6targetE0EEEvS14_,comdat
	.protected	_ZN7rocprim17ROCPRIM_400000_NS6detail17trampoline_kernelINS0_14default_configENS1_22reduce_config_selectorIN6thrust23THRUST_200600_302600_NS5tupleIblNS6_9null_typeES8_S8_S8_S8_S8_S8_S8_EEEEZNS1_11reduce_implILb1ES3_NS6_12zip_iteratorINS7_INS6_11hip_rocprim26transform_input_iterator_tIbNSD_35transform_pair_of_input_iterators_tIbNS6_6detail15normal_iteratorINS6_10device_ptrIKxEEEESL_NS6_8equal_toIxEEEENSG_9not_fun_tINSD_8identityEEEEENSD_19counting_iterator_tIlEES8_S8_S8_S8_S8_S8_S8_S8_EEEEPS9_S9_NSD_9__find_if7functorIS9_EEEE10hipError_tPvRmT1_T2_T3_mT4_P12ihipStream_tbEUlT_E1_NS1_11comp_targetILNS1_3genE2ELNS1_11target_archE906ELNS1_3gpuE6ELNS1_3repE0EEENS1_30default_config_static_selectorELNS0_4arch9wavefront6targetE0EEEvS14_ ; -- Begin function _ZN7rocprim17ROCPRIM_400000_NS6detail17trampoline_kernelINS0_14default_configENS1_22reduce_config_selectorIN6thrust23THRUST_200600_302600_NS5tupleIblNS6_9null_typeES8_S8_S8_S8_S8_S8_S8_EEEEZNS1_11reduce_implILb1ES3_NS6_12zip_iteratorINS7_INS6_11hip_rocprim26transform_input_iterator_tIbNSD_35transform_pair_of_input_iterators_tIbNS6_6detail15normal_iteratorINS6_10device_ptrIKxEEEESL_NS6_8equal_toIxEEEENSG_9not_fun_tINSD_8identityEEEEENSD_19counting_iterator_tIlEES8_S8_S8_S8_S8_S8_S8_S8_EEEEPS9_S9_NSD_9__find_if7functorIS9_EEEE10hipError_tPvRmT1_T2_T3_mT4_P12ihipStream_tbEUlT_E1_NS1_11comp_targetILNS1_3genE2ELNS1_11target_archE906ELNS1_3gpuE6ELNS1_3repE0EEENS1_30default_config_static_selectorELNS0_4arch9wavefront6targetE0EEEvS14_
	.globl	_ZN7rocprim17ROCPRIM_400000_NS6detail17trampoline_kernelINS0_14default_configENS1_22reduce_config_selectorIN6thrust23THRUST_200600_302600_NS5tupleIblNS6_9null_typeES8_S8_S8_S8_S8_S8_S8_EEEEZNS1_11reduce_implILb1ES3_NS6_12zip_iteratorINS7_INS6_11hip_rocprim26transform_input_iterator_tIbNSD_35transform_pair_of_input_iterators_tIbNS6_6detail15normal_iteratorINS6_10device_ptrIKxEEEESL_NS6_8equal_toIxEEEENSG_9not_fun_tINSD_8identityEEEEENSD_19counting_iterator_tIlEES8_S8_S8_S8_S8_S8_S8_S8_EEEEPS9_S9_NSD_9__find_if7functorIS9_EEEE10hipError_tPvRmT1_T2_T3_mT4_P12ihipStream_tbEUlT_E1_NS1_11comp_targetILNS1_3genE2ELNS1_11target_archE906ELNS1_3gpuE6ELNS1_3repE0EEENS1_30default_config_static_selectorELNS0_4arch9wavefront6targetE0EEEvS14_
	.p2align	8
	.type	_ZN7rocprim17ROCPRIM_400000_NS6detail17trampoline_kernelINS0_14default_configENS1_22reduce_config_selectorIN6thrust23THRUST_200600_302600_NS5tupleIblNS6_9null_typeES8_S8_S8_S8_S8_S8_S8_EEEEZNS1_11reduce_implILb1ES3_NS6_12zip_iteratorINS7_INS6_11hip_rocprim26transform_input_iterator_tIbNSD_35transform_pair_of_input_iterators_tIbNS6_6detail15normal_iteratorINS6_10device_ptrIKxEEEESL_NS6_8equal_toIxEEEENSG_9not_fun_tINSD_8identityEEEEENSD_19counting_iterator_tIlEES8_S8_S8_S8_S8_S8_S8_S8_EEEEPS9_S9_NSD_9__find_if7functorIS9_EEEE10hipError_tPvRmT1_T2_T3_mT4_P12ihipStream_tbEUlT_E1_NS1_11comp_targetILNS1_3genE2ELNS1_11target_archE906ELNS1_3gpuE6ELNS1_3repE0EEENS1_30default_config_static_selectorELNS0_4arch9wavefront6targetE0EEEvS14_,@function
_ZN7rocprim17ROCPRIM_400000_NS6detail17trampoline_kernelINS0_14default_configENS1_22reduce_config_selectorIN6thrust23THRUST_200600_302600_NS5tupleIblNS6_9null_typeES8_S8_S8_S8_S8_S8_S8_EEEEZNS1_11reduce_implILb1ES3_NS6_12zip_iteratorINS7_INS6_11hip_rocprim26transform_input_iterator_tIbNSD_35transform_pair_of_input_iterators_tIbNS6_6detail15normal_iteratorINS6_10device_ptrIKxEEEESL_NS6_8equal_toIxEEEENSG_9not_fun_tINSD_8identityEEEEENSD_19counting_iterator_tIlEES8_S8_S8_S8_S8_S8_S8_S8_EEEEPS9_S9_NSD_9__find_if7functorIS9_EEEE10hipError_tPvRmT1_T2_T3_mT4_P12ihipStream_tbEUlT_E1_NS1_11comp_targetILNS1_3genE2ELNS1_11target_archE906ELNS1_3gpuE6ELNS1_3repE0EEENS1_30default_config_static_selectorELNS0_4arch9wavefront6targetE0EEEvS14_: ; @_ZN7rocprim17ROCPRIM_400000_NS6detail17trampoline_kernelINS0_14default_configENS1_22reduce_config_selectorIN6thrust23THRUST_200600_302600_NS5tupleIblNS6_9null_typeES8_S8_S8_S8_S8_S8_S8_EEEEZNS1_11reduce_implILb1ES3_NS6_12zip_iteratorINS7_INS6_11hip_rocprim26transform_input_iterator_tIbNSD_35transform_pair_of_input_iterators_tIbNS6_6detail15normal_iteratorINS6_10device_ptrIKxEEEESL_NS6_8equal_toIxEEEENSG_9not_fun_tINSD_8identityEEEEENSD_19counting_iterator_tIlEES8_S8_S8_S8_S8_S8_S8_S8_EEEEPS9_S9_NSD_9__find_if7functorIS9_EEEE10hipError_tPvRmT1_T2_T3_mT4_P12ihipStream_tbEUlT_E1_NS1_11comp_targetILNS1_3genE2ELNS1_11target_archE906ELNS1_3gpuE6ELNS1_3repE0EEENS1_30default_config_static_selectorELNS0_4arch9wavefront6targetE0EEEvS14_
; %bb.0:
	.section	.rodata,"a",@progbits
	.p2align	6, 0x0
	.amdhsa_kernel _ZN7rocprim17ROCPRIM_400000_NS6detail17trampoline_kernelINS0_14default_configENS1_22reduce_config_selectorIN6thrust23THRUST_200600_302600_NS5tupleIblNS6_9null_typeES8_S8_S8_S8_S8_S8_S8_EEEEZNS1_11reduce_implILb1ES3_NS6_12zip_iteratorINS7_INS6_11hip_rocprim26transform_input_iterator_tIbNSD_35transform_pair_of_input_iterators_tIbNS6_6detail15normal_iteratorINS6_10device_ptrIKxEEEESL_NS6_8equal_toIxEEEENSG_9not_fun_tINSD_8identityEEEEENSD_19counting_iterator_tIlEES8_S8_S8_S8_S8_S8_S8_S8_EEEEPS9_S9_NSD_9__find_if7functorIS9_EEEE10hipError_tPvRmT1_T2_T3_mT4_P12ihipStream_tbEUlT_E1_NS1_11comp_targetILNS1_3genE2ELNS1_11target_archE906ELNS1_3gpuE6ELNS1_3repE0EEENS1_30default_config_static_selectorELNS0_4arch9wavefront6targetE0EEEvS14_
		.amdhsa_group_segment_fixed_size 0
		.amdhsa_private_segment_fixed_size 0
		.amdhsa_kernarg_size 88
		.amdhsa_user_sgpr_count 2
		.amdhsa_user_sgpr_dispatch_ptr 0
		.amdhsa_user_sgpr_queue_ptr 0
		.amdhsa_user_sgpr_kernarg_segment_ptr 1
		.amdhsa_user_sgpr_dispatch_id 0
		.amdhsa_user_sgpr_kernarg_preload_length 0
		.amdhsa_user_sgpr_kernarg_preload_offset 0
		.amdhsa_user_sgpr_private_segment_size 0
		.amdhsa_wavefront_size32 1
		.amdhsa_uses_dynamic_stack 0
		.amdhsa_enable_private_segment 0
		.amdhsa_system_sgpr_workgroup_id_x 1
		.amdhsa_system_sgpr_workgroup_id_y 0
		.amdhsa_system_sgpr_workgroup_id_z 0
		.amdhsa_system_sgpr_workgroup_info 0
		.amdhsa_system_vgpr_workitem_id 0
		.amdhsa_next_free_vgpr 1
		.amdhsa_next_free_sgpr 1
		.amdhsa_named_barrier_count 0
		.amdhsa_reserve_vcc 0
		.amdhsa_float_round_mode_32 0
		.amdhsa_float_round_mode_16_64 0
		.amdhsa_float_denorm_mode_32 3
		.amdhsa_float_denorm_mode_16_64 3
		.amdhsa_fp16_overflow 0
		.amdhsa_memory_ordered 1
		.amdhsa_forward_progress 1
		.amdhsa_inst_pref_size 0
		.amdhsa_round_robin_scheduling 0
		.amdhsa_exception_fp_ieee_invalid_op 0
		.amdhsa_exception_fp_denorm_src 0
		.amdhsa_exception_fp_ieee_div_zero 0
		.amdhsa_exception_fp_ieee_overflow 0
		.amdhsa_exception_fp_ieee_underflow 0
		.amdhsa_exception_fp_ieee_inexact 0
		.amdhsa_exception_int_div_zero 0
	.end_amdhsa_kernel
	.section	.text._ZN7rocprim17ROCPRIM_400000_NS6detail17trampoline_kernelINS0_14default_configENS1_22reduce_config_selectorIN6thrust23THRUST_200600_302600_NS5tupleIblNS6_9null_typeES8_S8_S8_S8_S8_S8_S8_EEEEZNS1_11reduce_implILb1ES3_NS6_12zip_iteratorINS7_INS6_11hip_rocprim26transform_input_iterator_tIbNSD_35transform_pair_of_input_iterators_tIbNS6_6detail15normal_iteratorINS6_10device_ptrIKxEEEESL_NS6_8equal_toIxEEEENSG_9not_fun_tINSD_8identityEEEEENSD_19counting_iterator_tIlEES8_S8_S8_S8_S8_S8_S8_S8_EEEEPS9_S9_NSD_9__find_if7functorIS9_EEEE10hipError_tPvRmT1_T2_T3_mT4_P12ihipStream_tbEUlT_E1_NS1_11comp_targetILNS1_3genE2ELNS1_11target_archE906ELNS1_3gpuE6ELNS1_3repE0EEENS1_30default_config_static_selectorELNS0_4arch9wavefront6targetE0EEEvS14_,"axG",@progbits,_ZN7rocprim17ROCPRIM_400000_NS6detail17trampoline_kernelINS0_14default_configENS1_22reduce_config_selectorIN6thrust23THRUST_200600_302600_NS5tupleIblNS6_9null_typeES8_S8_S8_S8_S8_S8_S8_EEEEZNS1_11reduce_implILb1ES3_NS6_12zip_iteratorINS7_INS6_11hip_rocprim26transform_input_iterator_tIbNSD_35transform_pair_of_input_iterators_tIbNS6_6detail15normal_iteratorINS6_10device_ptrIKxEEEESL_NS6_8equal_toIxEEEENSG_9not_fun_tINSD_8identityEEEEENSD_19counting_iterator_tIlEES8_S8_S8_S8_S8_S8_S8_S8_EEEEPS9_S9_NSD_9__find_if7functorIS9_EEEE10hipError_tPvRmT1_T2_T3_mT4_P12ihipStream_tbEUlT_E1_NS1_11comp_targetILNS1_3genE2ELNS1_11target_archE906ELNS1_3gpuE6ELNS1_3repE0EEENS1_30default_config_static_selectorELNS0_4arch9wavefront6targetE0EEEvS14_,comdat
.Lfunc_end238:
	.size	_ZN7rocprim17ROCPRIM_400000_NS6detail17trampoline_kernelINS0_14default_configENS1_22reduce_config_selectorIN6thrust23THRUST_200600_302600_NS5tupleIblNS6_9null_typeES8_S8_S8_S8_S8_S8_S8_EEEEZNS1_11reduce_implILb1ES3_NS6_12zip_iteratorINS7_INS6_11hip_rocprim26transform_input_iterator_tIbNSD_35transform_pair_of_input_iterators_tIbNS6_6detail15normal_iteratorINS6_10device_ptrIKxEEEESL_NS6_8equal_toIxEEEENSG_9not_fun_tINSD_8identityEEEEENSD_19counting_iterator_tIlEES8_S8_S8_S8_S8_S8_S8_S8_EEEEPS9_S9_NSD_9__find_if7functorIS9_EEEE10hipError_tPvRmT1_T2_T3_mT4_P12ihipStream_tbEUlT_E1_NS1_11comp_targetILNS1_3genE2ELNS1_11target_archE906ELNS1_3gpuE6ELNS1_3repE0EEENS1_30default_config_static_selectorELNS0_4arch9wavefront6targetE0EEEvS14_, .Lfunc_end238-_ZN7rocprim17ROCPRIM_400000_NS6detail17trampoline_kernelINS0_14default_configENS1_22reduce_config_selectorIN6thrust23THRUST_200600_302600_NS5tupleIblNS6_9null_typeES8_S8_S8_S8_S8_S8_S8_EEEEZNS1_11reduce_implILb1ES3_NS6_12zip_iteratorINS7_INS6_11hip_rocprim26transform_input_iterator_tIbNSD_35transform_pair_of_input_iterators_tIbNS6_6detail15normal_iteratorINS6_10device_ptrIKxEEEESL_NS6_8equal_toIxEEEENSG_9not_fun_tINSD_8identityEEEEENSD_19counting_iterator_tIlEES8_S8_S8_S8_S8_S8_S8_S8_EEEEPS9_S9_NSD_9__find_if7functorIS9_EEEE10hipError_tPvRmT1_T2_T3_mT4_P12ihipStream_tbEUlT_E1_NS1_11comp_targetILNS1_3genE2ELNS1_11target_archE906ELNS1_3gpuE6ELNS1_3repE0EEENS1_30default_config_static_selectorELNS0_4arch9wavefront6targetE0EEEvS14_
                                        ; -- End function
	.set _ZN7rocprim17ROCPRIM_400000_NS6detail17trampoline_kernelINS0_14default_configENS1_22reduce_config_selectorIN6thrust23THRUST_200600_302600_NS5tupleIblNS6_9null_typeES8_S8_S8_S8_S8_S8_S8_EEEEZNS1_11reduce_implILb1ES3_NS6_12zip_iteratorINS7_INS6_11hip_rocprim26transform_input_iterator_tIbNSD_35transform_pair_of_input_iterators_tIbNS6_6detail15normal_iteratorINS6_10device_ptrIKxEEEESL_NS6_8equal_toIxEEEENSG_9not_fun_tINSD_8identityEEEEENSD_19counting_iterator_tIlEES8_S8_S8_S8_S8_S8_S8_S8_EEEEPS9_S9_NSD_9__find_if7functorIS9_EEEE10hipError_tPvRmT1_T2_T3_mT4_P12ihipStream_tbEUlT_E1_NS1_11comp_targetILNS1_3genE2ELNS1_11target_archE906ELNS1_3gpuE6ELNS1_3repE0EEENS1_30default_config_static_selectorELNS0_4arch9wavefront6targetE0EEEvS14_.num_vgpr, 0
	.set _ZN7rocprim17ROCPRIM_400000_NS6detail17trampoline_kernelINS0_14default_configENS1_22reduce_config_selectorIN6thrust23THRUST_200600_302600_NS5tupleIblNS6_9null_typeES8_S8_S8_S8_S8_S8_S8_EEEEZNS1_11reduce_implILb1ES3_NS6_12zip_iteratorINS7_INS6_11hip_rocprim26transform_input_iterator_tIbNSD_35transform_pair_of_input_iterators_tIbNS6_6detail15normal_iteratorINS6_10device_ptrIKxEEEESL_NS6_8equal_toIxEEEENSG_9not_fun_tINSD_8identityEEEEENSD_19counting_iterator_tIlEES8_S8_S8_S8_S8_S8_S8_S8_EEEEPS9_S9_NSD_9__find_if7functorIS9_EEEE10hipError_tPvRmT1_T2_T3_mT4_P12ihipStream_tbEUlT_E1_NS1_11comp_targetILNS1_3genE2ELNS1_11target_archE906ELNS1_3gpuE6ELNS1_3repE0EEENS1_30default_config_static_selectorELNS0_4arch9wavefront6targetE0EEEvS14_.num_agpr, 0
	.set _ZN7rocprim17ROCPRIM_400000_NS6detail17trampoline_kernelINS0_14default_configENS1_22reduce_config_selectorIN6thrust23THRUST_200600_302600_NS5tupleIblNS6_9null_typeES8_S8_S8_S8_S8_S8_S8_EEEEZNS1_11reduce_implILb1ES3_NS6_12zip_iteratorINS7_INS6_11hip_rocprim26transform_input_iterator_tIbNSD_35transform_pair_of_input_iterators_tIbNS6_6detail15normal_iteratorINS6_10device_ptrIKxEEEESL_NS6_8equal_toIxEEEENSG_9not_fun_tINSD_8identityEEEEENSD_19counting_iterator_tIlEES8_S8_S8_S8_S8_S8_S8_S8_EEEEPS9_S9_NSD_9__find_if7functorIS9_EEEE10hipError_tPvRmT1_T2_T3_mT4_P12ihipStream_tbEUlT_E1_NS1_11comp_targetILNS1_3genE2ELNS1_11target_archE906ELNS1_3gpuE6ELNS1_3repE0EEENS1_30default_config_static_selectorELNS0_4arch9wavefront6targetE0EEEvS14_.numbered_sgpr, 0
	.set _ZN7rocprim17ROCPRIM_400000_NS6detail17trampoline_kernelINS0_14default_configENS1_22reduce_config_selectorIN6thrust23THRUST_200600_302600_NS5tupleIblNS6_9null_typeES8_S8_S8_S8_S8_S8_S8_EEEEZNS1_11reduce_implILb1ES3_NS6_12zip_iteratorINS7_INS6_11hip_rocprim26transform_input_iterator_tIbNSD_35transform_pair_of_input_iterators_tIbNS6_6detail15normal_iteratorINS6_10device_ptrIKxEEEESL_NS6_8equal_toIxEEEENSG_9not_fun_tINSD_8identityEEEEENSD_19counting_iterator_tIlEES8_S8_S8_S8_S8_S8_S8_S8_EEEEPS9_S9_NSD_9__find_if7functorIS9_EEEE10hipError_tPvRmT1_T2_T3_mT4_P12ihipStream_tbEUlT_E1_NS1_11comp_targetILNS1_3genE2ELNS1_11target_archE906ELNS1_3gpuE6ELNS1_3repE0EEENS1_30default_config_static_selectorELNS0_4arch9wavefront6targetE0EEEvS14_.num_named_barrier, 0
	.set _ZN7rocprim17ROCPRIM_400000_NS6detail17trampoline_kernelINS0_14default_configENS1_22reduce_config_selectorIN6thrust23THRUST_200600_302600_NS5tupleIblNS6_9null_typeES8_S8_S8_S8_S8_S8_S8_EEEEZNS1_11reduce_implILb1ES3_NS6_12zip_iteratorINS7_INS6_11hip_rocprim26transform_input_iterator_tIbNSD_35transform_pair_of_input_iterators_tIbNS6_6detail15normal_iteratorINS6_10device_ptrIKxEEEESL_NS6_8equal_toIxEEEENSG_9not_fun_tINSD_8identityEEEEENSD_19counting_iterator_tIlEES8_S8_S8_S8_S8_S8_S8_S8_EEEEPS9_S9_NSD_9__find_if7functorIS9_EEEE10hipError_tPvRmT1_T2_T3_mT4_P12ihipStream_tbEUlT_E1_NS1_11comp_targetILNS1_3genE2ELNS1_11target_archE906ELNS1_3gpuE6ELNS1_3repE0EEENS1_30default_config_static_selectorELNS0_4arch9wavefront6targetE0EEEvS14_.private_seg_size, 0
	.set _ZN7rocprim17ROCPRIM_400000_NS6detail17trampoline_kernelINS0_14default_configENS1_22reduce_config_selectorIN6thrust23THRUST_200600_302600_NS5tupleIblNS6_9null_typeES8_S8_S8_S8_S8_S8_S8_EEEEZNS1_11reduce_implILb1ES3_NS6_12zip_iteratorINS7_INS6_11hip_rocprim26transform_input_iterator_tIbNSD_35transform_pair_of_input_iterators_tIbNS6_6detail15normal_iteratorINS6_10device_ptrIKxEEEESL_NS6_8equal_toIxEEEENSG_9not_fun_tINSD_8identityEEEEENSD_19counting_iterator_tIlEES8_S8_S8_S8_S8_S8_S8_S8_EEEEPS9_S9_NSD_9__find_if7functorIS9_EEEE10hipError_tPvRmT1_T2_T3_mT4_P12ihipStream_tbEUlT_E1_NS1_11comp_targetILNS1_3genE2ELNS1_11target_archE906ELNS1_3gpuE6ELNS1_3repE0EEENS1_30default_config_static_selectorELNS0_4arch9wavefront6targetE0EEEvS14_.uses_vcc, 0
	.set _ZN7rocprim17ROCPRIM_400000_NS6detail17trampoline_kernelINS0_14default_configENS1_22reduce_config_selectorIN6thrust23THRUST_200600_302600_NS5tupleIblNS6_9null_typeES8_S8_S8_S8_S8_S8_S8_EEEEZNS1_11reduce_implILb1ES3_NS6_12zip_iteratorINS7_INS6_11hip_rocprim26transform_input_iterator_tIbNSD_35transform_pair_of_input_iterators_tIbNS6_6detail15normal_iteratorINS6_10device_ptrIKxEEEESL_NS6_8equal_toIxEEEENSG_9not_fun_tINSD_8identityEEEEENSD_19counting_iterator_tIlEES8_S8_S8_S8_S8_S8_S8_S8_EEEEPS9_S9_NSD_9__find_if7functorIS9_EEEE10hipError_tPvRmT1_T2_T3_mT4_P12ihipStream_tbEUlT_E1_NS1_11comp_targetILNS1_3genE2ELNS1_11target_archE906ELNS1_3gpuE6ELNS1_3repE0EEENS1_30default_config_static_selectorELNS0_4arch9wavefront6targetE0EEEvS14_.uses_flat_scratch, 0
	.set _ZN7rocprim17ROCPRIM_400000_NS6detail17trampoline_kernelINS0_14default_configENS1_22reduce_config_selectorIN6thrust23THRUST_200600_302600_NS5tupleIblNS6_9null_typeES8_S8_S8_S8_S8_S8_S8_EEEEZNS1_11reduce_implILb1ES3_NS6_12zip_iteratorINS7_INS6_11hip_rocprim26transform_input_iterator_tIbNSD_35transform_pair_of_input_iterators_tIbNS6_6detail15normal_iteratorINS6_10device_ptrIKxEEEESL_NS6_8equal_toIxEEEENSG_9not_fun_tINSD_8identityEEEEENSD_19counting_iterator_tIlEES8_S8_S8_S8_S8_S8_S8_S8_EEEEPS9_S9_NSD_9__find_if7functorIS9_EEEE10hipError_tPvRmT1_T2_T3_mT4_P12ihipStream_tbEUlT_E1_NS1_11comp_targetILNS1_3genE2ELNS1_11target_archE906ELNS1_3gpuE6ELNS1_3repE0EEENS1_30default_config_static_selectorELNS0_4arch9wavefront6targetE0EEEvS14_.has_dyn_sized_stack, 0
	.set _ZN7rocprim17ROCPRIM_400000_NS6detail17trampoline_kernelINS0_14default_configENS1_22reduce_config_selectorIN6thrust23THRUST_200600_302600_NS5tupleIblNS6_9null_typeES8_S8_S8_S8_S8_S8_S8_EEEEZNS1_11reduce_implILb1ES3_NS6_12zip_iteratorINS7_INS6_11hip_rocprim26transform_input_iterator_tIbNSD_35transform_pair_of_input_iterators_tIbNS6_6detail15normal_iteratorINS6_10device_ptrIKxEEEESL_NS6_8equal_toIxEEEENSG_9not_fun_tINSD_8identityEEEEENSD_19counting_iterator_tIlEES8_S8_S8_S8_S8_S8_S8_S8_EEEEPS9_S9_NSD_9__find_if7functorIS9_EEEE10hipError_tPvRmT1_T2_T3_mT4_P12ihipStream_tbEUlT_E1_NS1_11comp_targetILNS1_3genE2ELNS1_11target_archE906ELNS1_3gpuE6ELNS1_3repE0EEENS1_30default_config_static_selectorELNS0_4arch9wavefront6targetE0EEEvS14_.has_recursion, 0
	.set _ZN7rocprim17ROCPRIM_400000_NS6detail17trampoline_kernelINS0_14default_configENS1_22reduce_config_selectorIN6thrust23THRUST_200600_302600_NS5tupleIblNS6_9null_typeES8_S8_S8_S8_S8_S8_S8_EEEEZNS1_11reduce_implILb1ES3_NS6_12zip_iteratorINS7_INS6_11hip_rocprim26transform_input_iterator_tIbNSD_35transform_pair_of_input_iterators_tIbNS6_6detail15normal_iteratorINS6_10device_ptrIKxEEEESL_NS6_8equal_toIxEEEENSG_9not_fun_tINSD_8identityEEEEENSD_19counting_iterator_tIlEES8_S8_S8_S8_S8_S8_S8_S8_EEEEPS9_S9_NSD_9__find_if7functorIS9_EEEE10hipError_tPvRmT1_T2_T3_mT4_P12ihipStream_tbEUlT_E1_NS1_11comp_targetILNS1_3genE2ELNS1_11target_archE906ELNS1_3gpuE6ELNS1_3repE0EEENS1_30default_config_static_selectorELNS0_4arch9wavefront6targetE0EEEvS14_.has_indirect_call, 0
	.section	.AMDGPU.csdata,"",@progbits
; Kernel info:
; codeLenInByte = 0
; TotalNumSgprs: 0
; NumVgprs: 0
; ScratchSize: 0
; MemoryBound: 0
; FloatMode: 240
; IeeeMode: 1
; LDSByteSize: 0 bytes/workgroup (compile time only)
; SGPRBlocks: 0
; VGPRBlocks: 0
; NumSGPRsForWavesPerEU: 1
; NumVGPRsForWavesPerEU: 1
; NamedBarCnt: 0
; Occupancy: 16
; WaveLimiterHint : 0
; COMPUTE_PGM_RSRC2:SCRATCH_EN: 0
; COMPUTE_PGM_RSRC2:USER_SGPR: 2
; COMPUTE_PGM_RSRC2:TRAP_HANDLER: 0
; COMPUTE_PGM_RSRC2:TGID_X_EN: 1
; COMPUTE_PGM_RSRC2:TGID_Y_EN: 0
; COMPUTE_PGM_RSRC2:TGID_Z_EN: 0
; COMPUTE_PGM_RSRC2:TIDIG_COMP_CNT: 0
	.section	.text._ZN7rocprim17ROCPRIM_400000_NS6detail17trampoline_kernelINS0_14default_configENS1_22reduce_config_selectorIN6thrust23THRUST_200600_302600_NS5tupleIblNS6_9null_typeES8_S8_S8_S8_S8_S8_S8_EEEEZNS1_11reduce_implILb1ES3_NS6_12zip_iteratorINS7_INS6_11hip_rocprim26transform_input_iterator_tIbNSD_35transform_pair_of_input_iterators_tIbNS6_6detail15normal_iteratorINS6_10device_ptrIKxEEEESL_NS6_8equal_toIxEEEENSG_9not_fun_tINSD_8identityEEEEENSD_19counting_iterator_tIlEES8_S8_S8_S8_S8_S8_S8_S8_EEEEPS9_S9_NSD_9__find_if7functorIS9_EEEE10hipError_tPvRmT1_T2_T3_mT4_P12ihipStream_tbEUlT_E1_NS1_11comp_targetILNS1_3genE10ELNS1_11target_archE1201ELNS1_3gpuE5ELNS1_3repE0EEENS1_30default_config_static_selectorELNS0_4arch9wavefront6targetE0EEEvS14_,"axG",@progbits,_ZN7rocprim17ROCPRIM_400000_NS6detail17trampoline_kernelINS0_14default_configENS1_22reduce_config_selectorIN6thrust23THRUST_200600_302600_NS5tupleIblNS6_9null_typeES8_S8_S8_S8_S8_S8_S8_EEEEZNS1_11reduce_implILb1ES3_NS6_12zip_iteratorINS7_INS6_11hip_rocprim26transform_input_iterator_tIbNSD_35transform_pair_of_input_iterators_tIbNS6_6detail15normal_iteratorINS6_10device_ptrIKxEEEESL_NS6_8equal_toIxEEEENSG_9not_fun_tINSD_8identityEEEEENSD_19counting_iterator_tIlEES8_S8_S8_S8_S8_S8_S8_S8_EEEEPS9_S9_NSD_9__find_if7functorIS9_EEEE10hipError_tPvRmT1_T2_T3_mT4_P12ihipStream_tbEUlT_E1_NS1_11comp_targetILNS1_3genE10ELNS1_11target_archE1201ELNS1_3gpuE5ELNS1_3repE0EEENS1_30default_config_static_selectorELNS0_4arch9wavefront6targetE0EEEvS14_,comdat
	.protected	_ZN7rocprim17ROCPRIM_400000_NS6detail17trampoline_kernelINS0_14default_configENS1_22reduce_config_selectorIN6thrust23THRUST_200600_302600_NS5tupleIblNS6_9null_typeES8_S8_S8_S8_S8_S8_S8_EEEEZNS1_11reduce_implILb1ES3_NS6_12zip_iteratorINS7_INS6_11hip_rocprim26transform_input_iterator_tIbNSD_35transform_pair_of_input_iterators_tIbNS6_6detail15normal_iteratorINS6_10device_ptrIKxEEEESL_NS6_8equal_toIxEEEENSG_9not_fun_tINSD_8identityEEEEENSD_19counting_iterator_tIlEES8_S8_S8_S8_S8_S8_S8_S8_EEEEPS9_S9_NSD_9__find_if7functorIS9_EEEE10hipError_tPvRmT1_T2_T3_mT4_P12ihipStream_tbEUlT_E1_NS1_11comp_targetILNS1_3genE10ELNS1_11target_archE1201ELNS1_3gpuE5ELNS1_3repE0EEENS1_30default_config_static_selectorELNS0_4arch9wavefront6targetE0EEEvS14_ ; -- Begin function _ZN7rocprim17ROCPRIM_400000_NS6detail17trampoline_kernelINS0_14default_configENS1_22reduce_config_selectorIN6thrust23THRUST_200600_302600_NS5tupleIblNS6_9null_typeES8_S8_S8_S8_S8_S8_S8_EEEEZNS1_11reduce_implILb1ES3_NS6_12zip_iteratorINS7_INS6_11hip_rocprim26transform_input_iterator_tIbNSD_35transform_pair_of_input_iterators_tIbNS6_6detail15normal_iteratorINS6_10device_ptrIKxEEEESL_NS6_8equal_toIxEEEENSG_9not_fun_tINSD_8identityEEEEENSD_19counting_iterator_tIlEES8_S8_S8_S8_S8_S8_S8_S8_EEEEPS9_S9_NSD_9__find_if7functorIS9_EEEE10hipError_tPvRmT1_T2_T3_mT4_P12ihipStream_tbEUlT_E1_NS1_11comp_targetILNS1_3genE10ELNS1_11target_archE1201ELNS1_3gpuE5ELNS1_3repE0EEENS1_30default_config_static_selectorELNS0_4arch9wavefront6targetE0EEEvS14_
	.globl	_ZN7rocprim17ROCPRIM_400000_NS6detail17trampoline_kernelINS0_14default_configENS1_22reduce_config_selectorIN6thrust23THRUST_200600_302600_NS5tupleIblNS6_9null_typeES8_S8_S8_S8_S8_S8_S8_EEEEZNS1_11reduce_implILb1ES3_NS6_12zip_iteratorINS7_INS6_11hip_rocprim26transform_input_iterator_tIbNSD_35transform_pair_of_input_iterators_tIbNS6_6detail15normal_iteratorINS6_10device_ptrIKxEEEESL_NS6_8equal_toIxEEEENSG_9not_fun_tINSD_8identityEEEEENSD_19counting_iterator_tIlEES8_S8_S8_S8_S8_S8_S8_S8_EEEEPS9_S9_NSD_9__find_if7functorIS9_EEEE10hipError_tPvRmT1_T2_T3_mT4_P12ihipStream_tbEUlT_E1_NS1_11comp_targetILNS1_3genE10ELNS1_11target_archE1201ELNS1_3gpuE5ELNS1_3repE0EEENS1_30default_config_static_selectorELNS0_4arch9wavefront6targetE0EEEvS14_
	.p2align	8
	.type	_ZN7rocprim17ROCPRIM_400000_NS6detail17trampoline_kernelINS0_14default_configENS1_22reduce_config_selectorIN6thrust23THRUST_200600_302600_NS5tupleIblNS6_9null_typeES8_S8_S8_S8_S8_S8_S8_EEEEZNS1_11reduce_implILb1ES3_NS6_12zip_iteratorINS7_INS6_11hip_rocprim26transform_input_iterator_tIbNSD_35transform_pair_of_input_iterators_tIbNS6_6detail15normal_iteratorINS6_10device_ptrIKxEEEESL_NS6_8equal_toIxEEEENSG_9not_fun_tINSD_8identityEEEEENSD_19counting_iterator_tIlEES8_S8_S8_S8_S8_S8_S8_S8_EEEEPS9_S9_NSD_9__find_if7functorIS9_EEEE10hipError_tPvRmT1_T2_T3_mT4_P12ihipStream_tbEUlT_E1_NS1_11comp_targetILNS1_3genE10ELNS1_11target_archE1201ELNS1_3gpuE5ELNS1_3repE0EEENS1_30default_config_static_selectorELNS0_4arch9wavefront6targetE0EEEvS14_,@function
_ZN7rocprim17ROCPRIM_400000_NS6detail17trampoline_kernelINS0_14default_configENS1_22reduce_config_selectorIN6thrust23THRUST_200600_302600_NS5tupleIblNS6_9null_typeES8_S8_S8_S8_S8_S8_S8_EEEEZNS1_11reduce_implILb1ES3_NS6_12zip_iteratorINS7_INS6_11hip_rocprim26transform_input_iterator_tIbNSD_35transform_pair_of_input_iterators_tIbNS6_6detail15normal_iteratorINS6_10device_ptrIKxEEEESL_NS6_8equal_toIxEEEENSG_9not_fun_tINSD_8identityEEEEENSD_19counting_iterator_tIlEES8_S8_S8_S8_S8_S8_S8_S8_EEEEPS9_S9_NSD_9__find_if7functorIS9_EEEE10hipError_tPvRmT1_T2_T3_mT4_P12ihipStream_tbEUlT_E1_NS1_11comp_targetILNS1_3genE10ELNS1_11target_archE1201ELNS1_3gpuE5ELNS1_3repE0EEENS1_30default_config_static_selectorELNS0_4arch9wavefront6targetE0EEEvS14_: ; @_ZN7rocprim17ROCPRIM_400000_NS6detail17trampoline_kernelINS0_14default_configENS1_22reduce_config_selectorIN6thrust23THRUST_200600_302600_NS5tupleIblNS6_9null_typeES8_S8_S8_S8_S8_S8_S8_EEEEZNS1_11reduce_implILb1ES3_NS6_12zip_iteratorINS7_INS6_11hip_rocprim26transform_input_iterator_tIbNSD_35transform_pair_of_input_iterators_tIbNS6_6detail15normal_iteratorINS6_10device_ptrIKxEEEESL_NS6_8equal_toIxEEEENSG_9not_fun_tINSD_8identityEEEEENSD_19counting_iterator_tIlEES8_S8_S8_S8_S8_S8_S8_S8_EEEEPS9_S9_NSD_9__find_if7functorIS9_EEEE10hipError_tPvRmT1_T2_T3_mT4_P12ihipStream_tbEUlT_E1_NS1_11comp_targetILNS1_3genE10ELNS1_11target_archE1201ELNS1_3gpuE5ELNS1_3repE0EEENS1_30default_config_static_selectorELNS0_4arch9wavefront6targetE0EEEvS14_
; %bb.0:
	.section	.rodata,"a",@progbits
	.p2align	6, 0x0
	.amdhsa_kernel _ZN7rocprim17ROCPRIM_400000_NS6detail17trampoline_kernelINS0_14default_configENS1_22reduce_config_selectorIN6thrust23THRUST_200600_302600_NS5tupleIblNS6_9null_typeES8_S8_S8_S8_S8_S8_S8_EEEEZNS1_11reduce_implILb1ES3_NS6_12zip_iteratorINS7_INS6_11hip_rocprim26transform_input_iterator_tIbNSD_35transform_pair_of_input_iterators_tIbNS6_6detail15normal_iteratorINS6_10device_ptrIKxEEEESL_NS6_8equal_toIxEEEENSG_9not_fun_tINSD_8identityEEEEENSD_19counting_iterator_tIlEES8_S8_S8_S8_S8_S8_S8_S8_EEEEPS9_S9_NSD_9__find_if7functorIS9_EEEE10hipError_tPvRmT1_T2_T3_mT4_P12ihipStream_tbEUlT_E1_NS1_11comp_targetILNS1_3genE10ELNS1_11target_archE1201ELNS1_3gpuE5ELNS1_3repE0EEENS1_30default_config_static_selectorELNS0_4arch9wavefront6targetE0EEEvS14_
		.amdhsa_group_segment_fixed_size 0
		.amdhsa_private_segment_fixed_size 0
		.amdhsa_kernarg_size 88
		.amdhsa_user_sgpr_count 2
		.amdhsa_user_sgpr_dispatch_ptr 0
		.amdhsa_user_sgpr_queue_ptr 0
		.amdhsa_user_sgpr_kernarg_segment_ptr 1
		.amdhsa_user_sgpr_dispatch_id 0
		.amdhsa_user_sgpr_kernarg_preload_length 0
		.amdhsa_user_sgpr_kernarg_preload_offset 0
		.amdhsa_user_sgpr_private_segment_size 0
		.amdhsa_wavefront_size32 1
		.amdhsa_uses_dynamic_stack 0
		.amdhsa_enable_private_segment 0
		.amdhsa_system_sgpr_workgroup_id_x 1
		.amdhsa_system_sgpr_workgroup_id_y 0
		.amdhsa_system_sgpr_workgroup_id_z 0
		.amdhsa_system_sgpr_workgroup_info 0
		.amdhsa_system_vgpr_workitem_id 0
		.amdhsa_next_free_vgpr 1
		.amdhsa_next_free_sgpr 1
		.amdhsa_named_barrier_count 0
		.amdhsa_reserve_vcc 0
		.amdhsa_float_round_mode_32 0
		.amdhsa_float_round_mode_16_64 0
		.amdhsa_float_denorm_mode_32 3
		.amdhsa_float_denorm_mode_16_64 3
		.amdhsa_fp16_overflow 0
		.amdhsa_memory_ordered 1
		.amdhsa_forward_progress 1
		.amdhsa_inst_pref_size 0
		.amdhsa_round_robin_scheduling 0
		.amdhsa_exception_fp_ieee_invalid_op 0
		.amdhsa_exception_fp_denorm_src 0
		.amdhsa_exception_fp_ieee_div_zero 0
		.amdhsa_exception_fp_ieee_overflow 0
		.amdhsa_exception_fp_ieee_underflow 0
		.amdhsa_exception_fp_ieee_inexact 0
		.amdhsa_exception_int_div_zero 0
	.end_amdhsa_kernel
	.section	.text._ZN7rocprim17ROCPRIM_400000_NS6detail17trampoline_kernelINS0_14default_configENS1_22reduce_config_selectorIN6thrust23THRUST_200600_302600_NS5tupleIblNS6_9null_typeES8_S8_S8_S8_S8_S8_S8_EEEEZNS1_11reduce_implILb1ES3_NS6_12zip_iteratorINS7_INS6_11hip_rocprim26transform_input_iterator_tIbNSD_35transform_pair_of_input_iterators_tIbNS6_6detail15normal_iteratorINS6_10device_ptrIKxEEEESL_NS6_8equal_toIxEEEENSG_9not_fun_tINSD_8identityEEEEENSD_19counting_iterator_tIlEES8_S8_S8_S8_S8_S8_S8_S8_EEEEPS9_S9_NSD_9__find_if7functorIS9_EEEE10hipError_tPvRmT1_T2_T3_mT4_P12ihipStream_tbEUlT_E1_NS1_11comp_targetILNS1_3genE10ELNS1_11target_archE1201ELNS1_3gpuE5ELNS1_3repE0EEENS1_30default_config_static_selectorELNS0_4arch9wavefront6targetE0EEEvS14_,"axG",@progbits,_ZN7rocprim17ROCPRIM_400000_NS6detail17trampoline_kernelINS0_14default_configENS1_22reduce_config_selectorIN6thrust23THRUST_200600_302600_NS5tupleIblNS6_9null_typeES8_S8_S8_S8_S8_S8_S8_EEEEZNS1_11reduce_implILb1ES3_NS6_12zip_iteratorINS7_INS6_11hip_rocprim26transform_input_iterator_tIbNSD_35transform_pair_of_input_iterators_tIbNS6_6detail15normal_iteratorINS6_10device_ptrIKxEEEESL_NS6_8equal_toIxEEEENSG_9not_fun_tINSD_8identityEEEEENSD_19counting_iterator_tIlEES8_S8_S8_S8_S8_S8_S8_S8_EEEEPS9_S9_NSD_9__find_if7functorIS9_EEEE10hipError_tPvRmT1_T2_T3_mT4_P12ihipStream_tbEUlT_E1_NS1_11comp_targetILNS1_3genE10ELNS1_11target_archE1201ELNS1_3gpuE5ELNS1_3repE0EEENS1_30default_config_static_selectorELNS0_4arch9wavefront6targetE0EEEvS14_,comdat
.Lfunc_end239:
	.size	_ZN7rocprim17ROCPRIM_400000_NS6detail17trampoline_kernelINS0_14default_configENS1_22reduce_config_selectorIN6thrust23THRUST_200600_302600_NS5tupleIblNS6_9null_typeES8_S8_S8_S8_S8_S8_S8_EEEEZNS1_11reduce_implILb1ES3_NS6_12zip_iteratorINS7_INS6_11hip_rocprim26transform_input_iterator_tIbNSD_35transform_pair_of_input_iterators_tIbNS6_6detail15normal_iteratorINS6_10device_ptrIKxEEEESL_NS6_8equal_toIxEEEENSG_9not_fun_tINSD_8identityEEEEENSD_19counting_iterator_tIlEES8_S8_S8_S8_S8_S8_S8_S8_EEEEPS9_S9_NSD_9__find_if7functorIS9_EEEE10hipError_tPvRmT1_T2_T3_mT4_P12ihipStream_tbEUlT_E1_NS1_11comp_targetILNS1_3genE10ELNS1_11target_archE1201ELNS1_3gpuE5ELNS1_3repE0EEENS1_30default_config_static_selectorELNS0_4arch9wavefront6targetE0EEEvS14_, .Lfunc_end239-_ZN7rocprim17ROCPRIM_400000_NS6detail17trampoline_kernelINS0_14default_configENS1_22reduce_config_selectorIN6thrust23THRUST_200600_302600_NS5tupleIblNS6_9null_typeES8_S8_S8_S8_S8_S8_S8_EEEEZNS1_11reduce_implILb1ES3_NS6_12zip_iteratorINS7_INS6_11hip_rocprim26transform_input_iterator_tIbNSD_35transform_pair_of_input_iterators_tIbNS6_6detail15normal_iteratorINS6_10device_ptrIKxEEEESL_NS6_8equal_toIxEEEENSG_9not_fun_tINSD_8identityEEEEENSD_19counting_iterator_tIlEES8_S8_S8_S8_S8_S8_S8_S8_EEEEPS9_S9_NSD_9__find_if7functorIS9_EEEE10hipError_tPvRmT1_T2_T3_mT4_P12ihipStream_tbEUlT_E1_NS1_11comp_targetILNS1_3genE10ELNS1_11target_archE1201ELNS1_3gpuE5ELNS1_3repE0EEENS1_30default_config_static_selectorELNS0_4arch9wavefront6targetE0EEEvS14_
                                        ; -- End function
	.set _ZN7rocprim17ROCPRIM_400000_NS6detail17trampoline_kernelINS0_14default_configENS1_22reduce_config_selectorIN6thrust23THRUST_200600_302600_NS5tupleIblNS6_9null_typeES8_S8_S8_S8_S8_S8_S8_EEEEZNS1_11reduce_implILb1ES3_NS6_12zip_iteratorINS7_INS6_11hip_rocprim26transform_input_iterator_tIbNSD_35transform_pair_of_input_iterators_tIbNS6_6detail15normal_iteratorINS6_10device_ptrIKxEEEESL_NS6_8equal_toIxEEEENSG_9not_fun_tINSD_8identityEEEEENSD_19counting_iterator_tIlEES8_S8_S8_S8_S8_S8_S8_S8_EEEEPS9_S9_NSD_9__find_if7functorIS9_EEEE10hipError_tPvRmT1_T2_T3_mT4_P12ihipStream_tbEUlT_E1_NS1_11comp_targetILNS1_3genE10ELNS1_11target_archE1201ELNS1_3gpuE5ELNS1_3repE0EEENS1_30default_config_static_selectorELNS0_4arch9wavefront6targetE0EEEvS14_.num_vgpr, 0
	.set _ZN7rocprim17ROCPRIM_400000_NS6detail17trampoline_kernelINS0_14default_configENS1_22reduce_config_selectorIN6thrust23THRUST_200600_302600_NS5tupleIblNS6_9null_typeES8_S8_S8_S8_S8_S8_S8_EEEEZNS1_11reduce_implILb1ES3_NS6_12zip_iteratorINS7_INS6_11hip_rocprim26transform_input_iterator_tIbNSD_35transform_pair_of_input_iterators_tIbNS6_6detail15normal_iteratorINS6_10device_ptrIKxEEEESL_NS6_8equal_toIxEEEENSG_9not_fun_tINSD_8identityEEEEENSD_19counting_iterator_tIlEES8_S8_S8_S8_S8_S8_S8_S8_EEEEPS9_S9_NSD_9__find_if7functorIS9_EEEE10hipError_tPvRmT1_T2_T3_mT4_P12ihipStream_tbEUlT_E1_NS1_11comp_targetILNS1_3genE10ELNS1_11target_archE1201ELNS1_3gpuE5ELNS1_3repE0EEENS1_30default_config_static_selectorELNS0_4arch9wavefront6targetE0EEEvS14_.num_agpr, 0
	.set _ZN7rocprim17ROCPRIM_400000_NS6detail17trampoline_kernelINS0_14default_configENS1_22reduce_config_selectorIN6thrust23THRUST_200600_302600_NS5tupleIblNS6_9null_typeES8_S8_S8_S8_S8_S8_S8_EEEEZNS1_11reduce_implILb1ES3_NS6_12zip_iteratorINS7_INS6_11hip_rocprim26transform_input_iterator_tIbNSD_35transform_pair_of_input_iterators_tIbNS6_6detail15normal_iteratorINS6_10device_ptrIKxEEEESL_NS6_8equal_toIxEEEENSG_9not_fun_tINSD_8identityEEEEENSD_19counting_iterator_tIlEES8_S8_S8_S8_S8_S8_S8_S8_EEEEPS9_S9_NSD_9__find_if7functorIS9_EEEE10hipError_tPvRmT1_T2_T3_mT4_P12ihipStream_tbEUlT_E1_NS1_11comp_targetILNS1_3genE10ELNS1_11target_archE1201ELNS1_3gpuE5ELNS1_3repE0EEENS1_30default_config_static_selectorELNS0_4arch9wavefront6targetE0EEEvS14_.numbered_sgpr, 0
	.set _ZN7rocprim17ROCPRIM_400000_NS6detail17trampoline_kernelINS0_14default_configENS1_22reduce_config_selectorIN6thrust23THRUST_200600_302600_NS5tupleIblNS6_9null_typeES8_S8_S8_S8_S8_S8_S8_EEEEZNS1_11reduce_implILb1ES3_NS6_12zip_iteratorINS7_INS6_11hip_rocprim26transform_input_iterator_tIbNSD_35transform_pair_of_input_iterators_tIbNS6_6detail15normal_iteratorINS6_10device_ptrIKxEEEESL_NS6_8equal_toIxEEEENSG_9not_fun_tINSD_8identityEEEEENSD_19counting_iterator_tIlEES8_S8_S8_S8_S8_S8_S8_S8_EEEEPS9_S9_NSD_9__find_if7functorIS9_EEEE10hipError_tPvRmT1_T2_T3_mT4_P12ihipStream_tbEUlT_E1_NS1_11comp_targetILNS1_3genE10ELNS1_11target_archE1201ELNS1_3gpuE5ELNS1_3repE0EEENS1_30default_config_static_selectorELNS0_4arch9wavefront6targetE0EEEvS14_.num_named_barrier, 0
	.set _ZN7rocprim17ROCPRIM_400000_NS6detail17trampoline_kernelINS0_14default_configENS1_22reduce_config_selectorIN6thrust23THRUST_200600_302600_NS5tupleIblNS6_9null_typeES8_S8_S8_S8_S8_S8_S8_EEEEZNS1_11reduce_implILb1ES3_NS6_12zip_iteratorINS7_INS6_11hip_rocprim26transform_input_iterator_tIbNSD_35transform_pair_of_input_iterators_tIbNS6_6detail15normal_iteratorINS6_10device_ptrIKxEEEESL_NS6_8equal_toIxEEEENSG_9not_fun_tINSD_8identityEEEEENSD_19counting_iterator_tIlEES8_S8_S8_S8_S8_S8_S8_S8_EEEEPS9_S9_NSD_9__find_if7functorIS9_EEEE10hipError_tPvRmT1_T2_T3_mT4_P12ihipStream_tbEUlT_E1_NS1_11comp_targetILNS1_3genE10ELNS1_11target_archE1201ELNS1_3gpuE5ELNS1_3repE0EEENS1_30default_config_static_selectorELNS0_4arch9wavefront6targetE0EEEvS14_.private_seg_size, 0
	.set _ZN7rocprim17ROCPRIM_400000_NS6detail17trampoline_kernelINS0_14default_configENS1_22reduce_config_selectorIN6thrust23THRUST_200600_302600_NS5tupleIblNS6_9null_typeES8_S8_S8_S8_S8_S8_S8_EEEEZNS1_11reduce_implILb1ES3_NS6_12zip_iteratorINS7_INS6_11hip_rocprim26transform_input_iterator_tIbNSD_35transform_pair_of_input_iterators_tIbNS6_6detail15normal_iteratorINS6_10device_ptrIKxEEEESL_NS6_8equal_toIxEEEENSG_9not_fun_tINSD_8identityEEEEENSD_19counting_iterator_tIlEES8_S8_S8_S8_S8_S8_S8_S8_EEEEPS9_S9_NSD_9__find_if7functorIS9_EEEE10hipError_tPvRmT1_T2_T3_mT4_P12ihipStream_tbEUlT_E1_NS1_11comp_targetILNS1_3genE10ELNS1_11target_archE1201ELNS1_3gpuE5ELNS1_3repE0EEENS1_30default_config_static_selectorELNS0_4arch9wavefront6targetE0EEEvS14_.uses_vcc, 0
	.set _ZN7rocprim17ROCPRIM_400000_NS6detail17trampoline_kernelINS0_14default_configENS1_22reduce_config_selectorIN6thrust23THRUST_200600_302600_NS5tupleIblNS6_9null_typeES8_S8_S8_S8_S8_S8_S8_EEEEZNS1_11reduce_implILb1ES3_NS6_12zip_iteratorINS7_INS6_11hip_rocprim26transform_input_iterator_tIbNSD_35transform_pair_of_input_iterators_tIbNS6_6detail15normal_iteratorINS6_10device_ptrIKxEEEESL_NS6_8equal_toIxEEEENSG_9not_fun_tINSD_8identityEEEEENSD_19counting_iterator_tIlEES8_S8_S8_S8_S8_S8_S8_S8_EEEEPS9_S9_NSD_9__find_if7functorIS9_EEEE10hipError_tPvRmT1_T2_T3_mT4_P12ihipStream_tbEUlT_E1_NS1_11comp_targetILNS1_3genE10ELNS1_11target_archE1201ELNS1_3gpuE5ELNS1_3repE0EEENS1_30default_config_static_selectorELNS0_4arch9wavefront6targetE0EEEvS14_.uses_flat_scratch, 0
	.set _ZN7rocprim17ROCPRIM_400000_NS6detail17trampoline_kernelINS0_14default_configENS1_22reduce_config_selectorIN6thrust23THRUST_200600_302600_NS5tupleIblNS6_9null_typeES8_S8_S8_S8_S8_S8_S8_EEEEZNS1_11reduce_implILb1ES3_NS6_12zip_iteratorINS7_INS6_11hip_rocprim26transform_input_iterator_tIbNSD_35transform_pair_of_input_iterators_tIbNS6_6detail15normal_iteratorINS6_10device_ptrIKxEEEESL_NS6_8equal_toIxEEEENSG_9not_fun_tINSD_8identityEEEEENSD_19counting_iterator_tIlEES8_S8_S8_S8_S8_S8_S8_S8_EEEEPS9_S9_NSD_9__find_if7functorIS9_EEEE10hipError_tPvRmT1_T2_T3_mT4_P12ihipStream_tbEUlT_E1_NS1_11comp_targetILNS1_3genE10ELNS1_11target_archE1201ELNS1_3gpuE5ELNS1_3repE0EEENS1_30default_config_static_selectorELNS0_4arch9wavefront6targetE0EEEvS14_.has_dyn_sized_stack, 0
	.set _ZN7rocprim17ROCPRIM_400000_NS6detail17trampoline_kernelINS0_14default_configENS1_22reduce_config_selectorIN6thrust23THRUST_200600_302600_NS5tupleIblNS6_9null_typeES8_S8_S8_S8_S8_S8_S8_EEEEZNS1_11reduce_implILb1ES3_NS6_12zip_iteratorINS7_INS6_11hip_rocprim26transform_input_iterator_tIbNSD_35transform_pair_of_input_iterators_tIbNS6_6detail15normal_iteratorINS6_10device_ptrIKxEEEESL_NS6_8equal_toIxEEEENSG_9not_fun_tINSD_8identityEEEEENSD_19counting_iterator_tIlEES8_S8_S8_S8_S8_S8_S8_S8_EEEEPS9_S9_NSD_9__find_if7functorIS9_EEEE10hipError_tPvRmT1_T2_T3_mT4_P12ihipStream_tbEUlT_E1_NS1_11comp_targetILNS1_3genE10ELNS1_11target_archE1201ELNS1_3gpuE5ELNS1_3repE0EEENS1_30default_config_static_selectorELNS0_4arch9wavefront6targetE0EEEvS14_.has_recursion, 0
	.set _ZN7rocprim17ROCPRIM_400000_NS6detail17trampoline_kernelINS0_14default_configENS1_22reduce_config_selectorIN6thrust23THRUST_200600_302600_NS5tupleIblNS6_9null_typeES8_S8_S8_S8_S8_S8_S8_EEEEZNS1_11reduce_implILb1ES3_NS6_12zip_iteratorINS7_INS6_11hip_rocprim26transform_input_iterator_tIbNSD_35transform_pair_of_input_iterators_tIbNS6_6detail15normal_iteratorINS6_10device_ptrIKxEEEESL_NS6_8equal_toIxEEEENSG_9not_fun_tINSD_8identityEEEEENSD_19counting_iterator_tIlEES8_S8_S8_S8_S8_S8_S8_S8_EEEEPS9_S9_NSD_9__find_if7functorIS9_EEEE10hipError_tPvRmT1_T2_T3_mT4_P12ihipStream_tbEUlT_E1_NS1_11comp_targetILNS1_3genE10ELNS1_11target_archE1201ELNS1_3gpuE5ELNS1_3repE0EEENS1_30default_config_static_selectorELNS0_4arch9wavefront6targetE0EEEvS14_.has_indirect_call, 0
	.section	.AMDGPU.csdata,"",@progbits
; Kernel info:
; codeLenInByte = 0
; TotalNumSgprs: 0
; NumVgprs: 0
; ScratchSize: 0
; MemoryBound: 0
; FloatMode: 240
; IeeeMode: 1
; LDSByteSize: 0 bytes/workgroup (compile time only)
; SGPRBlocks: 0
; VGPRBlocks: 0
; NumSGPRsForWavesPerEU: 1
; NumVGPRsForWavesPerEU: 1
; NamedBarCnt: 0
; Occupancy: 16
; WaveLimiterHint : 0
; COMPUTE_PGM_RSRC2:SCRATCH_EN: 0
; COMPUTE_PGM_RSRC2:USER_SGPR: 2
; COMPUTE_PGM_RSRC2:TRAP_HANDLER: 0
; COMPUTE_PGM_RSRC2:TGID_X_EN: 1
; COMPUTE_PGM_RSRC2:TGID_Y_EN: 0
; COMPUTE_PGM_RSRC2:TGID_Z_EN: 0
; COMPUTE_PGM_RSRC2:TIDIG_COMP_CNT: 0
	.section	.text._ZN7rocprim17ROCPRIM_400000_NS6detail17trampoline_kernelINS0_14default_configENS1_22reduce_config_selectorIN6thrust23THRUST_200600_302600_NS5tupleIblNS6_9null_typeES8_S8_S8_S8_S8_S8_S8_EEEEZNS1_11reduce_implILb1ES3_NS6_12zip_iteratorINS7_INS6_11hip_rocprim26transform_input_iterator_tIbNSD_35transform_pair_of_input_iterators_tIbNS6_6detail15normal_iteratorINS6_10device_ptrIKxEEEESL_NS6_8equal_toIxEEEENSG_9not_fun_tINSD_8identityEEEEENSD_19counting_iterator_tIlEES8_S8_S8_S8_S8_S8_S8_S8_EEEEPS9_S9_NSD_9__find_if7functorIS9_EEEE10hipError_tPvRmT1_T2_T3_mT4_P12ihipStream_tbEUlT_E1_NS1_11comp_targetILNS1_3genE10ELNS1_11target_archE1200ELNS1_3gpuE4ELNS1_3repE0EEENS1_30default_config_static_selectorELNS0_4arch9wavefront6targetE0EEEvS14_,"axG",@progbits,_ZN7rocprim17ROCPRIM_400000_NS6detail17trampoline_kernelINS0_14default_configENS1_22reduce_config_selectorIN6thrust23THRUST_200600_302600_NS5tupleIblNS6_9null_typeES8_S8_S8_S8_S8_S8_S8_EEEEZNS1_11reduce_implILb1ES3_NS6_12zip_iteratorINS7_INS6_11hip_rocprim26transform_input_iterator_tIbNSD_35transform_pair_of_input_iterators_tIbNS6_6detail15normal_iteratorINS6_10device_ptrIKxEEEESL_NS6_8equal_toIxEEEENSG_9not_fun_tINSD_8identityEEEEENSD_19counting_iterator_tIlEES8_S8_S8_S8_S8_S8_S8_S8_EEEEPS9_S9_NSD_9__find_if7functorIS9_EEEE10hipError_tPvRmT1_T2_T3_mT4_P12ihipStream_tbEUlT_E1_NS1_11comp_targetILNS1_3genE10ELNS1_11target_archE1200ELNS1_3gpuE4ELNS1_3repE0EEENS1_30default_config_static_selectorELNS0_4arch9wavefront6targetE0EEEvS14_,comdat
	.protected	_ZN7rocprim17ROCPRIM_400000_NS6detail17trampoline_kernelINS0_14default_configENS1_22reduce_config_selectorIN6thrust23THRUST_200600_302600_NS5tupleIblNS6_9null_typeES8_S8_S8_S8_S8_S8_S8_EEEEZNS1_11reduce_implILb1ES3_NS6_12zip_iteratorINS7_INS6_11hip_rocprim26transform_input_iterator_tIbNSD_35transform_pair_of_input_iterators_tIbNS6_6detail15normal_iteratorINS6_10device_ptrIKxEEEESL_NS6_8equal_toIxEEEENSG_9not_fun_tINSD_8identityEEEEENSD_19counting_iterator_tIlEES8_S8_S8_S8_S8_S8_S8_S8_EEEEPS9_S9_NSD_9__find_if7functorIS9_EEEE10hipError_tPvRmT1_T2_T3_mT4_P12ihipStream_tbEUlT_E1_NS1_11comp_targetILNS1_3genE10ELNS1_11target_archE1200ELNS1_3gpuE4ELNS1_3repE0EEENS1_30default_config_static_selectorELNS0_4arch9wavefront6targetE0EEEvS14_ ; -- Begin function _ZN7rocprim17ROCPRIM_400000_NS6detail17trampoline_kernelINS0_14default_configENS1_22reduce_config_selectorIN6thrust23THRUST_200600_302600_NS5tupleIblNS6_9null_typeES8_S8_S8_S8_S8_S8_S8_EEEEZNS1_11reduce_implILb1ES3_NS6_12zip_iteratorINS7_INS6_11hip_rocprim26transform_input_iterator_tIbNSD_35transform_pair_of_input_iterators_tIbNS6_6detail15normal_iteratorINS6_10device_ptrIKxEEEESL_NS6_8equal_toIxEEEENSG_9not_fun_tINSD_8identityEEEEENSD_19counting_iterator_tIlEES8_S8_S8_S8_S8_S8_S8_S8_EEEEPS9_S9_NSD_9__find_if7functorIS9_EEEE10hipError_tPvRmT1_T2_T3_mT4_P12ihipStream_tbEUlT_E1_NS1_11comp_targetILNS1_3genE10ELNS1_11target_archE1200ELNS1_3gpuE4ELNS1_3repE0EEENS1_30default_config_static_selectorELNS0_4arch9wavefront6targetE0EEEvS14_
	.globl	_ZN7rocprim17ROCPRIM_400000_NS6detail17trampoline_kernelINS0_14default_configENS1_22reduce_config_selectorIN6thrust23THRUST_200600_302600_NS5tupleIblNS6_9null_typeES8_S8_S8_S8_S8_S8_S8_EEEEZNS1_11reduce_implILb1ES3_NS6_12zip_iteratorINS7_INS6_11hip_rocprim26transform_input_iterator_tIbNSD_35transform_pair_of_input_iterators_tIbNS6_6detail15normal_iteratorINS6_10device_ptrIKxEEEESL_NS6_8equal_toIxEEEENSG_9not_fun_tINSD_8identityEEEEENSD_19counting_iterator_tIlEES8_S8_S8_S8_S8_S8_S8_S8_EEEEPS9_S9_NSD_9__find_if7functorIS9_EEEE10hipError_tPvRmT1_T2_T3_mT4_P12ihipStream_tbEUlT_E1_NS1_11comp_targetILNS1_3genE10ELNS1_11target_archE1200ELNS1_3gpuE4ELNS1_3repE0EEENS1_30default_config_static_selectorELNS0_4arch9wavefront6targetE0EEEvS14_
	.p2align	8
	.type	_ZN7rocprim17ROCPRIM_400000_NS6detail17trampoline_kernelINS0_14default_configENS1_22reduce_config_selectorIN6thrust23THRUST_200600_302600_NS5tupleIblNS6_9null_typeES8_S8_S8_S8_S8_S8_S8_EEEEZNS1_11reduce_implILb1ES3_NS6_12zip_iteratorINS7_INS6_11hip_rocprim26transform_input_iterator_tIbNSD_35transform_pair_of_input_iterators_tIbNS6_6detail15normal_iteratorINS6_10device_ptrIKxEEEESL_NS6_8equal_toIxEEEENSG_9not_fun_tINSD_8identityEEEEENSD_19counting_iterator_tIlEES8_S8_S8_S8_S8_S8_S8_S8_EEEEPS9_S9_NSD_9__find_if7functorIS9_EEEE10hipError_tPvRmT1_T2_T3_mT4_P12ihipStream_tbEUlT_E1_NS1_11comp_targetILNS1_3genE10ELNS1_11target_archE1200ELNS1_3gpuE4ELNS1_3repE0EEENS1_30default_config_static_selectorELNS0_4arch9wavefront6targetE0EEEvS14_,@function
_ZN7rocprim17ROCPRIM_400000_NS6detail17trampoline_kernelINS0_14default_configENS1_22reduce_config_selectorIN6thrust23THRUST_200600_302600_NS5tupleIblNS6_9null_typeES8_S8_S8_S8_S8_S8_S8_EEEEZNS1_11reduce_implILb1ES3_NS6_12zip_iteratorINS7_INS6_11hip_rocprim26transform_input_iterator_tIbNSD_35transform_pair_of_input_iterators_tIbNS6_6detail15normal_iteratorINS6_10device_ptrIKxEEEESL_NS6_8equal_toIxEEEENSG_9not_fun_tINSD_8identityEEEEENSD_19counting_iterator_tIlEES8_S8_S8_S8_S8_S8_S8_S8_EEEEPS9_S9_NSD_9__find_if7functorIS9_EEEE10hipError_tPvRmT1_T2_T3_mT4_P12ihipStream_tbEUlT_E1_NS1_11comp_targetILNS1_3genE10ELNS1_11target_archE1200ELNS1_3gpuE4ELNS1_3repE0EEENS1_30default_config_static_selectorELNS0_4arch9wavefront6targetE0EEEvS14_: ; @_ZN7rocprim17ROCPRIM_400000_NS6detail17trampoline_kernelINS0_14default_configENS1_22reduce_config_selectorIN6thrust23THRUST_200600_302600_NS5tupleIblNS6_9null_typeES8_S8_S8_S8_S8_S8_S8_EEEEZNS1_11reduce_implILb1ES3_NS6_12zip_iteratorINS7_INS6_11hip_rocprim26transform_input_iterator_tIbNSD_35transform_pair_of_input_iterators_tIbNS6_6detail15normal_iteratorINS6_10device_ptrIKxEEEESL_NS6_8equal_toIxEEEENSG_9not_fun_tINSD_8identityEEEEENSD_19counting_iterator_tIlEES8_S8_S8_S8_S8_S8_S8_S8_EEEEPS9_S9_NSD_9__find_if7functorIS9_EEEE10hipError_tPvRmT1_T2_T3_mT4_P12ihipStream_tbEUlT_E1_NS1_11comp_targetILNS1_3genE10ELNS1_11target_archE1200ELNS1_3gpuE4ELNS1_3repE0EEENS1_30default_config_static_selectorELNS0_4arch9wavefront6targetE0EEEvS14_
; %bb.0:
	.section	.rodata,"a",@progbits
	.p2align	6, 0x0
	.amdhsa_kernel _ZN7rocprim17ROCPRIM_400000_NS6detail17trampoline_kernelINS0_14default_configENS1_22reduce_config_selectorIN6thrust23THRUST_200600_302600_NS5tupleIblNS6_9null_typeES8_S8_S8_S8_S8_S8_S8_EEEEZNS1_11reduce_implILb1ES3_NS6_12zip_iteratorINS7_INS6_11hip_rocprim26transform_input_iterator_tIbNSD_35transform_pair_of_input_iterators_tIbNS6_6detail15normal_iteratorINS6_10device_ptrIKxEEEESL_NS6_8equal_toIxEEEENSG_9not_fun_tINSD_8identityEEEEENSD_19counting_iterator_tIlEES8_S8_S8_S8_S8_S8_S8_S8_EEEEPS9_S9_NSD_9__find_if7functorIS9_EEEE10hipError_tPvRmT1_T2_T3_mT4_P12ihipStream_tbEUlT_E1_NS1_11comp_targetILNS1_3genE10ELNS1_11target_archE1200ELNS1_3gpuE4ELNS1_3repE0EEENS1_30default_config_static_selectorELNS0_4arch9wavefront6targetE0EEEvS14_
		.amdhsa_group_segment_fixed_size 0
		.amdhsa_private_segment_fixed_size 0
		.amdhsa_kernarg_size 88
		.amdhsa_user_sgpr_count 2
		.amdhsa_user_sgpr_dispatch_ptr 0
		.amdhsa_user_sgpr_queue_ptr 0
		.amdhsa_user_sgpr_kernarg_segment_ptr 1
		.amdhsa_user_sgpr_dispatch_id 0
		.amdhsa_user_sgpr_kernarg_preload_length 0
		.amdhsa_user_sgpr_kernarg_preload_offset 0
		.amdhsa_user_sgpr_private_segment_size 0
		.amdhsa_wavefront_size32 1
		.amdhsa_uses_dynamic_stack 0
		.amdhsa_enable_private_segment 0
		.amdhsa_system_sgpr_workgroup_id_x 1
		.amdhsa_system_sgpr_workgroup_id_y 0
		.amdhsa_system_sgpr_workgroup_id_z 0
		.amdhsa_system_sgpr_workgroup_info 0
		.amdhsa_system_vgpr_workitem_id 0
		.amdhsa_next_free_vgpr 1
		.amdhsa_next_free_sgpr 1
		.amdhsa_named_barrier_count 0
		.amdhsa_reserve_vcc 0
		.amdhsa_float_round_mode_32 0
		.amdhsa_float_round_mode_16_64 0
		.amdhsa_float_denorm_mode_32 3
		.amdhsa_float_denorm_mode_16_64 3
		.amdhsa_fp16_overflow 0
		.amdhsa_memory_ordered 1
		.amdhsa_forward_progress 1
		.amdhsa_inst_pref_size 0
		.amdhsa_round_robin_scheduling 0
		.amdhsa_exception_fp_ieee_invalid_op 0
		.amdhsa_exception_fp_denorm_src 0
		.amdhsa_exception_fp_ieee_div_zero 0
		.amdhsa_exception_fp_ieee_overflow 0
		.amdhsa_exception_fp_ieee_underflow 0
		.amdhsa_exception_fp_ieee_inexact 0
		.amdhsa_exception_int_div_zero 0
	.end_amdhsa_kernel
	.section	.text._ZN7rocprim17ROCPRIM_400000_NS6detail17trampoline_kernelINS0_14default_configENS1_22reduce_config_selectorIN6thrust23THRUST_200600_302600_NS5tupleIblNS6_9null_typeES8_S8_S8_S8_S8_S8_S8_EEEEZNS1_11reduce_implILb1ES3_NS6_12zip_iteratorINS7_INS6_11hip_rocprim26transform_input_iterator_tIbNSD_35transform_pair_of_input_iterators_tIbNS6_6detail15normal_iteratorINS6_10device_ptrIKxEEEESL_NS6_8equal_toIxEEEENSG_9not_fun_tINSD_8identityEEEEENSD_19counting_iterator_tIlEES8_S8_S8_S8_S8_S8_S8_S8_EEEEPS9_S9_NSD_9__find_if7functorIS9_EEEE10hipError_tPvRmT1_T2_T3_mT4_P12ihipStream_tbEUlT_E1_NS1_11comp_targetILNS1_3genE10ELNS1_11target_archE1200ELNS1_3gpuE4ELNS1_3repE0EEENS1_30default_config_static_selectorELNS0_4arch9wavefront6targetE0EEEvS14_,"axG",@progbits,_ZN7rocprim17ROCPRIM_400000_NS6detail17trampoline_kernelINS0_14default_configENS1_22reduce_config_selectorIN6thrust23THRUST_200600_302600_NS5tupleIblNS6_9null_typeES8_S8_S8_S8_S8_S8_S8_EEEEZNS1_11reduce_implILb1ES3_NS6_12zip_iteratorINS7_INS6_11hip_rocprim26transform_input_iterator_tIbNSD_35transform_pair_of_input_iterators_tIbNS6_6detail15normal_iteratorINS6_10device_ptrIKxEEEESL_NS6_8equal_toIxEEEENSG_9not_fun_tINSD_8identityEEEEENSD_19counting_iterator_tIlEES8_S8_S8_S8_S8_S8_S8_S8_EEEEPS9_S9_NSD_9__find_if7functorIS9_EEEE10hipError_tPvRmT1_T2_T3_mT4_P12ihipStream_tbEUlT_E1_NS1_11comp_targetILNS1_3genE10ELNS1_11target_archE1200ELNS1_3gpuE4ELNS1_3repE0EEENS1_30default_config_static_selectorELNS0_4arch9wavefront6targetE0EEEvS14_,comdat
.Lfunc_end240:
	.size	_ZN7rocprim17ROCPRIM_400000_NS6detail17trampoline_kernelINS0_14default_configENS1_22reduce_config_selectorIN6thrust23THRUST_200600_302600_NS5tupleIblNS6_9null_typeES8_S8_S8_S8_S8_S8_S8_EEEEZNS1_11reduce_implILb1ES3_NS6_12zip_iteratorINS7_INS6_11hip_rocprim26transform_input_iterator_tIbNSD_35transform_pair_of_input_iterators_tIbNS6_6detail15normal_iteratorINS6_10device_ptrIKxEEEESL_NS6_8equal_toIxEEEENSG_9not_fun_tINSD_8identityEEEEENSD_19counting_iterator_tIlEES8_S8_S8_S8_S8_S8_S8_S8_EEEEPS9_S9_NSD_9__find_if7functorIS9_EEEE10hipError_tPvRmT1_T2_T3_mT4_P12ihipStream_tbEUlT_E1_NS1_11comp_targetILNS1_3genE10ELNS1_11target_archE1200ELNS1_3gpuE4ELNS1_3repE0EEENS1_30default_config_static_selectorELNS0_4arch9wavefront6targetE0EEEvS14_, .Lfunc_end240-_ZN7rocprim17ROCPRIM_400000_NS6detail17trampoline_kernelINS0_14default_configENS1_22reduce_config_selectorIN6thrust23THRUST_200600_302600_NS5tupleIblNS6_9null_typeES8_S8_S8_S8_S8_S8_S8_EEEEZNS1_11reduce_implILb1ES3_NS6_12zip_iteratorINS7_INS6_11hip_rocprim26transform_input_iterator_tIbNSD_35transform_pair_of_input_iterators_tIbNS6_6detail15normal_iteratorINS6_10device_ptrIKxEEEESL_NS6_8equal_toIxEEEENSG_9not_fun_tINSD_8identityEEEEENSD_19counting_iterator_tIlEES8_S8_S8_S8_S8_S8_S8_S8_EEEEPS9_S9_NSD_9__find_if7functorIS9_EEEE10hipError_tPvRmT1_T2_T3_mT4_P12ihipStream_tbEUlT_E1_NS1_11comp_targetILNS1_3genE10ELNS1_11target_archE1200ELNS1_3gpuE4ELNS1_3repE0EEENS1_30default_config_static_selectorELNS0_4arch9wavefront6targetE0EEEvS14_
                                        ; -- End function
	.set _ZN7rocprim17ROCPRIM_400000_NS6detail17trampoline_kernelINS0_14default_configENS1_22reduce_config_selectorIN6thrust23THRUST_200600_302600_NS5tupleIblNS6_9null_typeES8_S8_S8_S8_S8_S8_S8_EEEEZNS1_11reduce_implILb1ES3_NS6_12zip_iteratorINS7_INS6_11hip_rocprim26transform_input_iterator_tIbNSD_35transform_pair_of_input_iterators_tIbNS6_6detail15normal_iteratorINS6_10device_ptrIKxEEEESL_NS6_8equal_toIxEEEENSG_9not_fun_tINSD_8identityEEEEENSD_19counting_iterator_tIlEES8_S8_S8_S8_S8_S8_S8_S8_EEEEPS9_S9_NSD_9__find_if7functorIS9_EEEE10hipError_tPvRmT1_T2_T3_mT4_P12ihipStream_tbEUlT_E1_NS1_11comp_targetILNS1_3genE10ELNS1_11target_archE1200ELNS1_3gpuE4ELNS1_3repE0EEENS1_30default_config_static_selectorELNS0_4arch9wavefront6targetE0EEEvS14_.num_vgpr, 0
	.set _ZN7rocprim17ROCPRIM_400000_NS6detail17trampoline_kernelINS0_14default_configENS1_22reduce_config_selectorIN6thrust23THRUST_200600_302600_NS5tupleIblNS6_9null_typeES8_S8_S8_S8_S8_S8_S8_EEEEZNS1_11reduce_implILb1ES3_NS6_12zip_iteratorINS7_INS6_11hip_rocprim26transform_input_iterator_tIbNSD_35transform_pair_of_input_iterators_tIbNS6_6detail15normal_iteratorINS6_10device_ptrIKxEEEESL_NS6_8equal_toIxEEEENSG_9not_fun_tINSD_8identityEEEEENSD_19counting_iterator_tIlEES8_S8_S8_S8_S8_S8_S8_S8_EEEEPS9_S9_NSD_9__find_if7functorIS9_EEEE10hipError_tPvRmT1_T2_T3_mT4_P12ihipStream_tbEUlT_E1_NS1_11comp_targetILNS1_3genE10ELNS1_11target_archE1200ELNS1_3gpuE4ELNS1_3repE0EEENS1_30default_config_static_selectorELNS0_4arch9wavefront6targetE0EEEvS14_.num_agpr, 0
	.set _ZN7rocprim17ROCPRIM_400000_NS6detail17trampoline_kernelINS0_14default_configENS1_22reduce_config_selectorIN6thrust23THRUST_200600_302600_NS5tupleIblNS6_9null_typeES8_S8_S8_S8_S8_S8_S8_EEEEZNS1_11reduce_implILb1ES3_NS6_12zip_iteratorINS7_INS6_11hip_rocprim26transform_input_iterator_tIbNSD_35transform_pair_of_input_iterators_tIbNS6_6detail15normal_iteratorINS6_10device_ptrIKxEEEESL_NS6_8equal_toIxEEEENSG_9not_fun_tINSD_8identityEEEEENSD_19counting_iterator_tIlEES8_S8_S8_S8_S8_S8_S8_S8_EEEEPS9_S9_NSD_9__find_if7functorIS9_EEEE10hipError_tPvRmT1_T2_T3_mT4_P12ihipStream_tbEUlT_E1_NS1_11comp_targetILNS1_3genE10ELNS1_11target_archE1200ELNS1_3gpuE4ELNS1_3repE0EEENS1_30default_config_static_selectorELNS0_4arch9wavefront6targetE0EEEvS14_.numbered_sgpr, 0
	.set _ZN7rocprim17ROCPRIM_400000_NS6detail17trampoline_kernelINS0_14default_configENS1_22reduce_config_selectorIN6thrust23THRUST_200600_302600_NS5tupleIblNS6_9null_typeES8_S8_S8_S8_S8_S8_S8_EEEEZNS1_11reduce_implILb1ES3_NS6_12zip_iteratorINS7_INS6_11hip_rocprim26transform_input_iterator_tIbNSD_35transform_pair_of_input_iterators_tIbNS6_6detail15normal_iteratorINS6_10device_ptrIKxEEEESL_NS6_8equal_toIxEEEENSG_9not_fun_tINSD_8identityEEEEENSD_19counting_iterator_tIlEES8_S8_S8_S8_S8_S8_S8_S8_EEEEPS9_S9_NSD_9__find_if7functorIS9_EEEE10hipError_tPvRmT1_T2_T3_mT4_P12ihipStream_tbEUlT_E1_NS1_11comp_targetILNS1_3genE10ELNS1_11target_archE1200ELNS1_3gpuE4ELNS1_3repE0EEENS1_30default_config_static_selectorELNS0_4arch9wavefront6targetE0EEEvS14_.num_named_barrier, 0
	.set _ZN7rocprim17ROCPRIM_400000_NS6detail17trampoline_kernelINS0_14default_configENS1_22reduce_config_selectorIN6thrust23THRUST_200600_302600_NS5tupleIblNS6_9null_typeES8_S8_S8_S8_S8_S8_S8_EEEEZNS1_11reduce_implILb1ES3_NS6_12zip_iteratorINS7_INS6_11hip_rocprim26transform_input_iterator_tIbNSD_35transform_pair_of_input_iterators_tIbNS6_6detail15normal_iteratorINS6_10device_ptrIKxEEEESL_NS6_8equal_toIxEEEENSG_9not_fun_tINSD_8identityEEEEENSD_19counting_iterator_tIlEES8_S8_S8_S8_S8_S8_S8_S8_EEEEPS9_S9_NSD_9__find_if7functorIS9_EEEE10hipError_tPvRmT1_T2_T3_mT4_P12ihipStream_tbEUlT_E1_NS1_11comp_targetILNS1_3genE10ELNS1_11target_archE1200ELNS1_3gpuE4ELNS1_3repE0EEENS1_30default_config_static_selectorELNS0_4arch9wavefront6targetE0EEEvS14_.private_seg_size, 0
	.set _ZN7rocprim17ROCPRIM_400000_NS6detail17trampoline_kernelINS0_14default_configENS1_22reduce_config_selectorIN6thrust23THRUST_200600_302600_NS5tupleIblNS6_9null_typeES8_S8_S8_S8_S8_S8_S8_EEEEZNS1_11reduce_implILb1ES3_NS6_12zip_iteratorINS7_INS6_11hip_rocprim26transform_input_iterator_tIbNSD_35transform_pair_of_input_iterators_tIbNS6_6detail15normal_iteratorINS6_10device_ptrIKxEEEESL_NS6_8equal_toIxEEEENSG_9not_fun_tINSD_8identityEEEEENSD_19counting_iterator_tIlEES8_S8_S8_S8_S8_S8_S8_S8_EEEEPS9_S9_NSD_9__find_if7functorIS9_EEEE10hipError_tPvRmT1_T2_T3_mT4_P12ihipStream_tbEUlT_E1_NS1_11comp_targetILNS1_3genE10ELNS1_11target_archE1200ELNS1_3gpuE4ELNS1_3repE0EEENS1_30default_config_static_selectorELNS0_4arch9wavefront6targetE0EEEvS14_.uses_vcc, 0
	.set _ZN7rocprim17ROCPRIM_400000_NS6detail17trampoline_kernelINS0_14default_configENS1_22reduce_config_selectorIN6thrust23THRUST_200600_302600_NS5tupleIblNS6_9null_typeES8_S8_S8_S8_S8_S8_S8_EEEEZNS1_11reduce_implILb1ES3_NS6_12zip_iteratorINS7_INS6_11hip_rocprim26transform_input_iterator_tIbNSD_35transform_pair_of_input_iterators_tIbNS6_6detail15normal_iteratorINS6_10device_ptrIKxEEEESL_NS6_8equal_toIxEEEENSG_9not_fun_tINSD_8identityEEEEENSD_19counting_iterator_tIlEES8_S8_S8_S8_S8_S8_S8_S8_EEEEPS9_S9_NSD_9__find_if7functorIS9_EEEE10hipError_tPvRmT1_T2_T3_mT4_P12ihipStream_tbEUlT_E1_NS1_11comp_targetILNS1_3genE10ELNS1_11target_archE1200ELNS1_3gpuE4ELNS1_3repE0EEENS1_30default_config_static_selectorELNS0_4arch9wavefront6targetE0EEEvS14_.uses_flat_scratch, 0
	.set _ZN7rocprim17ROCPRIM_400000_NS6detail17trampoline_kernelINS0_14default_configENS1_22reduce_config_selectorIN6thrust23THRUST_200600_302600_NS5tupleIblNS6_9null_typeES8_S8_S8_S8_S8_S8_S8_EEEEZNS1_11reduce_implILb1ES3_NS6_12zip_iteratorINS7_INS6_11hip_rocprim26transform_input_iterator_tIbNSD_35transform_pair_of_input_iterators_tIbNS6_6detail15normal_iteratorINS6_10device_ptrIKxEEEESL_NS6_8equal_toIxEEEENSG_9not_fun_tINSD_8identityEEEEENSD_19counting_iterator_tIlEES8_S8_S8_S8_S8_S8_S8_S8_EEEEPS9_S9_NSD_9__find_if7functorIS9_EEEE10hipError_tPvRmT1_T2_T3_mT4_P12ihipStream_tbEUlT_E1_NS1_11comp_targetILNS1_3genE10ELNS1_11target_archE1200ELNS1_3gpuE4ELNS1_3repE0EEENS1_30default_config_static_selectorELNS0_4arch9wavefront6targetE0EEEvS14_.has_dyn_sized_stack, 0
	.set _ZN7rocprim17ROCPRIM_400000_NS6detail17trampoline_kernelINS0_14default_configENS1_22reduce_config_selectorIN6thrust23THRUST_200600_302600_NS5tupleIblNS6_9null_typeES8_S8_S8_S8_S8_S8_S8_EEEEZNS1_11reduce_implILb1ES3_NS6_12zip_iteratorINS7_INS6_11hip_rocprim26transform_input_iterator_tIbNSD_35transform_pair_of_input_iterators_tIbNS6_6detail15normal_iteratorINS6_10device_ptrIKxEEEESL_NS6_8equal_toIxEEEENSG_9not_fun_tINSD_8identityEEEEENSD_19counting_iterator_tIlEES8_S8_S8_S8_S8_S8_S8_S8_EEEEPS9_S9_NSD_9__find_if7functorIS9_EEEE10hipError_tPvRmT1_T2_T3_mT4_P12ihipStream_tbEUlT_E1_NS1_11comp_targetILNS1_3genE10ELNS1_11target_archE1200ELNS1_3gpuE4ELNS1_3repE0EEENS1_30default_config_static_selectorELNS0_4arch9wavefront6targetE0EEEvS14_.has_recursion, 0
	.set _ZN7rocprim17ROCPRIM_400000_NS6detail17trampoline_kernelINS0_14default_configENS1_22reduce_config_selectorIN6thrust23THRUST_200600_302600_NS5tupleIblNS6_9null_typeES8_S8_S8_S8_S8_S8_S8_EEEEZNS1_11reduce_implILb1ES3_NS6_12zip_iteratorINS7_INS6_11hip_rocprim26transform_input_iterator_tIbNSD_35transform_pair_of_input_iterators_tIbNS6_6detail15normal_iteratorINS6_10device_ptrIKxEEEESL_NS6_8equal_toIxEEEENSG_9not_fun_tINSD_8identityEEEEENSD_19counting_iterator_tIlEES8_S8_S8_S8_S8_S8_S8_S8_EEEEPS9_S9_NSD_9__find_if7functorIS9_EEEE10hipError_tPvRmT1_T2_T3_mT4_P12ihipStream_tbEUlT_E1_NS1_11comp_targetILNS1_3genE10ELNS1_11target_archE1200ELNS1_3gpuE4ELNS1_3repE0EEENS1_30default_config_static_selectorELNS0_4arch9wavefront6targetE0EEEvS14_.has_indirect_call, 0
	.section	.AMDGPU.csdata,"",@progbits
; Kernel info:
; codeLenInByte = 0
; TotalNumSgprs: 0
; NumVgprs: 0
; ScratchSize: 0
; MemoryBound: 0
; FloatMode: 240
; IeeeMode: 1
; LDSByteSize: 0 bytes/workgroup (compile time only)
; SGPRBlocks: 0
; VGPRBlocks: 0
; NumSGPRsForWavesPerEU: 1
; NumVGPRsForWavesPerEU: 1
; NamedBarCnt: 0
; Occupancy: 16
; WaveLimiterHint : 0
; COMPUTE_PGM_RSRC2:SCRATCH_EN: 0
; COMPUTE_PGM_RSRC2:USER_SGPR: 2
; COMPUTE_PGM_RSRC2:TRAP_HANDLER: 0
; COMPUTE_PGM_RSRC2:TGID_X_EN: 1
; COMPUTE_PGM_RSRC2:TGID_Y_EN: 0
; COMPUTE_PGM_RSRC2:TGID_Z_EN: 0
; COMPUTE_PGM_RSRC2:TIDIG_COMP_CNT: 0
	.section	.text._ZN7rocprim17ROCPRIM_400000_NS6detail17trampoline_kernelINS0_14default_configENS1_22reduce_config_selectorIN6thrust23THRUST_200600_302600_NS5tupleIblNS6_9null_typeES8_S8_S8_S8_S8_S8_S8_EEEEZNS1_11reduce_implILb1ES3_NS6_12zip_iteratorINS7_INS6_11hip_rocprim26transform_input_iterator_tIbNSD_35transform_pair_of_input_iterators_tIbNS6_6detail15normal_iteratorINS6_10device_ptrIKxEEEESL_NS6_8equal_toIxEEEENSG_9not_fun_tINSD_8identityEEEEENSD_19counting_iterator_tIlEES8_S8_S8_S8_S8_S8_S8_S8_EEEEPS9_S9_NSD_9__find_if7functorIS9_EEEE10hipError_tPvRmT1_T2_T3_mT4_P12ihipStream_tbEUlT_E1_NS1_11comp_targetILNS1_3genE9ELNS1_11target_archE1100ELNS1_3gpuE3ELNS1_3repE0EEENS1_30default_config_static_selectorELNS0_4arch9wavefront6targetE0EEEvS14_,"axG",@progbits,_ZN7rocprim17ROCPRIM_400000_NS6detail17trampoline_kernelINS0_14default_configENS1_22reduce_config_selectorIN6thrust23THRUST_200600_302600_NS5tupleIblNS6_9null_typeES8_S8_S8_S8_S8_S8_S8_EEEEZNS1_11reduce_implILb1ES3_NS6_12zip_iteratorINS7_INS6_11hip_rocprim26transform_input_iterator_tIbNSD_35transform_pair_of_input_iterators_tIbNS6_6detail15normal_iteratorINS6_10device_ptrIKxEEEESL_NS6_8equal_toIxEEEENSG_9not_fun_tINSD_8identityEEEEENSD_19counting_iterator_tIlEES8_S8_S8_S8_S8_S8_S8_S8_EEEEPS9_S9_NSD_9__find_if7functorIS9_EEEE10hipError_tPvRmT1_T2_T3_mT4_P12ihipStream_tbEUlT_E1_NS1_11comp_targetILNS1_3genE9ELNS1_11target_archE1100ELNS1_3gpuE3ELNS1_3repE0EEENS1_30default_config_static_selectorELNS0_4arch9wavefront6targetE0EEEvS14_,comdat
	.protected	_ZN7rocprim17ROCPRIM_400000_NS6detail17trampoline_kernelINS0_14default_configENS1_22reduce_config_selectorIN6thrust23THRUST_200600_302600_NS5tupleIblNS6_9null_typeES8_S8_S8_S8_S8_S8_S8_EEEEZNS1_11reduce_implILb1ES3_NS6_12zip_iteratorINS7_INS6_11hip_rocprim26transform_input_iterator_tIbNSD_35transform_pair_of_input_iterators_tIbNS6_6detail15normal_iteratorINS6_10device_ptrIKxEEEESL_NS6_8equal_toIxEEEENSG_9not_fun_tINSD_8identityEEEEENSD_19counting_iterator_tIlEES8_S8_S8_S8_S8_S8_S8_S8_EEEEPS9_S9_NSD_9__find_if7functorIS9_EEEE10hipError_tPvRmT1_T2_T3_mT4_P12ihipStream_tbEUlT_E1_NS1_11comp_targetILNS1_3genE9ELNS1_11target_archE1100ELNS1_3gpuE3ELNS1_3repE0EEENS1_30default_config_static_selectorELNS0_4arch9wavefront6targetE0EEEvS14_ ; -- Begin function _ZN7rocprim17ROCPRIM_400000_NS6detail17trampoline_kernelINS0_14default_configENS1_22reduce_config_selectorIN6thrust23THRUST_200600_302600_NS5tupleIblNS6_9null_typeES8_S8_S8_S8_S8_S8_S8_EEEEZNS1_11reduce_implILb1ES3_NS6_12zip_iteratorINS7_INS6_11hip_rocprim26transform_input_iterator_tIbNSD_35transform_pair_of_input_iterators_tIbNS6_6detail15normal_iteratorINS6_10device_ptrIKxEEEESL_NS6_8equal_toIxEEEENSG_9not_fun_tINSD_8identityEEEEENSD_19counting_iterator_tIlEES8_S8_S8_S8_S8_S8_S8_S8_EEEEPS9_S9_NSD_9__find_if7functorIS9_EEEE10hipError_tPvRmT1_T2_T3_mT4_P12ihipStream_tbEUlT_E1_NS1_11comp_targetILNS1_3genE9ELNS1_11target_archE1100ELNS1_3gpuE3ELNS1_3repE0EEENS1_30default_config_static_selectorELNS0_4arch9wavefront6targetE0EEEvS14_
	.globl	_ZN7rocprim17ROCPRIM_400000_NS6detail17trampoline_kernelINS0_14default_configENS1_22reduce_config_selectorIN6thrust23THRUST_200600_302600_NS5tupleIblNS6_9null_typeES8_S8_S8_S8_S8_S8_S8_EEEEZNS1_11reduce_implILb1ES3_NS6_12zip_iteratorINS7_INS6_11hip_rocprim26transform_input_iterator_tIbNSD_35transform_pair_of_input_iterators_tIbNS6_6detail15normal_iteratorINS6_10device_ptrIKxEEEESL_NS6_8equal_toIxEEEENSG_9not_fun_tINSD_8identityEEEEENSD_19counting_iterator_tIlEES8_S8_S8_S8_S8_S8_S8_S8_EEEEPS9_S9_NSD_9__find_if7functorIS9_EEEE10hipError_tPvRmT1_T2_T3_mT4_P12ihipStream_tbEUlT_E1_NS1_11comp_targetILNS1_3genE9ELNS1_11target_archE1100ELNS1_3gpuE3ELNS1_3repE0EEENS1_30default_config_static_selectorELNS0_4arch9wavefront6targetE0EEEvS14_
	.p2align	8
	.type	_ZN7rocprim17ROCPRIM_400000_NS6detail17trampoline_kernelINS0_14default_configENS1_22reduce_config_selectorIN6thrust23THRUST_200600_302600_NS5tupleIblNS6_9null_typeES8_S8_S8_S8_S8_S8_S8_EEEEZNS1_11reduce_implILb1ES3_NS6_12zip_iteratorINS7_INS6_11hip_rocprim26transform_input_iterator_tIbNSD_35transform_pair_of_input_iterators_tIbNS6_6detail15normal_iteratorINS6_10device_ptrIKxEEEESL_NS6_8equal_toIxEEEENSG_9not_fun_tINSD_8identityEEEEENSD_19counting_iterator_tIlEES8_S8_S8_S8_S8_S8_S8_S8_EEEEPS9_S9_NSD_9__find_if7functorIS9_EEEE10hipError_tPvRmT1_T2_T3_mT4_P12ihipStream_tbEUlT_E1_NS1_11comp_targetILNS1_3genE9ELNS1_11target_archE1100ELNS1_3gpuE3ELNS1_3repE0EEENS1_30default_config_static_selectorELNS0_4arch9wavefront6targetE0EEEvS14_,@function
_ZN7rocprim17ROCPRIM_400000_NS6detail17trampoline_kernelINS0_14default_configENS1_22reduce_config_selectorIN6thrust23THRUST_200600_302600_NS5tupleIblNS6_9null_typeES8_S8_S8_S8_S8_S8_S8_EEEEZNS1_11reduce_implILb1ES3_NS6_12zip_iteratorINS7_INS6_11hip_rocprim26transform_input_iterator_tIbNSD_35transform_pair_of_input_iterators_tIbNS6_6detail15normal_iteratorINS6_10device_ptrIKxEEEESL_NS6_8equal_toIxEEEENSG_9not_fun_tINSD_8identityEEEEENSD_19counting_iterator_tIlEES8_S8_S8_S8_S8_S8_S8_S8_EEEEPS9_S9_NSD_9__find_if7functorIS9_EEEE10hipError_tPvRmT1_T2_T3_mT4_P12ihipStream_tbEUlT_E1_NS1_11comp_targetILNS1_3genE9ELNS1_11target_archE1100ELNS1_3gpuE3ELNS1_3repE0EEENS1_30default_config_static_selectorELNS0_4arch9wavefront6targetE0EEEvS14_: ; @_ZN7rocprim17ROCPRIM_400000_NS6detail17trampoline_kernelINS0_14default_configENS1_22reduce_config_selectorIN6thrust23THRUST_200600_302600_NS5tupleIblNS6_9null_typeES8_S8_S8_S8_S8_S8_S8_EEEEZNS1_11reduce_implILb1ES3_NS6_12zip_iteratorINS7_INS6_11hip_rocprim26transform_input_iterator_tIbNSD_35transform_pair_of_input_iterators_tIbNS6_6detail15normal_iteratorINS6_10device_ptrIKxEEEESL_NS6_8equal_toIxEEEENSG_9not_fun_tINSD_8identityEEEEENSD_19counting_iterator_tIlEES8_S8_S8_S8_S8_S8_S8_S8_EEEEPS9_S9_NSD_9__find_if7functorIS9_EEEE10hipError_tPvRmT1_T2_T3_mT4_P12ihipStream_tbEUlT_E1_NS1_11comp_targetILNS1_3genE9ELNS1_11target_archE1100ELNS1_3gpuE3ELNS1_3repE0EEENS1_30default_config_static_selectorELNS0_4arch9wavefront6targetE0EEEvS14_
; %bb.0:
	.section	.rodata,"a",@progbits
	.p2align	6, 0x0
	.amdhsa_kernel _ZN7rocprim17ROCPRIM_400000_NS6detail17trampoline_kernelINS0_14default_configENS1_22reduce_config_selectorIN6thrust23THRUST_200600_302600_NS5tupleIblNS6_9null_typeES8_S8_S8_S8_S8_S8_S8_EEEEZNS1_11reduce_implILb1ES3_NS6_12zip_iteratorINS7_INS6_11hip_rocprim26transform_input_iterator_tIbNSD_35transform_pair_of_input_iterators_tIbNS6_6detail15normal_iteratorINS6_10device_ptrIKxEEEESL_NS6_8equal_toIxEEEENSG_9not_fun_tINSD_8identityEEEEENSD_19counting_iterator_tIlEES8_S8_S8_S8_S8_S8_S8_S8_EEEEPS9_S9_NSD_9__find_if7functorIS9_EEEE10hipError_tPvRmT1_T2_T3_mT4_P12ihipStream_tbEUlT_E1_NS1_11comp_targetILNS1_3genE9ELNS1_11target_archE1100ELNS1_3gpuE3ELNS1_3repE0EEENS1_30default_config_static_selectorELNS0_4arch9wavefront6targetE0EEEvS14_
		.amdhsa_group_segment_fixed_size 0
		.amdhsa_private_segment_fixed_size 0
		.amdhsa_kernarg_size 88
		.amdhsa_user_sgpr_count 2
		.amdhsa_user_sgpr_dispatch_ptr 0
		.amdhsa_user_sgpr_queue_ptr 0
		.amdhsa_user_sgpr_kernarg_segment_ptr 1
		.amdhsa_user_sgpr_dispatch_id 0
		.amdhsa_user_sgpr_kernarg_preload_length 0
		.amdhsa_user_sgpr_kernarg_preload_offset 0
		.amdhsa_user_sgpr_private_segment_size 0
		.amdhsa_wavefront_size32 1
		.amdhsa_uses_dynamic_stack 0
		.amdhsa_enable_private_segment 0
		.amdhsa_system_sgpr_workgroup_id_x 1
		.amdhsa_system_sgpr_workgroup_id_y 0
		.amdhsa_system_sgpr_workgroup_id_z 0
		.amdhsa_system_sgpr_workgroup_info 0
		.amdhsa_system_vgpr_workitem_id 0
		.amdhsa_next_free_vgpr 1
		.amdhsa_next_free_sgpr 1
		.amdhsa_named_barrier_count 0
		.amdhsa_reserve_vcc 0
		.amdhsa_float_round_mode_32 0
		.amdhsa_float_round_mode_16_64 0
		.amdhsa_float_denorm_mode_32 3
		.amdhsa_float_denorm_mode_16_64 3
		.amdhsa_fp16_overflow 0
		.amdhsa_memory_ordered 1
		.amdhsa_forward_progress 1
		.amdhsa_inst_pref_size 0
		.amdhsa_round_robin_scheduling 0
		.amdhsa_exception_fp_ieee_invalid_op 0
		.amdhsa_exception_fp_denorm_src 0
		.amdhsa_exception_fp_ieee_div_zero 0
		.amdhsa_exception_fp_ieee_overflow 0
		.amdhsa_exception_fp_ieee_underflow 0
		.amdhsa_exception_fp_ieee_inexact 0
		.amdhsa_exception_int_div_zero 0
	.end_amdhsa_kernel
	.section	.text._ZN7rocprim17ROCPRIM_400000_NS6detail17trampoline_kernelINS0_14default_configENS1_22reduce_config_selectorIN6thrust23THRUST_200600_302600_NS5tupleIblNS6_9null_typeES8_S8_S8_S8_S8_S8_S8_EEEEZNS1_11reduce_implILb1ES3_NS6_12zip_iteratorINS7_INS6_11hip_rocprim26transform_input_iterator_tIbNSD_35transform_pair_of_input_iterators_tIbNS6_6detail15normal_iteratorINS6_10device_ptrIKxEEEESL_NS6_8equal_toIxEEEENSG_9not_fun_tINSD_8identityEEEEENSD_19counting_iterator_tIlEES8_S8_S8_S8_S8_S8_S8_S8_EEEEPS9_S9_NSD_9__find_if7functorIS9_EEEE10hipError_tPvRmT1_T2_T3_mT4_P12ihipStream_tbEUlT_E1_NS1_11comp_targetILNS1_3genE9ELNS1_11target_archE1100ELNS1_3gpuE3ELNS1_3repE0EEENS1_30default_config_static_selectorELNS0_4arch9wavefront6targetE0EEEvS14_,"axG",@progbits,_ZN7rocprim17ROCPRIM_400000_NS6detail17trampoline_kernelINS0_14default_configENS1_22reduce_config_selectorIN6thrust23THRUST_200600_302600_NS5tupleIblNS6_9null_typeES8_S8_S8_S8_S8_S8_S8_EEEEZNS1_11reduce_implILb1ES3_NS6_12zip_iteratorINS7_INS6_11hip_rocprim26transform_input_iterator_tIbNSD_35transform_pair_of_input_iterators_tIbNS6_6detail15normal_iteratorINS6_10device_ptrIKxEEEESL_NS6_8equal_toIxEEEENSG_9not_fun_tINSD_8identityEEEEENSD_19counting_iterator_tIlEES8_S8_S8_S8_S8_S8_S8_S8_EEEEPS9_S9_NSD_9__find_if7functorIS9_EEEE10hipError_tPvRmT1_T2_T3_mT4_P12ihipStream_tbEUlT_E1_NS1_11comp_targetILNS1_3genE9ELNS1_11target_archE1100ELNS1_3gpuE3ELNS1_3repE0EEENS1_30default_config_static_selectorELNS0_4arch9wavefront6targetE0EEEvS14_,comdat
.Lfunc_end241:
	.size	_ZN7rocprim17ROCPRIM_400000_NS6detail17trampoline_kernelINS0_14default_configENS1_22reduce_config_selectorIN6thrust23THRUST_200600_302600_NS5tupleIblNS6_9null_typeES8_S8_S8_S8_S8_S8_S8_EEEEZNS1_11reduce_implILb1ES3_NS6_12zip_iteratorINS7_INS6_11hip_rocprim26transform_input_iterator_tIbNSD_35transform_pair_of_input_iterators_tIbNS6_6detail15normal_iteratorINS6_10device_ptrIKxEEEESL_NS6_8equal_toIxEEEENSG_9not_fun_tINSD_8identityEEEEENSD_19counting_iterator_tIlEES8_S8_S8_S8_S8_S8_S8_S8_EEEEPS9_S9_NSD_9__find_if7functorIS9_EEEE10hipError_tPvRmT1_T2_T3_mT4_P12ihipStream_tbEUlT_E1_NS1_11comp_targetILNS1_3genE9ELNS1_11target_archE1100ELNS1_3gpuE3ELNS1_3repE0EEENS1_30default_config_static_selectorELNS0_4arch9wavefront6targetE0EEEvS14_, .Lfunc_end241-_ZN7rocprim17ROCPRIM_400000_NS6detail17trampoline_kernelINS0_14default_configENS1_22reduce_config_selectorIN6thrust23THRUST_200600_302600_NS5tupleIblNS6_9null_typeES8_S8_S8_S8_S8_S8_S8_EEEEZNS1_11reduce_implILb1ES3_NS6_12zip_iteratorINS7_INS6_11hip_rocprim26transform_input_iterator_tIbNSD_35transform_pair_of_input_iterators_tIbNS6_6detail15normal_iteratorINS6_10device_ptrIKxEEEESL_NS6_8equal_toIxEEEENSG_9not_fun_tINSD_8identityEEEEENSD_19counting_iterator_tIlEES8_S8_S8_S8_S8_S8_S8_S8_EEEEPS9_S9_NSD_9__find_if7functorIS9_EEEE10hipError_tPvRmT1_T2_T3_mT4_P12ihipStream_tbEUlT_E1_NS1_11comp_targetILNS1_3genE9ELNS1_11target_archE1100ELNS1_3gpuE3ELNS1_3repE0EEENS1_30default_config_static_selectorELNS0_4arch9wavefront6targetE0EEEvS14_
                                        ; -- End function
	.set _ZN7rocprim17ROCPRIM_400000_NS6detail17trampoline_kernelINS0_14default_configENS1_22reduce_config_selectorIN6thrust23THRUST_200600_302600_NS5tupleIblNS6_9null_typeES8_S8_S8_S8_S8_S8_S8_EEEEZNS1_11reduce_implILb1ES3_NS6_12zip_iteratorINS7_INS6_11hip_rocprim26transform_input_iterator_tIbNSD_35transform_pair_of_input_iterators_tIbNS6_6detail15normal_iteratorINS6_10device_ptrIKxEEEESL_NS6_8equal_toIxEEEENSG_9not_fun_tINSD_8identityEEEEENSD_19counting_iterator_tIlEES8_S8_S8_S8_S8_S8_S8_S8_EEEEPS9_S9_NSD_9__find_if7functorIS9_EEEE10hipError_tPvRmT1_T2_T3_mT4_P12ihipStream_tbEUlT_E1_NS1_11comp_targetILNS1_3genE9ELNS1_11target_archE1100ELNS1_3gpuE3ELNS1_3repE0EEENS1_30default_config_static_selectorELNS0_4arch9wavefront6targetE0EEEvS14_.num_vgpr, 0
	.set _ZN7rocprim17ROCPRIM_400000_NS6detail17trampoline_kernelINS0_14default_configENS1_22reduce_config_selectorIN6thrust23THRUST_200600_302600_NS5tupleIblNS6_9null_typeES8_S8_S8_S8_S8_S8_S8_EEEEZNS1_11reduce_implILb1ES3_NS6_12zip_iteratorINS7_INS6_11hip_rocprim26transform_input_iterator_tIbNSD_35transform_pair_of_input_iterators_tIbNS6_6detail15normal_iteratorINS6_10device_ptrIKxEEEESL_NS6_8equal_toIxEEEENSG_9not_fun_tINSD_8identityEEEEENSD_19counting_iterator_tIlEES8_S8_S8_S8_S8_S8_S8_S8_EEEEPS9_S9_NSD_9__find_if7functorIS9_EEEE10hipError_tPvRmT1_T2_T3_mT4_P12ihipStream_tbEUlT_E1_NS1_11comp_targetILNS1_3genE9ELNS1_11target_archE1100ELNS1_3gpuE3ELNS1_3repE0EEENS1_30default_config_static_selectorELNS0_4arch9wavefront6targetE0EEEvS14_.num_agpr, 0
	.set _ZN7rocprim17ROCPRIM_400000_NS6detail17trampoline_kernelINS0_14default_configENS1_22reduce_config_selectorIN6thrust23THRUST_200600_302600_NS5tupleIblNS6_9null_typeES8_S8_S8_S8_S8_S8_S8_EEEEZNS1_11reduce_implILb1ES3_NS6_12zip_iteratorINS7_INS6_11hip_rocprim26transform_input_iterator_tIbNSD_35transform_pair_of_input_iterators_tIbNS6_6detail15normal_iteratorINS6_10device_ptrIKxEEEESL_NS6_8equal_toIxEEEENSG_9not_fun_tINSD_8identityEEEEENSD_19counting_iterator_tIlEES8_S8_S8_S8_S8_S8_S8_S8_EEEEPS9_S9_NSD_9__find_if7functorIS9_EEEE10hipError_tPvRmT1_T2_T3_mT4_P12ihipStream_tbEUlT_E1_NS1_11comp_targetILNS1_3genE9ELNS1_11target_archE1100ELNS1_3gpuE3ELNS1_3repE0EEENS1_30default_config_static_selectorELNS0_4arch9wavefront6targetE0EEEvS14_.numbered_sgpr, 0
	.set _ZN7rocprim17ROCPRIM_400000_NS6detail17trampoline_kernelINS0_14default_configENS1_22reduce_config_selectorIN6thrust23THRUST_200600_302600_NS5tupleIblNS6_9null_typeES8_S8_S8_S8_S8_S8_S8_EEEEZNS1_11reduce_implILb1ES3_NS6_12zip_iteratorINS7_INS6_11hip_rocprim26transform_input_iterator_tIbNSD_35transform_pair_of_input_iterators_tIbNS6_6detail15normal_iteratorINS6_10device_ptrIKxEEEESL_NS6_8equal_toIxEEEENSG_9not_fun_tINSD_8identityEEEEENSD_19counting_iterator_tIlEES8_S8_S8_S8_S8_S8_S8_S8_EEEEPS9_S9_NSD_9__find_if7functorIS9_EEEE10hipError_tPvRmT1_T2_T3_mT4_P12ihipStream_tbEUlT_E1_NS1_11comp_targetILNS1_3genE9ELNS1_11target_archE1100ELNS1_3gpuE3ELNS1_3repE0EEENS1_30default_config_static_selectorELNS0_4arch9wavefront6targetE0EEEvS14_.num_named_barrier, 0
	.set _ZN7rocprim17ROCPRIM_400000_NS6detail17trampoline_kernelINS0_14default_configENS1_22reduce_config_selectorIN6thrust23THRUST_200600_302600_NS5tupleIblNS6_9null_typeES8_S8_S8_S8_S8_S8_S8_EEEEZNS1_11reduce_implILb1ES3_NS6_12zip_iteratorINS7_INS6_11hip_rocprim26transform_input_iterator_tIbNSD_35transform_pair_of_input_iterators_tIbNS6_6detail15normal_iteratorINS6_10device_ptrIKxEEEESL_NS6_8equal_toIxEEEENSG_9not_fun_tINSD_8identityEEEEENSD_19counting_iterator_tIlEES8_S8_S8_S8_S8_S8_S8_S8_EEEEPS9_S9_NSD_9__find_if7functorIS9_EEEE10hipError_tPvRmT1_T2_T3_mT4_P12ihipStream_tbEUlT_E1_NS1_11comp_targetILNS1_3genE9ELNS1_11target_archE1100ELNS1_3gpuE3ELNS1_3repE0EEENS1_30default_config_static_selectorELNS0_4arch9wavefront6targetE0EEEvS14_.private_seg_size, 0
	.set _ZN7rocprim17ROCPRIM_400000_NS6detail17trampoline_kernelINS0_14default_configENS1_22reduce_config_selectorIN6thrust23THRUST_200600_302600_NS5tupleIblNS6_9null_typeES8_S8_S8_S8_S8_S8_S8_EEEEZNS1_11reduce_implILb1ES3_NS6_12zip_iteratorINS7_INS6_11hip_rocprim26transform_input_iterator_tIbNSD_35transform_pair_of_input_iterators_tIbNS6_6detail15normal_iteratorINS6_10device_ptrIKxEEEESL_NS6_8equal_toIxEEEENSG_9not_fun_tINSD_8identityEEEEENSD_19counting_iterator_tIlEES8_S8_S8_S8_S8_S8_S8_S8_EEEEPS9_S9_NSD_9__find_if7functorIS9_EEEE10hipError_tPvRmT1_T2_T3_mT4_P12ihipStream_tbEUlT_E1_NS1_11comp_targetILNS1_3genE9ELNS1_11target_archE1100ELNS1_3gpuE3ELNS1_3repE0EEENS1_30default_config_static_selectorELNS0_4arch9wavefront6targetE0EEEvS14_.uses_vcc, 0
	.set _ZN7rocprim17ROCPRIM_400000_NS6detail17trampoline_kernelINS0_14default_configENS1_22reduce_config_selectorIN6thrust23THRUST_200600_302600_NS5tupleIblNS6_9null_typeES8_S8_S8_S8_S8_S8_S8_EEEEZNS1_11reduce_implILb1ES3_NS6_12zip_iteratorINS7_INS6_11hip_rocprim26transform_input_iterator_tIbNSD_35transform_pair_of_input_iterators_tIbNS6_6detail15normal_iteratorINS6_10device_ptrIKxEEEESL_NS6_8equal_toIxEEEENSG_9not_fun_tINSD_8identityEEEEENSD_19counting_iterator_tIlEES8_S8_S8_S8_S8_S8_S8_S8_EEEEPS9_S9_NSD_9__find_if7functorIS9_EEEE10hipError_tPvRmT1_T2_T3_mT4_P12ihipStream_tbEUlT_E1_NS1_11comp_targetILNS1_3genE9ELNS1_11target_archE1100ELNS1_3gpuE3ELNS1_3repE0EEENS1_30default_config_static_selectorELNS0_4arch9wavefront6targetE0EEEvS14_.uses_flat_scratch, 0
	.set _ZN7rocprim17ROCPRIM_400000_NS6detail17trampoline_kernelINS0_14default_configENS1_22reduce_config_selectorIN6thrust23THRUST_200600_302600_NS5tupleIblNS6_9null_typeES8_S8_S8_S8_S8_S8_S8_EEEEZNS1_11reduce_implILb1ES3_NS6_12zip_iteratorINS7_INS6_11hip_rocprim26transform_input_iterator_tIbNSD_35transform_pair_of_input_iterators_tIbNS6_6detail15normal_iteratorINS6_10device_ptrIKxEEEESL_NS6_8equal_toIxEEEENSG_9not_fun_tINSD_8identityEEEEENSD_19counting_iterator_tIlEES8_S8_S8_S8_S8_S8_S8_S8_EEEEPS9_S9_NSD_9__find_if7functorIS9_EEEE10hipError_tPvRmT1_T2_T3_mT4_P12ihipStream_tbEUlT_E1_NS1_11comp_targetILNS1_3genE9ELNS1_11target_archE1100ELNS1_3gpuE3ELNS1_3repE0EEENS1_30default_config_static_selectorELNS0_4arch9wavefront6targetE0EEEvS14_.has_dyn_sized_stack, 0
	.set _ZN7rocprim17ROCPRIM_400000_NS6detail17trampoline_kernelINS0_14default_configENS1_22reduce_config_selectorIN6thrust23THRUST_200600_302600_NS5tupleIblNS6_9null_typeES8_S8_S8_S8_S8_S8_S8_EEEEZNS1_11reduce_implILb1ES3_NS6_12zip_iteratorINS7_INS6_11hip_rocprim26transform_input_iterator_tIbNSD_35transform_pair_of_input_iterators_tIbNS6_6detail15normal_iteratorINS6_10device_ptrIKxEEEESL_NS6_8equal_toIxEEEENSG_9not_fun_tINSD_8identityEEEEENSD_19counting_iterator_tIlEES8_S8_S8_S8_S8_S8_S8_S8_EEEEPS9_S9_NSD_9__find_if7functorIS9_EEEE10hipError_tPvRmT1_T2_T3_mT4_P12ihipStream_tbEUlT_E1_NS1_11comp_targetILNS1_3genE9ELNS1_11target_archE1100ELNS1_3gpuE3ELNS1_3repE0EEENS1_30default_config_static_selectorELNS0_4arch9wavefront6targetE0EEEvS14_.has_recursion, 0
	.set _ZN7rocprim17ROCPRIM_400000_NS6detail17trampoline_kernelINS0_14default_configENS1_22reduce_config_selectorIN6thrust23THRUST_200600_302600_NS5tupleIblNS6_9null_typeES8_S8_S8_S8_S8_S8_S8_EEEEZNS1_11reduce_implILb1ES3_NS6_12zip_iteratorINS7_INS6_11hip_rocprim26transform_input_iterator_tIbNSD_35transform_pair_of_input_iterators_tIbNS6_6detail15normal_iteratorINS6_10device_ptrIKxEEEESL_NS6_8equal_toIxEEEENSG_9not_fun_tINSD_8identityEEEEENSD_19counting_iterator_tIlEES8_S8_S8_S8_S8_S8_S8_S8_EEEEPS9_S9_NSD_9__find_if7functorIS9_EEEE10hipError_tPvRmT1_T2_T3_mT4_P12ihipStream_tbEUlT_E1_NS1_11comp_targetILNS1_3genE9ELNS1_11target_archE1100ELNS1_3gpuE3ELNS1_3repE0EEENS1_30default_config_static_selectorELNS0_4arch9wavefront6targetE0EEEvS14_.has_indirect_call, 0
	.section	.AMDGPU.csdata,"",@progbits
; Kernel info:
; codeLenInByte = 0
; TotalNumSgprs: 0
; NumVgprs: 0
; ScratchSize: 0
; MemoryBound: 0
; FloatMode: 240
; IeeeMode: 1
; LDSByteSize: 0 bytes/workgroup (compile time only)
; SGPRBlocks: 0
; VGPRBlocks: 0
; NumSGPRsForWavesPerEU: 1
; NumVGPRsForWavesPerEU: 1
; NamedBarCnt: 0
; Occupancy: 16
; WaveLimiterHint : 0
; COMPUTE_PGM_RSRC2:SCRATCH_EN: 0
; COMPUTE_PGM_RSRC2:USER_SGPR: 2
; COMPUTE_PGM_RSRC2:TRAP_HANDLER: 0
; COMPUTE_PGM_RSRC2:TGID_X_EN: 1
; COMPUTE_PGM_RSRC2:TGID_Y_EN: 0
; COMPUTE_PGM_RSRC2:TGID_Z_EN: 0
; COMPUTE_PGM_RSRC2:TIDIG_COMP_CNT: 0
	.section	.text._ZN7rocprim17ROCPRIM_400000_NS6detail17trampoline_kernelINS0_14default_configENS1_22reduce_config_selectorIN6thrust23THRUST_200600_302600_NS5tupleIblNS6_9null_typeES8_S8_S8_S8_S8_S8_S8_EEEEZNS1_11reduce_implILb1ES3_NS6_12zip_iteratorINS7_INS6_11hip_rocprim26transform_input_iterator_tIbNSD_35transform_pair_of_input_iterators_tIbNS6_6detail15normal_iteratorINS6_10device_ptrIKxEEEESL_NS6_8equal_toIxEEEENSG_9not_fun_tINSD_8identityEEEEENSD_19counting_iterator_tIlEES8_S8_S8_S8_S8_S8_S8_S8_EEEEPS9_S9_NSD_9__find_if7functorIS9_EEEE10hipError_tPvRmT1_T2_T3_mT4_P12ihipStream_tbEUlT_E1_NS1_11comp_targetILNS1_3genE8ELNS1_11target_archE1030ELNS1_3gpuE2ELNS1_3repE0EEENS1_30default_config_static_selectorELNS0_4arch9wavefront6targetE0EEEvS14_,"axG",@progbits,_ZN7rocprim17ROCPRIM_400000_NS6detail17trampoline_kernelINS0_14default_configENS1_22reduce_config_selectorIN6thrust23THRUST_200600_302600_NS5tupleIblNS6_9null_typeES8_S8_S8_S8_S8_S8_S8_EEEEZNS1_11reduce_implILb1ES3_NS6_12zip_iteratorINS7_INS6_11hip_rocprim26transform_input_iterator_tIbNSD_35transform_pair_of_input_iterators_tIbNS6_6detail15normal_iteratorINS6_10device_ptrIKxEEEESL_NS6_8equal_toIxEEEENSG_9not_fun_tINSD_8identityEEEEENSD_19counting_iterator_tIlEES8_S8_S8_S8_S8_S8_S8_S8_EEEEPS9_S9_NSD_9__find_if7functorIS9_EEEE10hipError_tPvRmT1_T2_T3_mT4_P12ihipStream_tbEUlT_E1_NS1_11comp_targetILNS1_3genE8ELNS1_11target_archE1030ELNS1_3gpuE2ELNS1_3repE0EEENS1_30default_config_static_selectorELNS0_4arch9wavefront6targetE0EEEvS14_,comdat
	.protected	_ZN7rocprim17ROCPRIM_400000_NS6detail17trampoline_kernelINS0_14default_configENS1_22reduce_config_selectorIN6thrust23THRUST_200600_302600_NS5tupleIblNS6_9null_typeES8_S8_S8_S8_S8_S8_S8_EEEEZNS1_11reduce_implILb1ES3_NS6_12zip_iteratorINS7_INS6_11hip_rocprim26transform_input_iterator_tIbNSD_35transform_pair_of_input_iterators_tIbNS6_6detail15normal_iteratorINS6_10device_ptrIKxEEEESL_NS6_8equal_toIxEEEENSG_9not_fun_tINSD_8identityEEEEENSD_19counting_iterator_tIlEES8_S8_S8_S8_S8_S8_S8_S8_EEEEPS9_S9_NSD_9__find_if7functorIS9_EEEE10hipError_tPvRmT1_T2_T3_mT4_P12ihipStream_tbEUlT_E1_NS1_11comp_targetILNS1_3genE8ELNS1_11target_archE1030ELNS1_3gpuE2ELNS1_3repE0EEENS1_30default_config_static_selectorELNS0_4arch9wavefront6targetE0EEEvS14_ ; -- Begin function _ZN7rocprim17ROCPRIM_400000_NS6detail17trampoline_kernelINS0_14default_configENS1_22reduce_config_selectorIN6thrust23THRUST_200600_302600_NS5tupleIblNS6_9null_typeES8_S8_S8_S8_S8_S8_S8_EEEEZNS1_11reduce_implILb1ES3_NS6_12zip_iteratorINS7_INS6_11hip_rocprim26transform_input_iterator_tIbNSD_35transform_pair_of_input_iterators_tIbNS6_6detail15normal_iteratorINS6_10device_ptrIKxEEEESL_NS6_8equal_toIxEEEENSG_9not_fun_tINSD_8identityEEEEENSD_19counting_iterator_tIlEES8_S8_S8_S8_S8_S8_S8_S8_EEEEPS9_S9_NSD_9__find_if7functorIS9_EEEE10hipError_tPvRmT1_T2_T3_mT4_P12ihipStream_tbEUlT_E1_NS1_11comp_targetILNS1_3genE8ELNS1_11target_archE1030ELNS1_3gpuE2ELNS1_3repE0EEENS1_30default_config_static_selectorELNS0_4arch9wavefront6targetE0EEEvS14_
	.globl	_ZN7rocprim17ROCPRIM_400000_NS6detail17trampoline_kernelINS0_14default_configENS1_22reduce_config_selectorIN6thrust23THRUST_200600_302600_NS5tupleIblNS6_9null_typeES8_S8_S8_S8_S8_S8_S8_EEEEZNS1_11reduce_implILb1ES3_NS6_12zip_iteratorINS7_INS6_11hip_rocprim26transform_input_iterator_tIbNSD_35transform_pair_of_input_iterators_tIbNS6_6detail15normal_iteratorINS6_10device_ptrIKxEEEESL_NS6_8equal_toIxEEEENSG_9not_fun_tINSD_8identityEEEEENSD_19counting_iterator_tIlEES8_S8_S8_S8_S8_S8_S8_S8_EEEEPS9_S9_NSD_9__find_if7functorIS9_EEEE10hipError_tPvRmT1_T2_T3_mT4_P12ihipStream_tbEUlT_E1_NS1_11comp_targetILNS1_3genE8ELNS1_11target_archE1030ELNS1_3gpuE2ELNS1_3repE0EEENS1_30default_config_static_selectorELNS0_4arch9wavefront6targetE0EEEvS14_
	.p2align	8
	.type	_ZN7rocprim17ROCPRIM_400000_NS6detail17trampoline_kernelINS0_14default_configENS1_22reduce_config_selectorIN6thrust23THRUST_200600_302600_NS5tupleIblNS6_9null_typeES8_S8_S8_S8_S8_S8_S8_EEEEZNS1_11reduce_implILb1ES3_NS6_12zip_iteratorINS7_INS6_11hip_rocprim26transform_input_iterator_tIbNSD_35transform_pair_of_input_iterators_tIbNS6_6detail15normal_iteratorINS6_10device_ptrIKxEEEESL_NS6_8equal_toIxEEEENSG_9not_fun_tINSD_8identityEEEEENSD_19counting_iterator_tIlEES8_S8_S8_S8_S8_S8_S8_S8_EEEEPS9_S9_NSD_9__find_if7functorIS9_EEEE10hipError_tPvRmT1_T2_T3_mT4_P12ihipStream_tbEUlT_E1_NS1_11comp_targetILNS1_3genE8ELNS1_11target_archE1030ELNS1_3gpuE2ELNS1_3repE0EEENS1_30default_config_static_selectorELNS0_4arch9wavefront6targetE0EEEvS14_,@function
_ZN7rocprim17ROCPRIM_400000_NS6detail17trampoline_kernelINS0_14default_configENS1_22reduce_config_selectorIN6thrust23THRUST_200600_302600_NS5tupleIblNS6_9null_typeES8_S8_S8_S8_S8_S8_S8_EEEEZNS1_11reduce_implILb1ES3_NS6_12zip_iteratorINS7_INS6_11hip_rocprim26transform_input_iterator_tIbNSD_35transform_pair_of_input_iterators_tIbNS6_6detail15normal_iteratorINS6_10device_ptrIKxEEEESL_NS6_8equal_toIxEEEENSG_9not_fun_tINSD_8identityEEEEENSD_19counting_iterator_tIlEES8_S8_S8_S8_S8_S8_S8_S8_EEEEPS9_S9_NSD_9__find_if7functorIS9_EEEE10hipError_tPvRmT1_T2_T3_mT4_P12ihipStream_tbEUlT_E1_NS1_11comp_targetILNS1_3genE8ELNS1_11target_archE1030ELNS1_3gpuE2ELNS1_3repE0EEENS1_30default_config_static_selectorELNS0_4arch9wavefront6targetE0EEEvS14_: ; @_ZN7rocprim17ROCPRIM_400000_NS6detail17trampoline_kernelINS0_14default_configENS1_22reduce_config_selectorIN6thrust23THRUST_200600_302600_NS5tupleIblNS6_9null_typeES8_S8_S8_S8_S8_S8_S8_EEEEZNS1_11reduce_implILb1ES3_NS6_12zip_iteratorINS7_INS6_11hip_rocprim26transform_input_iterator_tIbNSD_35transform_pair_of_input_iterators_tIbNS6_6detail15normal_iteratorINS6_10device_ptrIKxEEEESL_NS6_8equal_toIxEEEENSG_9not_fun_tINSD_8identityEEEEENSD_19counting_iterator_tIlEES8_S8_S8_S8_S8_S8_S8_S8_EEEEPS9_S9_NSD_9__find_if7functorIS9_EEEE10hipError_tPvRmT1_T2_T3_mT4_P12ihipStream_tbEUlT_E1_NS1_11comp_targetILNS1_3genE8ELNS1_11target_archE1030ELNS1_3gpuE2ELNS1_3repE0EEENS1_30default_config_static_selectorELNS0_4arch9wavefront6targetE0EEEvS14_
; %bb.0:
	.section	.rodata,"a",@progbits
	.p2align	6, 0x0
	.amdhsa_kernel _ZN7rocprim17ROCPRIM_400000_NS6detail17trampoline_kernelINS0_14default_configENS1_22reduce_config_selectorIN6thrust23THRUST_200600_302600_NS5tupleIblNS6_9null_typeES8_S8_S8_S8_S8_S8_S8_EEEEZNS1_11reduce_implILb1ES3_NS6_12zip_iteratorINS7_INS6_11hip_rocprim26transform_input_iterator_tIbNSD_35transform_pair_of_input_iterators_tIbNS6_6detail15normal_iteratorINS6_10device_ptrIKxEEEESL_NS6_8equal_toIxEEEENSG_9not_fun_tINSD_8identityEEEEENSD_19counting_iterator_tIlEES8_S8_S8_S8_S8_S8_S8_S8_EEEEPS9_S9_NSD_9__find_if7functorIS9_EEEE10hipError_tPvRmT1_T2_T3_mT4_P12ihipStream_tbEUlT_E1_NS1_11comp_targetILNS1_3genE8ELNS1_11target_archE1030ELNS1_3gpuE2ELNS1_3repE0EEENS1_30default_config_static_selectorELNS0_4arch9wavefront6targetE0EEEvS14_
		.amdhsa_group_segment_fixed_size 0
		.amdhsa_private_segment_fixed_size 0
		.amdhsa_kernarg_size 88
		.amdhsa_user_sgpr_count 2
		.amdhsa_user_sgpr_dispatch_ptr 0
		.amdhsa_user_sgpr_queue_ptr 0
		.amdhsa_user_sgpr_kernarg_segment_ptr 1
		.amdhsa_user_sgpr_dispatch_id 0
		.amdhsa_user_sgpr_kernarg_preload_length 0
		.amdhsa_user_sgpr_kernarg_preload_offset 0
		.amdhsa_user_sgpr_private_segment_size 0
		.amdhsa_wavefront_size32 1
		.amdhsa_uses_dynamic_stack 0
		.amdhsa_enable_private_segment 0
		.amdhsa_system_sgpr_workgroup_id_x 1
		.amdhsa_system_sgpr_workgroup_id_y 0
		.amdhsa_system_sgpr_workgroup_id_z 0
		.amdhsa_system_sgpr_workgroup_info 0
		.amdhsa_system_vgpr_workitem_id 0
		.amdhsa_next_free_vgpr 1
		.amdhsa_next_free_sgpr 1
		.amdhsa_named_barrier_count 0
		.amdhsa_reserve_vcc 0
		.amdhsa_float_round_mode_32 0
		.amdhsa_float_round_mode_16_64 0
		.amdhsa_float_denorm_mode_32 3
		.amdhsa_float_denorm_mode_16_64 3
		.amdhsa_fp16_overflow 0
		.amdhsa_memory_ordered 1
		.amdhsa_forward_progress 1
		.amdhsa_inst_pref_size 0
		.amdhsa_round_robin_scheduling 0
		.amdhsa_exception_fp_ieee_invalid_op 0
		.amdhsa_exception_fp_denorm_src 0
		.amdhsa_exception_fp_ieee_div_zero 0
		.amdhsa_exception_fp_ieee_overflow 0
		.amdhsa_exception_fp_ieee_underflow 0
		.amdhsa_exception_fp_ieee_inexact 0
		.amdhsa_exception_int_div_zero 0
	.end_amdhsa_kernel
	.section	.text._ZN7rocprim17ROCPRIM_400000_NS6detail17trampoline_kernelINS0_14default_configENS1_22reduce_config_selectorIN6thrust23THRUST_200600_302600_NS5tupleIblNS6_9null_typeES8_S8_S8_S8_S8_S8_S8_EEEEZNS1_11reduce_implILb1ES3_NS6_12zip_iteratorINS7_INS6_11hip_rocprim26transform_input_iterator_tIbNSD_35transform_pair_of_input_iterators_tIbNS6_6detail15normal_iteratorINS6_10device_ptrIKxEEEESL_NS6_8equal_toIxEEEENSG_9not_fun_tINSD_8identityEEEEENSD_19counting_iterator_tIlEES8_S8_S8_S8_S8_S8_S8_S8_EEEEPS9_S9_NSD_9__find_if7functorIS9_EEEE10hipError_tPvRmT1_T2_T3_mT4_P12ihipStream_tbEUlT_E1_NS1_11comp_targetILNS1_3genE8ELNS1_11target_archE1030ELNS1_3gpuE2ELNS1_3repE0EEENS1_30default_config_static_selectorELNS0_4arch9wavefront6targetE0EEEvS14_,"axG",@progbits,_ZN7rocprim17ROCPRIM_400000_NS6detail17trampoline_kernelINS0_14default_configENS1_22reduce_config_selectorIN6thrust23THRUST_200600_302600_NS5tupleIblNS6_9null_typeES8_S8_S8_S8_S8_S8_S8_EEEEZNS1_11reduce_implILb1ES3_NS6_12zip_iteratorINS7_INS6_11hip_rocprim26transform_input_iterator_tIbNSD_35transform_pair_of_input_iterators_tIbNS6_6detail15normal_iteratorINS6_10device_ptrIKxEEEESL_NS6_8equal_toIxEEEENSG_9not_fun_tINSD_8identityEEEEENSD_19counting_iterator_tIlEES8_S8_S8_S8_S8_S8_S8_S8_EEEEPS9_S9_NSD_9__find_if7functorIS9_EEEE10hipError_tPvRmT1_T2_T3_mT4_P12ihipStream_tbEUlT_E1_NS1_11comp_targetILNS1_3genE8ELNS1_11target_archE1030ELNS1_3gpuE2ELNS1_3repE0EEENS1_30default_config_static_selectorELNS0_4arch9wavefront6targetE0EEEvS14_,comdat
.Lfunc_end242:
	.size	_ZN7rocprim17ROCPRIM_400000_NS6detail17trampoline_kernelINS0_14default_configENS1_22reduce_config_selectorIN6thrust23THRUST_200600_302600_NS5tupleIblNS6_9null_typeES8_S8_S8_S8_S8_S8_S8_EEEEZNS1_11reduce_implILb1ES3_NS6_12zip_iteratorINS7_INS6_11hip_rocprim26transform_input_iterator_tIbNSD_35transform_pair_of_input_iterators_tIbNS6_6detail15normal_iteratorINS6_10device_ptrIKxEEEESL_NS6_8equal_toIxEEEENSG_9not_fun_tINSD_8identityEEEEENSD_19counting_iterator_tIlEES8_S8_S8_S8_S8_S8_S8_S8_EEEEPS9_S9_NSD_9__find_if7functorIS9_EEEE10hipError_tPvRmT1_T2_T3_mT4_P12ihipStream_tbEUlT_E1_NS1_11comp_targetILNS1_3genE8ELNS1_11target_archE1030ELNS1_3gpuE2ELNS1_3repE0EEENS1_30default_config_static_selectorELNS0_4arch9wavefront6targetE0EEEvS14_, .Lfunc_end242-_ZN7rocprim17ROCPRIM_400000_NS6detail17trampoline_kernelINS0_14default_configENS1_22reduce_config_selectorIN6thrust23THRUST_200600_302600_NS5tupleIblNS6_9null_typeES8_S8_S8_S8_S8_S8_S8_EEEEZNS1_11reduce_implILb1ES3_NS6_12zip_iteratorINS7_INS6_11hip_rocprim26transform_input_iterator_tIbNSD_35transform_pair_of_input_iterators_tIbNS6_6detail15normal_iteratorINS6_10device_ptrIKxEEEESL_NS6_8equal_toIxEEEENSG_9not_fun_tINSD_8identityEEEEENSD_19counting_iterator_tIlEES8_S8_S8_S8_S8_S8_S8_S8_EEEEPS9_S9_NSD_9__find_if7functorIS9_EEEE10hipError_tPvRmT1_T2_T3_mT4_P12ihipStream_tbEUlT_E1_NS1_11comp_targetILNS1_3genE8ELNS1_11target_archE1030ELNS1_3gpuE2ELNS1_3repE0EEENS1_30default_config_static_selectorELNS0_4arch9wavefront6targetE0EEEvS14_
                                        ; -- End function
	.set _ZN7rocprim17ROCPRIM_400000_NS6detail17trampoline_kernelINS0_14default_configENS1_22reduce_config_selectorIN6thrust23THRUST_200600_302600_NS5tupleIblNS6_9null_typeES8_S8_S8_S8_S8_S8_S8_EEEEZNS1_11reduce_implILb1ES3_NS6_12zip_iteratorINS7_INS6_11hip_rocprim26transform_input_iterator_tIbNSD_35transform_pair_of_input_iterators_tIbNS6_6detail15normal_iteratorINS6_10device_ptrIKxEEEESL_NS6_8equal_toIxEEEENSG_9not_fun_tINSD_8identityEEEEENSD_19counting_iterator_tIlEES8_S8_S8_S8_S8_S8_S8_S8_EEEEPS9_S9_NSD_9__find_if7functorIS9_EEEE10hipError_tPvRmT1_T2_T3_mT4_P12ihipStream_tbEUlT_E1_NS1_11comp_targetILNS1_3genE8ELNS1_11target_archE1030ELNS1_3gpuE2ELNS1_3repE0EEENS1_30default_config_static_selectorELNS0_4arch9wavefront6targetE0EEEvS14_.num_vgpr, 0
	.set _ZN7rocprim17ROCPRIM_400000_NS6detail17trampoline_kernelINS0_14default_configENS1_22reduce_config_selectorIN6thrust23THRUST_200600_302600_NS5tupleIblNS6_9null_typeES8_S8_S8_S8_S8_S8_S8_EEEEZNS1_11reduce_implILb1ES3_NS6_12zip_iteratorINS7_INS6_11hip_rocprim26transform_input_iterator_tIbNSD_35transform_pair_of_input_iterators_tIbNS6_6detail15normal_iteratorINS6_10device_ptrIKxEEEESL_NS6_8equal_toIxEEEENSG_9not_fun_tINSD_8identityEEEEENSD_19counting_iterator_tIlEES8_S8_S8_S8_S8_S8_S8_S8_EEEEPS9_S9_NSD_9__find_if7functorIS9_EEEE10hipError_tPvRmT1_T2_T3_mT4_P12ihipStream_tbEUlT_E1_NS1_11comp_targetILNS1_3genE8ELNS1_11target_archE1030ELNS1_3gpuE2ELNS1_3repE0EEENS1_30default_config_static_selectorELNS0_4arch9wavefront6targetE0EEEvS14_.num_agpr, 0
	.set _ZN7rocprim17ROCPRIM_400000_NS6detail17trampoline_kernelINS0_14default_configENS1_22reduce_config_selectorIN6thrust23THRUST_200600_302600_NS5tupleIblNS6_9null_typeES8_S8_S8_S8_S8_S8_S8_EEEEZNS1_11reduce_implILb1ES3_NS6_12zip_iteratorINS7_INS6_11hip_rocprim26transform_input_iterator_tIbNSD_35transform_pair_of_input_iterators_tIbNS6_6detail15normal_iteratorINS6_10device_ptrIKxEEEESL_NS6_8equal_toIxEEEENSG_9not_fun_tINSD_8identityEEEEENSD_19counting_iterator_tIlEES8_S8_S8_S8_S8_S8_S8_S8_EEEEPS9_S9_NSD_9__find_if7functorIS9_EEEE10hipError_tPvRmT1_T2_T3_mT4_P12ihipStream_tbEUlT_E1_NS1_11comp_targetILNS1_3genE8ELNS1_11target_archE1030ELNS1_3gpuE2ELNS1_3repE0EEENS1_30default_config_static_selectorELNS0_4arch9wavefront6targetE0EEEvS14_.numbered_sgpr, 0
	.set _ZN7rocprim17ROCPRIM_400000_NS6detail17trampoline_kernelINS0_14default_configENS1_22reduce_config_selectorIN6thrust23THRUST_200600_302600_NS5tupleIblNS6_9null_typeES8_S8_S8_S8_S8_S8_S8_EEEEZNS1_11reduce_implILb1ES3_NS6_12zip_iteratorINS7_INS6_11hip_rocprim26transform_input_iterator_tIbNSD_35transform_pair_of_input_iterators_tIbNS6_6detail15normal_iteratorINS6_10device_ptrIKxEEEESL_NS6_8equal_toIxEEEENSG_9not_fun_tINSD_8identityEEEEENSD_19counting_iterator_tIlEES8_S8_S8_S8_S8_S8_S8_S8_EEEEPS9_S9_NSD_9__find_if7functorIS9_EEEE10hipError_tPvRmT1_T2_T3_mT4_P12ihipStream_tbEUlT_E1_NS1_11comp_targetILNS1_3genE8ELNS1_11target_archE1030ELNS1_3gpuE2ELNS1_3repE0EEENS1_30default_config_static_selectorELNS0_4arch9wavefront6targetE0EEEvS14_.num_named_barrier, 0
	.set _ZN7rocprim17ROCPRIM_400000_NS6detail17trampoline_kernelINS0_14default_configENS1_22reduce_config_selectorIN6thrust23THRUST_200600_302600_NS5tupleIblNS6_9null_typeES8_S8_S8_S8_S8_S8_S8_EEEEZNS1_11reduce_implILb1ES3_NS6_12zip_iteratorINS7_INS6_11hip_rocprim26transform_input_iterator_tIbNSD_35transform_pair_of_input_iterators_tIbNS6_6detail15normal_iteratorINS6_10device_ptrIKxEEEESL_NS6_8equal_toIxEEEENSG_9not_fun_tINSD_8identityEEEEENSD_19counting_iterator_tIlEES8_S8_S8_S8_S8_S8_S8_S8_EEEEPS9_S9_NSD_9__find_if7functorIS9_EEEE10hipError_tPvRmT1_T2_T3_mT4_P12ihipStream_tbEUlT_E1_NS1_11comp_targetILNS1_3genE8ELNS1_11target_archE1030ELNS1_3gpuE2ELNS1_3repE0EEENS1_30default_config_static_selectorELNS0_4arch9wavefront6targetE0EEEvS14_.private_seg_size, 0
	.set _ZN7rocprim17ROCPRIM_400000_NS6detail17trampoline_kernelINS0_14default_configENS1_22reduce_config_selectorIN6thrust23THRUST_200600_302600_NS5tupleIblNS6_9null_typeES8_S8_S8_S8_S8_S8_S8_EEEEZNS1_11reduce_implILb1ES3_NS6_12zip_iteratorINS7_INS6_11hip_rocprim26transform_input_iterator_tIbNSD_35transform_pair_of_input_iterators_tIbNS6_6detail15normal_iteratorINS6_10device_ptrIKxEEEESL_NS6_8equal_toIxEEEENSG_9not_fun_tINSD_8identityEEEEENSD_19counting_iterator_tIlEES8_S8_S8_S8_S8_S8_S8_S8_EEEEPS9_S9_NSD_9__find_if7functorIS9_EEEE10hipError_tPvRmT1_T2_T3_mT4_P12ihipStream_tbEUlT_E1_NS1_11comp_targetILNS1_3genE8ELNS1_11target_archE1030ELNS1_3gpuE2ELNS1_3repE0EEENS1_30default_config_static_selectorELNS0_4arch9wavefront6targetE0EEEvS14_.uses_vcc, 0
	.set _ZN7rocprim17ROCPRIM_400000_NS6detail17trampoline_kernelINS0_14default_configENS1_22reduce_config_selectorIN6thrust23THRUST_200600_302600_NS5tupleIblNS6_9null_typeES8_S8_S8_S8_S8_S8_S8_EEEEZNS1_11reduce_implILb1ES3_NS6_12zip_iteratorINS7_INS6_11hip_rocprim26transform_input_iterator_tIbNSD_35transform_pair_of_input_iterators_tIbNS6_6detail15normal_iteratorINS6_10device_ptrIKxEEEESL_NS6_8equal_toIxEEEENSG_9not_fun_tINSD_8identityEEEEENSD_19counting_iterator_tIlEES8_S8_S8_S8_S8_S8_S8_S8_EEEEPS9_S9_NSD_9__find_if7functorIS9_EEEE10hipError_tPvRmT1_T2_T3_mT4_P12ihipStream_tbEUlT_E1_NS1_11comp_targetILNS1_3genE8ELNS1_11target_archE1030ELNS1_3gpuE2ELNS1_3repE0EEENS1_30default_config_static_selectorELNS0_4arch9wavefront6targetE0EEEvS14_.uses_flat_scratch, 0
	.set _ZN7rocprim17ROCPRIM_400000_NS6detail17trampoline_kernelINS0_14default_configENS1_22reduce_config_selectorIN6thrust23THRUST_200600_302600_NS5tupleIblNS6_9null_typeES8_S8_S8_S8_S8_S8_S8_EEEEZNS1_11reduce_implILb1ES3_NS6_12zip_iteratorINS7_INS6_11hip_rocprim26transform_input_iterator_tIbNSD_35transform_pair_of_input_iterators_tIbNS6_6detail15normal_iteratorINS6_10device_ptrIKxEEEESL_NS6_8equal_toIxEEEENSG_9not_fun_tINSD_8identityEEEEENSD_19counting_iterator_tIlEES8_S8_S8_S8_S8_S8_S8_S8_EEEEPS9_S9_NSD_9__find_if7functorIS9_EEEE10hipError_tPvRmT1_T2_T3_mT4_P12ihipStream_tbEUlT_E1_NS1_11comp_targetILNS1_3genE8ELNS1_11target_archE1030ELNS1_3gpuE2ELNS1_3repE0EEENS1_30default_config_static_selectorELNS0_4arch9wavefront6targetE0EEEvS14_.has_dyn_sized_stack, 0
	.set _ZN7rocprim17ROCPRIM_400000_NS6detail17trampoline_kernelINS0_14default_configENS1_22reduce_config_selectorIN6thrust23THRUST_200600_302600_NS5tupleIblNS6_9null_typeES8_S8_S8_S8_S8_S8_S8_EEEEZNS1_11reduce_implILb1ES3_NS6_12zip_iteratorINS7_INS6_11hip_rocprim26transform_input_iterator_tIbNSD_35transform_pair_of_input_iterators_tIbNS6_6detail15normal_iteratorINS6_10device_ptrIKxEEEESL_NS6_8equal_toIxEEEENSG_9not_fun_tINSD_8identityEEEEENSD_19counting_iterator_tIlEES8_S8_S8_S8_S8_S8_S8_S8_EEEEPS9_S9_NSD_9__find_if7functorIS9_EEEE10hipError_tPvRmT1_T2_T3_mT4_P12ihipStream_tbEUlT_E1_NS1_11comp_targetILNS1_3genE8ELNS1_11target_archE1030ELNS1_3gpuE2ELNS1_3repE0EEENS1_30default_config_static_selectorELNS0_4arch9wavefront6targetE0EEEvS14_.has_recursion, 0
	.set _ZN7rocprim17ROCPRIM_400000_NS6detail17trampoline_kernelINS0_14default_configENS1_22reduce_config_selectorIN6thrust23THRUST_200600_302600_NS5tupleIblNS6_9null_typeES8_S8_S8_S8_S8_S8_S8_EEEEZNS1_11reduce_implILb1ES3_NS6_12zip_iteratorINS7_INS6_11hip_rocprim26transform_input_iterator_tIbNSD_35transform_pair_of_input_iterators_tIbNS6_6detail15normal_iteratorINS6_10device_ptrIKxEEEESL_NS6_8equal_toIxEEEENSG_9not_fun_tINSD_8identityEEEEENSD_19counting_iterator_tIlEES8_S8_S8_S8_S8_S8_S8_S8_EEEEPS9_S9_NSD_9__find_if7functorIS9_EEEE10hipError_tPvRmT1_T2_T3_mT4_P12ihipStream_tbEUlT_E1_NS1_11comp_targetILNS1_3genE8ELNS1_11target_archE1030ELNS1_3gpuE2ELNS1_3repE0EEENS1_30default_config_static_selectorELNS0_4arch9wavefront6targetE0EEEvS14_.has_indirect_call, 0
	.section	.AMDGPU.csdata,"",@progbits
; Kernel info:
; codeLenInByte = 0
; TotalNumSgprs: 0
; NumVgprs: 0
; ScratchSize: 0
; MemoryBound: 0
; FloatMode: 240
; IeeeMode: 1
; LDSByteSize: 0 bytes/workgroup (compile time only)
; SGPRBlocks: 0
; VGPRBlocks: 0
; NumSGPRsForWavesPerEU: 1
; NumVGPRsForWavesPerEU: 1
; NamedBarCnt: 0
; Occupancy: 16
; WaveLimiterHint : 0
; COMPUTE_PGM_RSRC2:SCRATCH_EN: 0
; COMPUTE_PGM_RSRC2:USER_SGPR: 2
; COMPUTE_PGM_RSRC2:TRAP_HANDLER: 0
; COMPUTE_PGM_RSRC2:TGID_X_EN: 1
; COMPUTE_PGM_RSRC2:TGID_Y_EN: 0
; COMPUTE_PGM_RSRC2:TGID_Z_EN: 0
; COMPUTE_PGM_RSRC2:TIDIG_COMP_CNT: 0
	.section	.text._ZN7rocprim17ROCPRIM_400000_NS6detail17trampoline_kernelINS0_14default_configENS1_21merge_config_selectorINS0_5tupleIJiiEEENS0_10empty_typeEEEZNS1_10merge_implIS3_NS0_12zip_iteratorINS5_IJN6thrust23THRUST_200600_302600_NS6detail15normal_iteratorINSC_10device_ptrIKiEEEESI_EEEEESK_NSA_INS5_IJNSE_INSF_IiEEEESM_EEEEEPS7_SP_SP_NSC_11hip_rocprim7__merge17predicate_wrapperIiiNSC_4lessIiEEEEEE10hipError_tPvRmT0_T1_T2_T3_T4_T5_mmT6_P12ihipStream_tbEUlT_E_NS1_11comp_targetILNS1_3genE0ELNS1_11target_archE4294967295ELNS1_3gpuE0ELNS1_3repE0EEENS1_30default_config_static_selectorELNS0_4arch9wavefront6targetE0EEEvS10_,"axG",@progbits,_ZN7rocprim17ROCPRIM_400000_NS6detail17trampoline_kernelINS0_14default_configENS1_21merge_config_selectorINS0_5tupleIJiiEEENS0_10empty_typeEEEZNS1_10merge_implIS3_NS0_12zip_iteratorINS5_IJN6thrust23THRUST_200600_302600_NS6detail15normal_iteratorINSC_10device_ptrIKiEEEESI_EEEEESK_NSA_INS5_IJNSE_INSF_IiEEEESM_EEEEEPS7_SP_SP_NSC_11hip_rocprim7__merge17predicate_wrapperIiiNSC_4lessIiEEEEEE10hipError_tPvRmT0_T1_T2_T3_T4_T5_mmT6_P12ihipStream_tbEUlT_E_NS1_11comp_targetILNS1_3genE0ELNS1_11target_archE4294967295ELNS1_3gpuE0ELNS1_3repE0EEENS1_30default_config_static_selectorELNS0_4arch9wavefront6targetE0EEEvS10_,comdat
	.protected	_ZN7rocprim17ROCPRIM_400000_NS6detail17trampoline_kernelINS0_14default_configENS1_21merge_config_selectorINS0_5tupleIJiiEEENS0_10empty_typeEEEZNS1_10merge_implIS3_NS0_12zip_iteratorINS5_IJN6thrust23THRUST_200600_302600_NS6detail15normal_iteratorINSC_10device_ptrIKiEEEESI_EEEEESK_NSA_INS5_IJNSE_INSF_IiEEEESM_EEEEEPS7_SP_SP_NSC_11hip_rocprim7__merge17predicate_wrapperIiiNSC_4lessIiEEEEEE10hipError_tPvRmT0_T1_T2_T3_T4_T5_mmT6_P12ihipStream_tbEUlT_E_NS1_11comp_targetILNS1_3genE0ELNS1_11target_archE4294967295ELNS1_3gpuE0ELNS1_3repE0EEENS1_30default_config_static_selectorELNS0_4arch9wavefront6targetE0EEEvS10_ ; -- Begin function _ZN7rocprim17ROCPRIM_400000_NS6detail17trampoline_kernelINS0_14default_configENS1_21merge_config_selectorINS0_5tupleIJiiEEENS0_10empty_typeEEEZNS1_10merge_implIS3_NS0_12zip_iteratorINS5_IJN6thrust23THRUST_200600_302600_NS6detail15normal_iteratorINSC_10device_ptrIKiEEEESI_EEEEESK_NSA_INS5_IJNSE_INSF_IiEEEESM_EEEEEPS7_SP_SP_NSC_11hip_rocprim7__merge17predicate_wrapperIiiNSC_4lessIiEEEEEE10hipError_tPvRmT0_T1_T2_T3_T4_T5_mmT6_P12ihipStream_tbEUlT_E_NS1_11comp_targetILNS1_3genE0ELNS1_11target_archE4294967295ELNS1_3gpuE0ELNS1_3repE0EEENS1_30default_config_static_selectorELNS0_4arch9wavefront6targetE0EEEvS10_
	.globl	_ZN7rocprim17ROCPRIM_400000_NS6detail17trampoline_kernelINS0_14default_configENS1_21merge_config_selectorINS0_5tupleIJiiEEENS0_10empty_typeEEEZNS1_10merge_implIS3_NS0_12zip_iteratorINS5_IJN6thrust23THRUST_200600_302600_NS6detail15normal_iteratorINSC_10device_ptrIKiEEEESI_EEEEESK_NSA_INS5_IJNSE_INSF_IiEEEESM_EEEEEPS7_SP_SP_NSC_11hip_rocprim7__merge17predicate_wrapperIiiNSC_4lessIiEEEEEE10hipError_tPvRmT0_T1_T2_T3_T4_T5_mmT6_P12ihipStream_tbEUlT_E_NS1_11comp_targetILNS1_3genE0ELNS1_11target_archE4294967295ELNS1_3gpuE0ELNS1_3repE0EEENS1_30default_config_static_selectorELNS0_4arch9wavefront6targetE0EEEvS10_
	.p2align	8
	.type	_ZN7rocprim17ROCPRIM_400000_NS6detail17trampoline_kernelINS0_14default_configENS1_21merge_config_selectorINS0_5tupleIJiiEEENS0_10empty_typeEEEZNS1_10merge_implIS3_NS0_12zip_iteratorINS5_IJN6thrust23THRUST_200600_302600_NS6detail15normal_iteratorINSC_10device_ptrIKiEEEESI_EEEEESK_NSA_INS5_IJNSE_INSF_IiEEEESM_EEEEEPS7_SP_SP_NSC_11hip_rocprim7__merge17predicate_wrapperIiiNSC_4lessIiEEEEEE10hipError_tPvRmT0_T1_T2_T3_T4_T5_mmT6_P12ihipStream_tbEUlT_E_NS1_11comp_targetILNS1_3genE0ELNS1_11target_archE4294967295ELNS1_3gpuE0ELNS1_3repE0EEENS1_30default_config_static_selectorELNS0_4arch9wavefront6targetE0EEEvS10_,@function
_ZN7rocprim17ROCPRIM_400000_NS6detail17trampoline_kernelINS0_14default_configENS1_21merge_config_selectorINS0_5tupleIJiiEEENS0_10empty_typeEEEZNS1_10merge_implIS3_NS0_12zip_iteratorINS5_IJN6thrust23THRUST_200600_302600_NS6detail15normal_iteratorINSC_10device_ptrIKiEEEESI_EEEEESK_NSA_INS5_IJNSE_INSF_IiEEEESM_EEEEEPS7_SP_SP_NSC_11hip_rocprim7__merge17predicate_wrapperIiiNSC_4lessIiEEEEEE10hipError_tPvRmT0_T1_T2_T3_T4_T5_mmT6_P12ihipStream_tbEUlT_E_NS1_11comp_targetILNS1_3genE0ELNS1_11target_archE4294967295ELNS1_3gpuE0ELNS1_3repE0EEENS1_30default_config_static_selectorELNS0_4arch9wavefront6targetE0EEEvS10_: ; @_ZN7rocprim17ROCPRIM_400000_NS6detail17trampoline_kernelINS0_14default_configENS1_21merge_config_selectorINS0_5tupleIJiiEEENS0_10empty_typeEEEZNS1_10merge_implIS3_NS0_12zip_iteratorINS5_IJN6thrust23THRUST_200600_302600_NS6detail15normal_iteratorINSC_10device_ptrIKiEEEESI_EEEEESK_NSA_INS5_IJNSE_INSF_IiEEEESM_EEEEEPS7_SP_SP_NSC_11hip_rocprim7__merge17predicate_wrapperIiiNSC_4lessIiEEEEEE10hipError_tPvRmT0_T1_T2_T3_T4_T5_mmT6_P12ihipStream_tbEUlT_E_NS1_11comp_targetILNS1_3genE0ELNS1_11target_archE4294967295ELNS1_3gpuE0ELNS1_3repE0EEENS1_30default_config_static_selectorELNS0_4arch9wavefront6targetE0EEEvS10_
; %bb.0:
	s_clause 0x2
	s_load_b32 s4, s[0:1], 0x38
	s_load_b32 s2, s[0:1], 0x4c
	s_load_b128 s[8:11], s[0:1], 0x28
	s_getreg_b32 s7, hwreg(HW_REG_IB_STS2, 6, 4)
	s_wait_kmcnt 0x0
	s_cvt_f32_u32 s3, s4
	s_and_b32 s6, s2, 0xffff
	s_and_b32 s2, ttmp6, 15
	s_delay_alu instid0(SALU_CYCLE_1) | instskip(SKIP_1) | instid1(SALU_CYCLE_1)
	v_rcp_iflag_f32_e32 v1, s3
	s_bfe_u32 s3, ttmp6, 0x4000c
	s_add_co_i32 s3, s3, 1
	s_delay_alu instid0(SALU_CYCLE_1) | instskip(NEXT) | instid1(SALU_CYCLE_1)
	s_mul_i32 s3, ttmp9, s3
	s_add_co_i32 s2, s2, s3
	v_nop
	s_delay_alu instid0(TRANS32_DEP_1)
	v_readfirstlane_b32 s5, v1
	s_cmp_eq_u32 s7, 0
	s_cselect_b32 s7, ttmp9, s2
	s_sub_co_i32 s12, 0, s4
	s_mul_f32 s5, s5, 0x4f7ffffe
	s_add_nc_u64 s[2:3], s[10:11], s[8:9]
	v_mad_u32 v6, s7, s6, v0
	s_add_co_i32 s13, s4, s2
	s_cvt_u32_f32 s5, s5
	s_add_co_i32 s13, s13, -1
	s_delay_alu instid0(SALU_CYCLE_2) | instskip(NEXT) | instid1(SALU_CYCLE_1)
	s_mul_i32 s12, s12, s5
	s_mul_hi_u32 s12, s5, s12
	s_delay_alu instid0(SALU_CYCLE_1) | instskip(NEXT) | instid1(SALU_CYCLE_1)
	s_add_co_i32 s5, s5, s12
	s_mul_hi_u32 s5, s13, s5
	s_delay_alu instid0(SALU_CYCLE_1) | instskip(SKIP_2) | instid1(SALU_CYCLE_1)
	s_mul_i32 s12, s5, s4
	s_add_co_i32 s7, s5, 1
	s_sub_co_i32 s6, s13, s12
	s_sub_co_i32 s12, s6, s4
	s_cmp_ge_u32 s6, s4
	s_cselect_b32 s5, s7, s5
	s_cselect_b32 s6, s12, s6
	s_add_co_i32 s7, s5, 1
	s_cmp_ge_u32 s6, s4
	s_cselect_b32 s5, s7, s5
	s_delay_alu instid0(SALU_CYCLE_1)
	v_cmp_ge_u32_e32 vcc_lo, s5, v6
	s_and_saveexec_b32 s5, vcc_lo
	s_cbranch_execz .LBB243_6
; %bb.1:
	v_mul_lo_u32 v0, v6, s4
	v_mov_b32_e32 v1, 0
	s_load_b128 s[4:7], s[0:1], 0x0
	s_delay_alu instid0(VALU_DEP_1) | instskip(SKIP_1) | instid1(VALU_DEP_1)
	v_min_u64 v[4:5], v[0:1], s[2:3]
	s_mov_b32 s2, exec_lo
	v_max_u64 v[0:1], v[4:5], s[10:11]
	v_min_u64 v[2:3], v[4:5], s[8:9]
	s_delay_alu instid0(VALU_DEP_2) | instskip(NEXT) | instid1(VALU_DEP_1)
	v_sub_nc_u64_e64 v[0:1], v[0:1], s[10:11]
	v_cmpx_lt_u64_e64 v[0:1], v[2:3]
	s_cbranch_execz .LBB243_5
; %bb.2:
	s_wait_xcnt 0x0
	s_load_b64 s[0:1], s[0:1], 0x18
	s_wait_kmcnt 0x0
	v_lshl_add_u64 v[4:5], v[4:5], 2, s[0:1]
	s_mov_b32 s0, 0
.LBB243_3:                              ; =>This Inner Loop Header: Depth=1
	v_add_nc_u64_e32 v[8:9], v[2:3], v[0:1]
	s_delay_alu instid0(VALU_DEP_1) | instskip(NEXT) | instid1(VALU_DEP_1)
	v_lshrrev_b64 v[8:9], 1, v[8:9]
	v_lshlrev_b64_e32 v[10:11], 2, v[8:9]
	s_delay_alu instid0(VALU_DEP_1) | instskip(NEXT) | instid1(VALU_DEP_2)
	v_xor_b32_e32 v13, -1, v11
	v_xor_b32_e32 v12, -4, v10
	v_add_nc_u64_e32 v[10:11], s[6:7], v[10:11]
	s_delay_alu instid0(VALU_DEP_2)
	v_add_nc_u64_e32 v[12:13], v[4:5], v[12:13]
	global_load_b32 v7, v[10:11], off
	global_load_b32 v14, v[12:13], off
	s_wait_xcnt 0x1
	v_add_nc_u64_e32 v[10:11], 1, v[8:9]
	s_wait_loadcnt 0x0
	v_cmp_lt_i32_e32 vcc_lo, v14, v7
	v_dual_cndmask_b32 v3, v3, v9 :: v_dual_cndmask_b32 v2, v2, v8
	s_delay_alu instid0(VALU_DEP_3) | instskip(NEXT) | instid1(VALU_DEP_1)
	v_dual_cndmask_b32 v1, v11, v1 :: v_dual_cndmask_b32 v0, v10, v0
	v_cmp_ge_u64_e32 vcc_lo, v[0:1], v[2:3]
	s_or_b32 s0, vcc_lo, s0
	s_delay_alu instid0(SALU_CYCLE_1)
	s_and_not1_b32 exec_lo, exec_lo, s0
	s_cbranch_execnz .LBB243_3
; %bb.4:
	s_or_b32 exec_lo, exec_lo, s0
.LBB243_5:
	s_delay_alu instid0(SALU_CYCLE_1)
	s_or_b32 exec_lo, exec_lo, s2
	s_wait_kmcnt 0x0
	global_store_b32 v6, v0, s[4:5] scale_offset
.LBB243_6:
	s_endpgm
	.section	.rodata,"a",@progbits
	.p2align	6, 0x0
	.amdhsa_kernel _ZN7rocprim17ROCPRIM_400000_NS6detail17trampoline_kernelINS0_14default_configENS1_21merge_config_selectorINS0_5tupleIJiiEEENS0_10empty_typeEEEZNS1_10merge_implIS3_NS0_12zip_iteratorINS5_IJN6thrust23THRUST_200600_302600_NS6detail15normal_iteratorINSC_10device_ptrIKiEEEESI_EEEEESK_NSA_INS5_IJNSE_INSF_IiEEEESM_EEEEEPS7_SP_SP_NSC_11hip_rocprim7__merge17predicate_wrapperIiiNSC_4lessIiEEEEEE10hipError_tPvRmT0_T1_T2_T3_T4_T5_mmT6_P12ihipStream_tbEUlT_E_NS1_11comp_targetILNS1_3genE0ELNS1_11target_archE4294967295ELNS1_3gpuE0ELNS1_3repE0EEENS1_30default_config_static_selectorELNS0_4arch9wavefront6targetE0EEEvS10_
		.amdhsa_group_segment_fixed_size 0
		.amdhsa_private_segment_fixed_size 0
		.amdhsa_kernarg_size 320
		.amdhsa_user_sgpr_count 2
		.amdhsa_user_sgpr_dispatch_ptr 0
		.amdhsa_user_sgpr_queue_ptr 0
		.amdhsa_user_sgpr_kernarg_segment_ptr 1
		.amdhsa_user_sgpr_dispatch_id 0
		.amdhsa_user_sgpr_kernarg_preload_length 0
		.amdhsa_user_sgpr_kernarg_preload_offset 0
		.amdhsa_user_sgpr_private_segment_size 0
		.amdhsa_wavefront_size32 1
		.amdhsa_uses_dynamic_stack 0
		.amdhsa_enable_private_segment 0
		.amdhsa_system_sgpr_workgroup_id_x 1
		.amdhsa_system_sgpr_workgroup_id_y 0
		.amdhsa_system_sgpr_workgroup_id_z 0
		.amdhsa_system_sgpr_workgroup_info 0
		.amdhsa_system_vgpr_workitem_id 0
		.amdhsa_next_free_vgpr 15
		.amdhsa_next_free_sgpr 14
		.amdhsa_named_barrier_count 0
		.amdhsa_reserve_vcc 1
		.amdhsa_float_round_mode_32 0
		.amdhsa_float_round_mode_16_64 0
		.amdhsa_float_denorm_mode_32 3
		.amdhsa_float_denorm_mode_16_64 3
		.amdhsa_fp16_overflow 0
		.amdhsa_memory_ordered 1
		.amdhsa_forward_progress 1
		.amdhsa_inst_pref_size 4
		.amdhsa_round_robin_scheduling 0
		.amdhsa_exception_fp_ieee_invalid_op 0
		.amdhsa_exception_fp_denorm_src 0
		.amdhsa_exception_fp_ieee_div_zero 0
		.amdhsa_exception_fp_ieee_overflow 0
		.amdhsa_exception_fp_ieee_underflow 0
		.amdhsa_exception_fp_ieee_inexact 0
		.amdhsa_exception_int_div_zero 0
	.end_amdhsa_kernel
	.section	.text._ZN7rocprim17ROCPRIM_400000_NS6detail17trampoline_kernelINS0_14default_configENS1_21merge_config_selectorINS0_5tupleIJiiEEENS0_10empty_typeEEEZNS1_10merge_implIS3_NS0_12zip_iteratorINS5_IJN6thrust23THRUST_200600_302600_NS6detail15normal_iteratorINSC_10device_ptrIKiEEEESI_EEEEESK_NSA_INS5_IJNSE_INSF_IiEEEESM_EEEEEPS7_SP_SP_NSC_11hip_rocprim7__merge17predicate_wrapperIiiNSC_4lessIiEEEEEE10hipError_tPvRmT0_T1_T2_T3_T4_T5_mmT6_P12ihipStream_tbEUlT_E_NS1_11comp_targetILNS1_3genE0ELNS1_11target_archE4294967295ELNS1_3gpuE0ELNS1_3repE0EEENS1_30default_config_static_selectorELNS0_4arch9wavefront6targetE0EEEvS10_,"axG",@progbits,_ZN7rocprim17ROCPRIM_400000_NS6detail17trampoline_kernelINS0_14default_configENS1_21merge_config_selectorINS0_5tupleIJiiEEENS0_10empty_typeEEEZNS1_10merge_implIS3_NS0_12zip_iteratorINS5_IJN6thrust23THRUST_200600_302600_NS6detail15normal_iteratorINSC_10device_ptrIKiEEEESI_EEEEESK_NSA_INS5_IJNSE_INSF_IiEEEESM_EEEEEPS7_SP_SP_NSC_11hip_rocprim7__merge17predicate_wrapperIiiNSC_4lessIiEEEEEE10hipError_tPvRmT0_T1_T2_T3_T4_T5_mmT6_P12ihipStream_tbEUlT_E_NS1_11comp_targetILNS1_3genE0ELNS1_11target_archE4294967295ELNS1_3gpuE0ELNS1_3repE0EEENS1_30default_config_static_selectorELNS0_4arch9wavefront6targetE0EEEvS10_,comdat
.Lfunc_end243:
	.size	_ZN7rocprim17ROCPRIM_400000_NS6detail17trampoline_kernelINS0_14default_configENS1_21merge_config_selectorINS0_5tupleIJiiEEENS0_10empty_typeEEEZNS1_10merge_implIS3_NS0_12zip_iteratorINS5_IJN6thrust23THRUST_200600_302600_NS6detail15normal_iteratorINSC_10device_ptrIKiEEEESI_EEEEESK_NSA_INS5_IJNSE_INSF_IiEEEESM_EEEEEPS7_SP_SP_NSC_11hip_rocprim7__merge17predicate_wrapperIiiNSC_4lessIiEEEEEE10hipError_tPvRmT0_T1_T2_T3_T4_T5_mmT6_P12ihipStream_tbEUlT_E_NS1_11comp_targetILNS1_3genE0ELNS1_11target_archE4294967295ELNS1_3gpuE0ELNS1_3repE0EEENS1_30default_config_static_selectorELNS0_4arch9wavefront6targetE0EEEvS10_, .Lfunc_end243-_ZN7rocprim17ROCPRIM_400000_NS6detail17trampoline_kernelINS0_14default_configENS1_21merge_config_selectorINS0_5tupleIJiiEEENS0_10empty_typeEEEZNS1_10merge_implIS3_NS0_12zip_iteratorINS5_IJN6thrust23THRUST_200600_302600_NS6detail15normal_iteratorINSC_10device_ptrIKiEEEESI_EEEEESK_NSA_INS5_IJNSE_INSF_IiEEEESM_EEEEEPS7_SP_SP_NSC_11hip_rocprim7__merge17predicate_wrapperIiiNSC_4lessIiEEEEEE10hipError_tPvRmT0_T1_T2_T3_T4_T5_mmT6_P12ihipStream_tbEUlT_E_NS1_11comp_targetILNS1_3genE0ELNS1_11target_archE4294967295ELNS1_3gpuE0ELNS1_3repE0EEENS1_30default_config_static_selectorELNS0_4arch9wavefront6targetE0EEEvS10_
                                        ; -- End function
	.set _ZN7rocprim17ROCPRIM_400000_NS6detail17trampoline_kernelINS0_14default_configENS1_21merge_config_selectorINS0_5tupleIJiiEEENS0_10empty_typeEEEZNS1_10merge_implIS3_NS0_12zip_iteratorINS5_IJN6thrust23THRUST_200600_302600_NS6detail15normal_iteratorINSC_10device_ptrIKiEEEESI_EEEEESK_NSA_INS5_IJNSE_INSF_IiEEEESM_EEEEEPS7_SP_SP_NSC_11hip_rocprim7__merge17predicate_wrapperIiiNSC_4lessIiEEEEEE10hipError_tPvRmT0_T1_T2_T3_T4_T5_mmT6_P12ihipStream_tbEUlT_E_NS1_11comp_targetILNS1_3genE0ELNS1_11target_archE4294967295ELNS1_3gpuE0ELNS1_3repE0EEENS1_30default_config_static_selectorELNS0_4arch9wavefront6targetE0EEEvS10_.num_vgpr, 15
	.set _ZN7rocprim17ROCPRIM_400000_NS6detail17trampoline_kernelINS0_14default_configENS1_21merge_config_selectorINS0_5tupleIJiiEEENS0_10empty_typeEEEZNS1_10merge_implIS3_NS0_12zip_iteratorINS5_IJN6thrust23THRUST_200600_302600_NS6detail15normal_iteratorINSC_10device_ptrIKiEEEESI_EEEEESK_NSA_INS5_IJNSE_INSF_IiEEEESM_EEEEEPS7_SP_SP_NSC_11hip_rocprim7__merge17predicate_wrapperIiiNSC_4lessIiEEEEEE10hipError_tPvRmT0_T1_T2_T3_T4_T5_mmT6_P12ihipStream_tbEUlT_E_NS1_11comp_targetILNS1_3genE0ELNS1_11target_archE4294967295ELNS1_3gpuE0ELNS1_3repE0EEENS1_30default_config_static_selectorELNS0_4arch9wavefront6targetE0EEEvS10_.num_agpr, 0
	.set _ZN7rocprim17ROCPRIM_400000_NS6detail17trampoline_kernelINS0_14default_configENS1_21merge_config_selectorINS0_5tupleIJiiEEENS0_10empty_typeEEEZNS1_10merge_implIS3_NS0_12zip_iteratorINS5_IJN6thrust23THRUST_200600_302600_NS6detail15normal_iteratorINSC_10device_ptrIKiEEEESI_EEEEESK_NSA_INS5_IJNSE_INSF_IiEEEESM_EEEEEPS7_SP_SP_NSC_11hip_rocprim7__merge17predicate_wrapperIiiNSC_4lessIiEEEEEE10hipError_tPvRmT0_T1_T2_T3_T4_T5_mmT6_P12ihipStream_tbEUlT_E_NS1_11comp_targetILNS1_3genE0ELNS1_11target_archE4294967295ELNS1_3gpuE0ELNS1_3repE0EEENS1_30default_config_static_selectorELNS0_4arch9wavefront6targetE0EEEvS10_.numbered_sgpr, 14
	.set _ZN7rocprim17ROCPRIM_400000_NS6detail17trampoline_kernelINS0_14default_configENS1_21merge_config_selectorINS0_5tupleIJiiEEENS0_10empty_typeEEEZNS1_10merge_implIS3_NS0_12zip_iteratorINS5_IJN6thrust23THRUST_200600_302600_NS6detail15normal_iteratorINSC_10device_ptrIKiEEEESI_EEEEESK_NSA_INS5_IJNSE_INSF_IiEEEESM_EEEEEPS7_SP_SP_NSC_11hip_rocprim7__merge17predicate_wrapperIiiNSC_4lessIiEEEEEE10hipError_tPvRmT0_T1_T2_T3_T4_T5_mmT6_P12ihipStream_tbEUlT_E_NS1_11comp_targetILNS1_3genE0ELNS1_11target_archE4294967295ELNS1_3gpuE0ELNS1_3repE0EEENS1_30default_config_static_selectorELNS0_4arch9wavefront6targetE0EEEvS10_.num_named_barrier, 0
	.set _ZN7rocprim17ROCPRIM_400000_NS6detail17trampoline_kernelINS0_14default_configENS1_21merge_config_selectorINS0_5tupleIJiiEEENS0_10empty_typeEEEZNS1_10merge_implIS3_NS0_12zip_iteratorINS5_IJN6thrust23THRUST_200600_302600_NS6detail15normal_iteratorINSC_10device_ptrIKiEEEESI_EEEEESK_NSA_INS5_IJNSE_INSF_IiEEEESM_EEEEEPS7_SP_SP_NSC_11hip_rocprim7__merge17predicate_wrapperIiiNSC_4lessIiEEEEEE10hipError_tPvRmT0_T1_T2_T3_T4_T5_mmT6_P12ihipStream_tbEUlT_E_NS1_11comp_targetILNS1_3genE0ELNS1_11target_archE4294967295ELNS1_3gpuE0ELNS1_3repE0EEENS1_30default_config_static_selectorELNS0_4arch9wavefront6targetE0EEEvS10_.private_seg_size, 0
	.set _ZN7rocprim17ROCPRIM_400000_NS6detail17trampoline_kernelINS0_14default_configENS1_21merge_config_selectorINS0_5tupleIJiiEEENS0_10empty_typeEEEZNS1_10merge_implIS3_NS0_12zip_iteratorINS5_IJN6thrust23THRUST_200600_302600_NS6detail15normal_iteratorINSC_10device_ptrIKiEEEESI_EEEEESK_NSA_INS5_IJNSE_INSF_IiEEEESM_EEEEEPS7_SP_SP_NSC_11hip_rocprim7__merge17predicate_wrapperIiiNSC_4lessIiEEEEEE10hipError_tPvRmT0_T1_T2_T3_T4_T5_mmT6_P12ihipStream_tbEUlT_E_NS1_11comp_targetILNS1_3genE0ELNS1_11target_archE4294967295ELNS1_3gpuE0ELNS1_3repE0EEENS1_30default_config_static_selectorELNS0_4arch9wavefront6targetE0EEEvS10_.uses_vcc, 1
	.set _ZN7rocprim17ROCPRIM_400000_NS6detail17trampoline_kernelINS0_14default_configENS1_21merge_config_selectorINS0_5tupleIJiiEEENS0_10empty_typeEEEZNS1_10merge_implIS3_NS0_12zip_iteratorINS5_IJN6thrust23THRUST_200600_302600_NS6detail15normal_iteratorINSC_10device_ptrIKiEEEESI_EEEEESK_NSA_INS5_IJNSE_INSF_IiEEEESM_EEEEEPS7_SP_SP_NSC_11hip_rocprim7__merge17predicate_wrapperIiiNSC_4lessIiEEEEEE10hipError_tPvRmT0_T1_T2_T3_T4_T5_mmT6_P12ihipStream_tbEUlT_E_NS1_11comp_targetILNS1_3genE0ELNS1_11target_archE4294967295ELNS1_3gpuE0ELNS1_3repE0EEENS1_30default_config_static_selectorELNS0_4arch9wavefront6targetE0EEEvS10_.uses_flat_scratch, 0
	.set _ZN7rocprim17ROCPRIM_400000_NS6detail17trampoline_kernelINS0_14default_configENS1_21merge_config_selectorINS0_5tupleIJiiEEENS0_10empty_typeEEEZNS1_10merge_implIS3_NS0_12zip_iteratorINS5_IJN6thrust23THRUST_200600_302600_NS6detail15normal_iteratorINSC_10device_ptrIKiEEEESI_EEEEESK_NSA_INS5_IJNSE_INSF_IiEEEESM_EEEEEPS7_SP_SP_NSC_11hip_rocprim7__merge17predicate_wrapperIiiNSC_4lessIiEEEEEE10hipError_tPvRmT0_T1_T2_T3_T4_T5_mmT6_P12ihipStream_tbEUlT_E_NS1_11comp_targetILNS1_3genE0ELNS1_11target_archE4294967295ELNS1_3gpuE0ELNS1_3repE0EEENS1_30default_config_static_selectorELNS0_4arch9wavefront6targetE0EEEvS10_.has_dyn_sized_stack, 0
	.set _ZN7rocprim17ROCPRIM_400000_NS6detail17trampoline_kernelINS0_14default_configENS1_21merge_config_selectorINS0_5tupleIJiiEEENS0_10empty_typeEEEZNS1_10merge_implIS3_NS0_12zip_iteratorINS5_IJN6thrust23THRUST_200600_302600_NS6detail15normal_iteratorINSC_10device_ptrIKiEEEESI_EEEEESK_NSA_INS5_IJNSE_INSF_IiEEEESM_EEEEEPS7_SP_SP_NSC_11hip_rocprim7__merge17predicate_wrapperIiiNSC_4lessIiEEEEEE10hipError_tPvRmT0_T1_T2_T3_T4_T5_mmT6_P12ihipStream_tbEUlT_E_NS1_11comp_targetILNS1_3genE0ELNS1_11target_archE4294967295ELNS1_3gpuE0ELNS1_3repE0EEENS1_30default_config_static_selectorELNS0_4arch9wavefront6targetE0EEEvS10_.has_recursion, 0
	.set _ZN7rocprim17ROCPRIM_400000_NS6detail17trampoline_kernelINS0_14default_configENS1_21merge_config_selectorINS0_5tupleIJiiEEENS0_10empty_typeEEEZNS1_10merge_implIS3_NS0_12zip_iteratorINS5_IJN6thrust23THRUST_200600_302600_NS6detail15normal_iteratorINSC_10device_ptrIKiEEEESI_EEEEESK_NSA_INS5_IJNSE_INSF_IiEEEESM_EEEEEPS7_SP_SP_NSC_11hip_rocprim7__merge17predicate_wrapperIiiNSC_4lessIiEEEEEE10hipError_tPvRmT0_T1_T2_T3_T4_T5_mmT6_P12ihipStream_tbEUlT_E_NS1_11comp_targetILNS1_3genE0ELNS1_11target_archE4294967295ELNS1_3gpuE0ELNS1_3repE0EEENS1_30default_config_static_selectorELNS0_4arch9wavefront6targetE0EEEvS10_.has_indirect_call, 0
	.section	.AMDGPU.csdata,"",@progbits
; Kernel info:
; codeLenInByte = 484
; TotalNumSgprs: 16
; NumVgprs: 15
; ScratchSize: 0
; MemoryBound: 0
; FloatMode: 240
; IeeeMode: 1
; LDSByteSize: 0 bytes/workgroup (compile time only)
; SGPRBlocks: 0
; VGPRBlocks: 0
; NumSGPRsForWavesPerEU: 16
; NumVGPRsForWavesPerEU: 15
; NamedBarCnt: 0
; Occupancy: 16
; WaveLimiterHint : 0
; COMPUTE_PGM_RSRC2:SCRATCH_EN: 0
; COMPUTE_PGM_RSRC2:USER_SGPR: 2
; COMPUTE_PGM_RSRC2:TRAP_HANDLER: 0
; COMPUTE_PGM_RSRC2:TGID_X_EN: 1
; COMPUTE_PGM_RSRC2:TGID_Y_EN: 0
; COMPUTE_PGM_RSRC2:TGID_Z_EN: 0
; COMPUTE_PGM_RSRC2:TIDIG_COMP_CNT: 0
	.section	.text._ZN7rocprim17ROCPRIM_400000_NS6detail17trampoline_kernelINS0_14default_configENS1_21merge_config_selectorINS0_5tupleIJiiEEENS0_10empty_typeEEEZNS1_10merge_implIS3_NS0_12zip_iteratorINS5_IJN6thrust23THRUST_200600_302600_NS6detail15normal_iteratorINSC_10device_ptrIKiEEEESI_EEEEESK_NSA_INS5_IJNSE_INSF_IiEEEESM_EEEEEPS7_SP_SP_NSC_11hip_rocprim7__merge17predicate_wrapperIiiNSC_4lessIiEEEEEE10hipError_tPvRmT0_T1_T2_T3_T4_T5_mmT6_P12ihipStream_tbEUlT_E_NS1_11comp_targetILNS1_3genE5ELNS1_11target_archE942ELNS1_3gpuE9ELNS1_3repE0EEENS1_30default_config_static_selectorELNS0_4arch9wavefront6targetE0EEEvS10_,"axG",@progbits,_ZN7rocprim17ROCPRIM_400000_NS6detail17trampoline_kernelINS0_14default_configENS1_21merge_config_selectorINS0_5tupleIJiiEEENS0_10empty_typeEEEZNS1_10merge_implIS3_NS0_12zip_iteratorINS5_IJN6thrust23THRUST_200600_302600_NS6detail15normal_iteratorINSC_10device_ptrIKiEEEESI_EEEEESK_NSA_INS5_IJNSE_INSF_IiEEEESM_EEEEEPS7_SP_SP_NSC_11hip_rocprim7__merge17predicate_wrapperIiiNSC_4lessIiEEEEEE10hipError_tPvRmT0_T1_T2_T3_T4_T5_mmT6_P12ihipStream_tbEUlT_E_NS1_11comp_targetILNS1_3genE5ELNS1_11target_archE942ELNS1_3gpuE9ELNS1_3repE0EEENS1_30default_config_static_selectorELNS0_4arch9wavefront6targetE0EEEvS10_,comdat
	.protected	_ZN7rocprim17ROCPRIM_400000_NS6detail17trampoline_kernelINS0_14default_configENS1_21merge_config_selectorINS0_5tupleIJiiEEENS0_10empty_typeEEEZNS1_10merge_implIS3_NS0_12zip_iteratorINS5_IJN6thrust23THRUST_200600_302600_NS6detail15normal_iteratorINSC_10device_ptrIKiEEEESI_EEEEESK_NSA_INS5_IJNSE_INSF_IiEEEESM_EEEEEPS7_SP_SP_NSC_11hip_rocprim7__merge17predicate_wrapperIiiNSC_4lessIiEEEEEE10hipError_tPvRmT0_T1_T2_T3_T4_T5_mmT6_P12ihipStream_tbEUlT_E_NS1_11comp_targetILNS1_3genE5ELNS1_11target_archE942ELNS1_3gpuE9ELNS1_3repE0EEENS1_30default_config_static_selectorELNS0_4arch9wavefront6targetE0EEEvS10_ ; -- Begin function _ZN7rocprim17ROCPRIM_400000_NS6detail17trampoline_kernelINS0_14default_configENS1_21merge_config_selectorINS0_5tupleIJiiEEENS0_10empty_typeEEEZNS1_10merge_implIS3_NS0_12zip_iteratorINS5_IJN6thrust23THRUST_200600_302600_NS6detail15normal_iteratorINSC_10device_ptrIKiEEEESI_EEEEESK_NSA_INS5_IJNSE_INSF_IiEEEESM_EEEEEPS7_SP_SP_NSC_11hip_rocprim7__merge17predicate_wrapperIiiNSC_4lessIiEEEEEE10hipError_tPvRmT0_T1_T2_T3_T4_T5_mmT6_P12ihipStream_tbEUlT_E_NS1_11comp_targetILNS1_3genE5ELNS1_11target_archE942ELNS1_3gpuE9ELNS1_3repE0EEENS1_30default_config_static_selectorELNS0_4arch9wavefront6targetE0EEEvS10_
	.globl	_ZN7rocprim17ROCPRIM_400000_NS6detail17trampoline_kernelINS0_14default_configENS1_21merge_config_selectorINS0_5tupleIJiiEEENS0_10empty_typeEEEZNS1_10merge_implIS3_NS0_12zip_iteratorINS5_IJN6thrust23THRUST_200600_302600_NS6detail15normal_iteratorINSC_10device_ptrIKiEEEESI_EEEEESK_NSA_INS5_IJNSE_INSF_IiEEEESM_EEEEEPS7_SP_SP_NSC_11hip_rocprim7__merge17predicate_wrapperIiiNSC_4lessIiEEEEEE10hipError_tPvRmT0_T1_T2_T3_T4_T5_mmT6_P12ihipStream_tbEUlT_E_NS1_11comp_targetILNS1_3genE5ELNS1_11target_archE942ELNS1_3gpuE9ELNS1_3repE0EEENS1_30default_config_static_selectorELNS0_4arch9wavefront6targetE0EEEvS10_
	.p2align	8
	.type	_ZN7rocprim17ROCPRIM_400000_NS6detail17trampoline_kernelINS0_14default_configENS1_21merge_config_selectorINS0_5tupleIJiiEEENS0_10empty_typeEEEZNS1_10merge_implIS3_NS0_12zip_iteratorINS5_IJN6thrust23THRUST_200600_302600_NS6detail15normal_iteratorINSC_10device_ptrIKiEEEESI_EEEEESK_NSA_INS5_IJNSE_INSF_IiEEEESM_EEEEEPS7_SP_SP_NSC_11hip_rocprim7__merge17predicate_wrapperIiiNSC_4lessIiEEEEEE10hipError_tPvRmT0_T1_T2_T3_T4_T5_mmT6_P12ihipStream_tbEUlT_E_NS1_11comp_targetILNS1_3genE5ELNS1_11target_archE942ELNS1_3gpuE9ELNS1_3repE0EEENS1_30default_config_static_selectorELNS0_4arch9wavefront6targetE0EEEvS10_,@function
_ZN7rocprim17ROCPRIM_400000_NS6detail17trampoline_kernelINS0_14default_configENS1_21merge_config_selectorINS0_5tupleIJiiEEENS0_10empty_typeEEEZNS1_10merge_implIS3_NS0_12zip_iteratorINS5_IJN6thrust23THRUST_200600_302600_NS6detail15normal_iteratorINSC_10device_ptrIKiEEEESI_EEEEESK_NSA_INS5_IJNSE_INSF_IiEEEESM_EEEEEPS7_SP_SP_NSC_11hip_rocprim7__merge17predicate_wrapperIiiNSC_4lessIiEEEEEE10hipError_tPvRmT0_T1_T2_T3_T4_T5_mmT6_P12ihipStream_tbEUlT_E_NS1_11comp_targetILNS1_3genE5ELNS1_11target_archE942ELNS1_3gpuE9ELNS1_3repE0EEENS1_30default_config_static_selectorELNS0_4arch9wavefront6targetE0EEEvS10_: ; @_ZN7rocprim17ROCPRIM_400000_NS6detail17trampoline_kernelINS0_14default_configENS1_21merge_config_selectorINS0_5tupleIJiiEEENS0_10empty_typeEEEZNS1_10merge_implIS3_NS0_12zip_iteratorINS5_IJN6thrust23THRUST_200600_302600_NS6detail15normal_iteratorINSC_10device_ptrIKiEEEESI_EEEEESK_NSA_INS5_IJNSE_INSF_IiEEEESM_EEEEEPS7_SP_SP_NSC_11hip_rocprim7__merge17predicate_wrapperIiiNSC_4lessIiEEEEEE10hipError_tPvRmT0_T1_T2_T3_T4_T5_mmT6_P12ihipStream_tbEUlT_E_NS1_11comp_targetILNS1_3genE5ELNS1_11target_archE942ELNS1_3gpuE9ELNS1_3repE0EEENS1_30default_config_static_selectorELNS0_4arch9wavefront6targetE0EEEvS10_
; %bb.0:
	.section	.rodata,"a",@progbits
	.p2align	6, 0x0
	.amdhsa_kernel _ZN7rocprim17ROCPRIM_400000_NS6detail17trampoline_kernelINS0_14default_configENS1_21merge_config_selectorINS0_5tupleIJiiEEENS0_10empty_typeEEEZNS1_10merge_implIS3_NS0_12zip_iteratorINS5_IJN6thrust23THRUST_200600_302600_NS6detail15normal_iteratorINSC_10device_ptrIKiEEEESI_EEEEESK_NSA_INS5_IJNSE_INSF_IiEEEESM_EEEEEPS7_SP_SP_NSC_11hip_rocprim7__merge17predicate_wrapperIiiNSC_4lessIiEEEEEE10hipError_tPvRmT0_T1_T2_T3_T4_T5_mmT6_P12ihipStream_tbEUlT_E_NS1_11comp_targetILNS1_3genE5ELNS1_11target_archE942ELNS1_3gpuE9ELNS1_3repE0EEENS1_30default_config_static_selectorELNS0_4arch9wavefront6targetE0EEEvS10_
		.amdhsa_group_segment_fixed_size 0
		.amdhsa_private_segment_fixed_size 0
		.amdhsa_kernarg_size 64
		.amdhsa_user_sgpr_count 2
		.amdhsa_user_sgpr_dispatch_ptr 0
		.amdhsa_user_sgpr_queue_ptr 0
		.amdhsa_user_sgpr_kernarg_segment_ptr 1
		.amdhsa_user_sgpr_dispatch_id 0
		.amdhsa_user_sgpr_kernarg_preload_length 0
		.amdhsa_user_sgpr_kernarg_preload_offset 0
		.amdhsa_user_sgpr_private_segment_size 0
		.amdhsa_wavefront_size32 1
		.amdhsa_uses_dynamic_stack 0
		.amdhsa_enable_private_segment 0
		.amdhsa_system_sgpr_workgroup_id_x 1
		.amdhsa_system_sgpr_workgroup_id_y 0
		.amdhsa_system_sgpr_workgroup_id_z 0
		.amdhsa_system_sgpr_workgroup_info 0
		.amdhsa_system_vgpr_workitem_id 0
		.amdhsa_next_free_vgpr 1
		.amdhsa_next_free_sgpr 1
		.amdhsa_named_barrier_count 0
		.amdhsa_reserve_vcc 0
		.amdhsa_float_round_mode_32 0
		.amdhsa_float_round_mode_16_64 0
		.amdhsa_float_denorm_mode_32 3
		.amdhsa_float_denorm_mode_16_64 3
		.amdhsa_fp16_overflow 0
		.amdhsa_memory_ordered 1
		.amdhsa_forward_progress 1
		.amdhsa_inst_pref_size 0
		.amdhsa_round_robin_scheduling 0
		.amdhsa_exception_fp_ieee_invalid_op 0
		.amdhsa_exception_fp_denorm_src 0
		.amdhsa_exception_fp_ieee_div_zero 0
		.amdhsa_exception_fp_ieee_overflow 0
		.amdhsa_exception_fp_ieee_underflow 0
		.amdhsa_exception_fp_ieee_inexact 0
		.amdhsa_exception_int_div_zero 0
	.end_amdhsa_kernel
	.section	.text._ZN7rocprim17ROCPRIM_400000_NS6detail17trampoline_kernelINS0_14default_configENS1_21merge_config_selectorINS0_5tupleIJiiEEENS0_10empty_typeEEEZNS1_10merge_implIS3_NS0_12zip_iteratorINS5_IJN6thrust23THRUST_200600_302600_NS6detail15normal_iteratorINSC_10device_ptrIKiEEEESI_EEEEESK_NSA_INS5_IJNSE_INSF_IiEEEESM_EEEEEPS7_SP_SP_NSC_11hip_rocprim7__merge17predicate_wrapperIiiNSC_4lessIiEEEEEE10hipError_tPvRmT0_T1_T2_T3_T4_T5_mmT6_P12ihipStream_tbEUlT_E_NS1_11comp_targetILNS1_3genE5ELNS1_11target_archE942ELNS1_3gpuE9ELNS1_3repE0EEENS1_30default_config_static_selectorELNS0_4arch9wavefront6targetE0EEEvS10_,"axG",@progbits,_ZN7rocprim17ROCPRIM_400000_NS6detail17trampoline_kernelINS0_14default_configENS1_21merge_config_selectorINS0_5tupleIJiiEEENS0_10empty_typeEEEZNS1_10merge_implIS3_NS0_12zip_iteratorINS5_IJN6thrust23THRUST_200600_302600_NS6detail15normal_iteratorINSC_10device_ptrIKiEEEESI_EEEEESK_NSA_INS5_IJNSE_INSF_IiEEEESM_EEEEEPS7_SP_SP_NSC_11hip_rocprim7__merge17predicate_wrapperIiiNSC_4lessIiEEEEEE10hipError_tPvRmT0_T1_T2_T3_T4_T5_mmT6_P12ihipStream_tbEUlT_E_NS1_11comp_targetILNS1_3genE5ELNS1_11target_archE942ELNS1_3gpuE9ELNS1_3repE0EEENS1_30default_config_static_selectorELNS0_4arch9wavefront6targetE0EEEvS10_,comdat
.Lfunc_end244:
	.size	_ZN7rocprim17ROCPRIM_400000_NS6detail17trampoline_kernelINS0_14default_configENS1_21merge_config_selectorINS0_5tupleIJiiEEENS0_10empty_typeEEEZNS1_10merge_implIS3_NS0_12zip_iteratorINS5_IJN6thrust23THRUST_200600_302600_NS6detail15normal_iteratorINSC_10device_ptrIKiEEEESI_EEEEESK_NSA_INS5_IJNSE_INSF_IiEEEESM_EEEEEPS7_SP_SP_NSC_11hip_rocprim7__merge17predicate_wrapperIiiNSC_4lessIiEEEEEE10hipError_tPvRmT0_T1_T2_T3_T4_T5_mmT6_P12ihipStream_tbEUlT_E_NS1_11comp_targetILNS1_3genE5ELNS1_11target_archE942ELNS1_3gpuE9ELNS1_3repE0EEENS1_30default_config_static_selectorELNS0_4arch9wavefront6targetE0EEEvS10_, .Lfunc_end244-_ZN7rocprim17ROCPRIM_400000_NS6detail17trampoline_kernelINS0_14default_configENS1_21merge_config_selectorINS0_5tupleIJiiEEENS0_10empty_typeEEEZNS1_10merge_implIS3_NS0_12zip_iteratorINS5_IJN6thrust23THRUST_200600_302600_NS6detail15normal_iteratorINSC_10device_ptrIKiEEEESI_EEEEESK_NSA_INS5_IJNSE_INSF_IiEEEESM_EEEEEPS7_SP_SP_NSC_11hip_rocprim7__merge17predicate_wrapperIiiNSC_4lessIiEEEEEE10hipError_tPvRmT0_T1_T2_T3_T4_T5_mmT6_P12ihipStream_tbEUlT_E_NS1_11comp_targetILNS1_3genE5ELNS1_11target_archE942ELNS1_3gpuE9ELNS1_3repE0EEENS1_30default_config_static_selectorELNS0_4arch9wavefront6targetE0EEEvS10_
                                        ; -- End function
	.set _ZN7rocprim17ROCPRIM_400000_NS6detail17trampoline_kernelINS0_14default_configENS1_21merge_config_selectorINS0_5tupleIJiiEEENS0_10empty_typeEEEZNS1_10merge_implIS3_NS0_12zip_iteratorINS5_IJN6thrust23THRUST_200600_302600_NS6detail15normal_iteratorINSC_10device_ptrIKiEEEESI_EEEEESK_NSA_INS5_IJNSE_INSF_IiEEEESM_EEEEEPS7_SP_SP_NSC_11hip_rocprim7__merge17predicate_wrapperIiiNSC_4lessIiEEEEEE10hipError_tPvRmT0_T1_T2_T3_T4_T5_mmT6_P12ihipStream_tbEUlT_E_NS1_11comp_targetILNS1_3genE5ELNS1_11target_archE942ELNS1_3gpuE9ELNS1_3repE0EEENS1_30default_config_static_selectorELNS0_4arch9wavefront6targetE0EEEvS10_.num_vgpr, 0
	.set _ZN7rocprim17ROCPRIM_400000_NS6detail17trampoline_kernelINS0_14default_configENS1_21merge_config_selectorINS0_5tupleIJiiEEENS0_10empty_typeEEEZNS1_10merge_implIS3_NS0_12zip_iteratorINS5_IJN6thrust23THRUST_200600_302600_NS6detail15normal_iteratorINSC_10device_ptrIKiEEEESI_EEEEESK_NSA_INS5_IJNSE_INSF_IiEEEESM_EEEEEPS7_SP_SP_NSC_11hip_rocprim7__merge17predicate_wrapperIiiNSC_4lessIiEEEEEE10hipError_tPvRmT0_T1_T2_T3_T4_T5_mmT6_P12ihipStream_tbEUlT_E_NS1_11comp_targetILNS1_3genE5ELNS1_11target_archE942ELNS1_3gpuE9ELNS1_3repE0EEENS1_30default_config_static_selectorELNS0_4arch9wavefront6targetE0EEEvS10_.num_agpr, 0
	.set _ZN7rocprim17ROCPRIM_400000_NS6detail17trampoline_kernelINS0_14default_configENS1_21merge_config_selectorINS0_5tupleIJiiEEENS0_10empty_typeEEEZNS1_10merge_implIS3_NS0_12zip_iteratorINS5_IJN6thrust23THRUST_200600_302600_NS6detail15normal_iteratorINSC_10device_ptrIKiEEEESI_EEEEESK_NSA_INS5_IJNSE_INSF_IiEEEESM_EEEEEPS7_SP_SP_NSC_11hip_rocprim7__merge17predicate_wrapperIiiNSC_4lessIiEEEEEE10hipError_tPvRmT0_T1_T2_T3_T4_T5_mmT6_P12ihipStream_tbEUlT_E_NS1_11comp_targetILNS1_3genE5ELNS1_11target_archE942ELNS1_3gpuE9ELNS1_3repE0EEENS1_30default_config_static_selectorELNS0_4arch9wavefront6targetE0EEEvS10_.numbered_sgpr, 0
	.set _ZN7rocprim17ROCPRIM_400000_NS6detail17trampoline_kernelINS0_14default_configENS1_21merge_config_selectorINS0_5tupleIJiiEEENS0_10empty_typeEEEZNS1_10merge_implIS3_NS0_12zip_iteratorINS5_IJN6thrust23THRUST_200600_302600_NS6detail15normal_iteratorINSC_10device_ptrIKiEEEESI_EEEEESK_NSA_INS5_IJNSE_INSF_IiEEEESM_EEEEEPS7_SP_SP_NSC_11hip_rocprim7__merge17predicate_wrapperIiiNSC_4lessIiEEEEEE10hipError_tPvRmT0_T1_T2_T3_T4_T5_mmT6_P12ihipStream_tbEUlT_E_NS1_11comp_targetILNS1_3genE5ELNS1_11target_archE942ELNS1_3gpuE9ELNS1_3repE0EEENS1_30default_config_static_selectorELNS0_4arch9wavefront6targetE0EEEvS10_.num_named_barrier, 0
	.set _ZN7rocprim17ROCPRIM_400000_NS6detail17trampoline_kernelINS0_14default_configENS1_21merge_config_selectorINS0_5tupleIJiiEEENS0_10empty_typeEEEZNS1_10merge_implIS3_NS0_12zip_iteratorINS5_IJN6thrust23THRUST_200600_302600_NS6detail15normal_iteratorINSC_10device_ptrIKiEEEESI_EEEEESK_NSA_INS5_IJNSE_INSF_IiEEEESM_EEEEEPS7_SP_SP_NSC_11hip_rocprim7__merge17predicate_wrapperIiiNSC_4lessIiEEEEEE10hipError_tPvRmT0_T1_T2_T3_T4_T5_mmT6_P12ihipStream_tbEUlT_E_NS1_11comp_targetILNS1_3genE5ELNS1_11target_archE942ELNS1_3gpuE9ELNS1_3repE0EEENS1_30default_config_static_selectorELNS0_4arch9wavefront6targetE0EEEvS10_.private_seg_size, 0
	.set _ZN7rocprim17ROCPRIM_400000_NS6detail17trampoline_kernelINS0_14default_configENS1_21merge_config_selectorINS0_5tupleIJiiEEENS0_10empty_typeEEEZNS1_10merge_implIS3_NS0_12zip_iteratorINS5_IJN6thrust23THRUST_200600_302600_NS6detail15normal_iteratorINSC_10device_ptrIKiEEEESI_EEEEESK_NSA_INS5_IJNSE_INSF_IiEEEESM_EEEEEPS7_SP_SP_NSC_11hip_rocprim7__merge17predicate_wrapperIiiNSC_4lessIiEEEEEE10hipError_tPvRmT0_T1_T2_T3_T4_T5_mmT6_P12ihipStream_tbEUlT_E_NS1_11comp_targetILNS1_3genE5ELNS1_11target_archE942ELNS1_3gpuE9ELNS1_3repE0EEENS1_30default_config_static_selectorELNS0_4arch9wavefront6targetE0EEEvS10_.uses_vcc, 0
	.set _ZN7rocprim17ROCPRIM_400000_NS6detail17trampoline_kernelINS0_14default_configENS1_21merge_config_selectorINS0_5tupleIJiiEEENS0_10empty_typeEEEZNS1_10merge_implIS3_NS0_12zip_iteratorINS5_IJN6thrust23THRUST_200600_302600_NS6detail15normal_iteratorINSC_10device_ptrIKiEEEESI_EEEEESK_NSA_INS5_IJNSE_INSF_IiEEEESM_EEEEEPS7_SP_SP_NSC_11hip_rocprim7__merge17predicate_wrapperIiiNSC_4lessIiEEEEEE10hipError_tPvRmT0_T1_T2_T3_T4_T5_mmT6_P12ihipStream_tbEUlT_E_NS1_11comp_targetILNS1_3genE5ELNS1_11target_archE942ELNS1_3gpuE9ELNS1_3repE0EEENS1_30default_config_static_selectorELNS0_4arch9wavefront6targetE0EEEvS10_.uses_flat_scratch, 0
	.set _ZN7rocprim17ROCPRIM_400000_NS6detail17trampoline_kernelINS0_14default_configENS1_21merge_config_selectorINS0_5tupleIJiiEEENS0_10empty_typeEEEZNS1_10merge_implIS3_NS0_12zip_iteratorINS5_IJN6thrust23THRUST_200600_302600_NS6detail15normal_iteratorINSC_10device_ptrIKiEEEESI_EEEEESK_NSA_INS5_IJNSE_INSF_IiEEEESM_EEEEEPS7_SP_SP_NSC_11hip_rocprim7__merge17predicate_wrapperIiiNSC_4lessIiEEEEEE10hipError_tPvRmT0_T1_T2_T3_T4_T5_mmT6_P12ihipStream_tbEUlT_E_NS1_11comp_targetILNS1_3genE5ELNS1_11target_archE942ELNS1_3gpuE9ELNS1_3repE0EEENS1_30default_config_static_selectorELNS0_4arch9wavefront6targetE0EEEvS10_.has_dyn_sized_stack, 0
	.set _ZN7rocprim17ROCPRIM_400000_NS6detail17trampoline_kernelINS0_14default_configENS1_21merge_config_selectorINS0_5tupleIJiiEEENS0_10empty_typeEEEZNS1_10merge_implIS3_NS0_12zip_iteratorINS5_IJN6thrust23THRUST_200600_302600_NS6detail15normal_iteratorINSC_10device_ptrIKiEEEESI_EEEEESK_NSA_INS5_IJNSE_INSF_IiEEEESM_EEEEEPS7_SP_SP_NSC_11hip_rocprim7__merge17predicate_wrapperIiiNSC_4lessIiEEEEEE10hipError_tPvRmT0_T1_T2_T3_T4_T5_mmT6_P12ihipStream_tbEUlT_E_NS1_11comp_targetILNS1_3genE5ELNS1_11target_archE942ELNS1_3gpuE9ELNS1_3repE0EEENS1_30default_config_static_selectorELNS0_4arch9wavefront6targetE0EEEvS10_.has_recursion, 0
	.set _ZN7rocprim17ROCPRIM_400000_NS6detail17trampoline_kernelINS0_14default_configENS1_21merge_config_selectorINS0_5tupleIJiiEEENS0_10empty_typeEEEZNS1_10merge_implIS3_NS0_12zip_iteratorINS5_IJN6thrust23THRUST_200600_302600_NS6detail15normal_iteratorINSC_10device_ptrIKiEEEESI_EEEEESK_NSA_INS5_IJNSE_INSF_IiEEEESM_EEEEEPS7_SP_SP_NSC_11hip_rocprim7__merge17predicate_wrapperIiiNSC_4lessIiEEEEEE10hipError_tPvRmT0_T1_T2_T3_T4_T5_mmT6_P12ihipStream_tbEUlT_E_NS1_11comp_targetILNS1_3genE5ELNS1_11target_archE942ELNS1_3gpuE9ELNS1_3repE0EEENS1_30default_config_static_selectorELNS0_4arch9wavefront6targetE0EEEvS10_.has_indirect_call, 0
	.section	.AMDGPU.csdata,"",@progbits
; Kernel info:
; codeLenInByte = 0
; TotalNumSgprs: 0
; NumVgprs: 0
; ScratchSize: 0
; MemoryBound: 0
; FloatMode: 240
; IeeeMode: 1
; LDSByteSize: 0 bytes/workgroup (compile time only)
; SGPRBlocks: 0
; VGPRBlocks: 0
; NumSGPRsForWavesPerEU: 1
; NumVGPRsForWavesPerEU: 1
; NamedBarCnt: 0
; Occupancy: 16
; WaveLimiterHint : 0
; COMPUTE_PGM_RSRC2:SCRATCH_EN: 0
; COMPUTE_PGM_RSRC2:USER_SGPR: 2
; COMPUTE_PGM_RSRC2:TRAP_HANDLER: 0
; COMPUTE_PGM_RSRC2:TGID_X_EN: 1
; COMPUTE_PGM_RSRC2:TGID_Y_EN: 0
; COMPUTE_PGM_RSRC2:TGID_Z_EN: 0
; COMPUTE_PGM_RSRC2:TIDIG_COMP_CNT: 0
	.section	.text._ZN7rocprim17ROCPRIM_400000_NS6detail17trampoline_kernelINS0_14default_configENS1_21merge_config_selectorINS0_5tupleIJiiEEENS0_10empty_typeEEEZNS1_10merge_implIS3_NS0_12zip_iteratorINS5_IJN6thrust23THRUST_200600_302600_NS6detail15normal_iteratorINSC_10device_ptrIKiEEEESI_EEEEESK_NSA_INS5_IJNSE_INSF_IiEEEESM_EEEEEPS7_SP_SP_NSC_11hip_rocprim7__merge17predicate_wrapperIiiNSC_4lessIiEEEEEE10hipError_tPvRmT0_T1_T2_T3_T4_T5_mmT6_P12ihipStream_tbEUlT_E_NS1_11comp_targetILNS1_3genE4ELNS1_11target_archE910ELNS1_3gpuE8ELNS1_3repE0EEENS1_30default_config_static_selectorELNS0_4arch9wavefront6targetE0EEEvS10_,"axG",@progbits,_ZN7rocprim17ROCPRIM_400000_NS6detail17trampoline_kernelINS0_14default_configENS1_21merge_config_selectorINS0_5tupleIJiiEEENS0_10empty_typeEEEZNS1_10merge_implIS3_NS0_12zip_iteratorINS5_IJN6thrust23THRUST_200600_302600_NS6detail15normal_iteratorINSC_10device_ptrIKiEEEESI_EEEEESK_NSA_INS5_IJNSE_INSF_IiEEEESM_EEEEEPS7_SP_SP_NSC_11hip_rocprim7__merge17predicate_wrapperIiiNSC_4lessIiEEEEEE10hipError_tPvRmT0_T1_T2_T3_T4_T5_mmT6_P12ihipStream_tbEUlT_E_NS1_11comp_targetILNS1_3genE4ELNS1_11target_archE910ELNS1_3gpuE8ELNS1_3repE0EEENS1_30default_config_static_selectorELNS0_4arch9wavefront6targetE0EEEvS10_,comdat
	.protected	_ZN7rocprim17ROCPRIM_400000_NS6detail17trampoline_kernelINS0_14default_configENS1_21merge_config_selectorINS0_5tupleIJiiEEENS0_10empty_typeEEEZNS1_10merge_implIS3_NS0_12zip_iteratorINS5_IJN6thrust23THRUST_200600_302600_NS6detail15normal_iteratorINSC_10device_ptrIKiEEEESI_EEEEESK_NSA_INS5_IJNSE_INSF_IiEEEESM_EEEEEPS7_SP_SP_NSC_11hip_rocprim7__merge17predicate_wrapperIiiNSC_4lessIiEEEEEE10hipError_tPvRmT0_T1_T2_T3_T4_T5_mmT6_P12ihipStream_tbEUlT_E_NS1_11comp_targetILNS1_3genE4ELNS1_11target_archE910ELNS1_3gpuE8ELNS1_3repE0EEENS1_30default_config_static_selectorELNS0_4arch9wavefront6targetE0EEEvS10_ ; -- Begin function _ZN7rocprim17ROCPRIM_400000_NS6detail17trampoline_kernelINS0_14default_configENS1_21merge_config_selectorINS0_5tupleIJiiEEENS0_10empty_typeEEEZNS1_10merge_implIS3_NS0_12zip_iteratorINS5_IJN6thrust23THRUST_200600_302600_NS6detail15normal_iteratorINSC_10device_ptrIKiEEEESI_EEEEESK_NSA_INS5_IJNSE_INSF_IiEEEESM_EEEEEPS7_SP_SP_NSC_11hip_rocprim7__merge17predicate_wrapperIiiNSC_4lessIiEEEEEE10hipError_tPvRmT0_T1_T2_T3_T4_T5_mmT6_P12ihipStream_tbEUlT_E_NS1_11comp_targetILNS1_3genE4ELNS1_11target_archE910ELNS1_3gpuE8ELNS1_3repE0EEENS1_30default_config_static_selectorELNS0_4arch9wavefront6targetE0EEEvS10_
	.globl	_ZN7rocprim17ROCPRIM_400000_NS6detail17trampoline_kernelINS0_14default_configENS1_21merge_config_selectorINS0_5tupleIJiiEEENS0_10empty_typeEEEZNS1_10merge_implIS3_NS0_12zip_iteratorINS5_IJN6thrust23THRUST_200600_302600_NS6detail15normal_iteratorINSC_10device_ptrIKiEEEESI_EEEEESK_NSA_INS5_IJNSE_INSF_IiEEEESM_EEEEEPS7_SP_SP_NSC_11hip_rocprim7__merge17predicate_wrapperIiiNSC_4lessIiEEEEEE10hipError_tPvRmT0_T1_T2_T3_T4_T5_mmT6_P12ihipStream_tbEUlT_E_NS1_11comp_targetILNS1_3genE4ELNS1_11target_archE910ELNS1_3gpuE8ELNS1_3repE0EEENS1_30default_config_static_selectorELNS0_4arch9wavefront6targetE0EEEvS10_
	.p2align	8
	.type	_ZN7rocprim17ROCPRIM_400000_NS6detail17trampoline_kernelINS0_14default_configENS1_21merge_config_selectorINS0_5tupleIJiiEEENS0_10empty_typeEEEZNS1_10merge_implIS3_NS0_12zip_iteratorINS5_IJN6thrust23THRUST_200600_302600_NS6detail15normal_iteratorINSC_10device_ptrIKiEEEESI_EEEEESK_NSA_INS5_IJNSE_INSF_IiEEEESM_EEEEEPS7_SP_SP_NSC_11hip_rocprim7__merge17predicate_wrapperIiiNSC_4lessIiEEEEEE10hipError_tPvRmT0_T1_T2_T3_T4_T5_mmT6_P12ihipStream_tbEUlT_E_NS1_11comp_targetILNS1_3genE4ELNS1_11target_archE910ELNS1_3gpuE8ELNS1_3repE0EEENS1_30default_config_static_selectorELNS0_4arch9wavefront6targetE0EEEvS10_,@function
_ZN7rocprim17ROCPRIM_400000_NS6detail17trampoline_kernelINS0_14default_configENS1_21merge_config_selectorINS0_5tupleIJiiEEENS0_10empty_typeEEEZNS1_10merge_implIS3_NS0_12zip_iteratorINS5_IJN6thrust23THRUST_200600_302600_NS6detail15normal_iteratorINSC_10device_ptrIKiEEEESI_EEEEESK_NSA_INS5_IJNSE_INSF_IiEEEESM_EEEEEPS7_SP_SP_NSC_11hip_rocprim7__merge17predicate_wrapperIiiNSC_4lessIiEEEEEE10hipError_tPvRmT0_T1_T2_T3_T4_T5_mmT6_P12ihipStream_tbEUlT_E_NS1_11comp_targetILNS1_3genE4ELNS1_11target_archE910ELNS1_3gpuE8ELNS1_3repE0EEENS1_30default_config_static_selectorELNS0_4arch9wavefront6targetE0EEEvS10_: ; @_ZN7rocprim17ROCPRIM_400000_NS6detail17trampoline_kernelINS0_14default_configENS1_21merge_config_selectorINS0_5tupleIJiiEEENS0_10empty_typeEEEZNS1_10merge_implIS3_NS0_12zip_iteratorINS5_IJN6thrust23THRUST_200600_302600_NS6detail15normal_iteratorINSC_10device_ptrIKiEEEESI_EEEEESK_NSA_INS5_IJNSE_INSF_IiEEEESM_EEEEEPS7_SP_SP_NSC_11hip_rocprim7__merge17predicate_wrapperIiiNSC_4lessIiEEEEEE10hipError_tPvRmT0_T1_T2_T3_T4_T5_mmT6_P12ihipStream_tbEUlT_E_NS1_11comp_targetILNS1_3genE4ELNS1_11target_archE910ELNS1_3gpuE8ELNS1_3repE0EEENS1_30default_config_static_selectorELNS0_4arch9wavefront6targetE0EEEvS10_
; %bb.0:
	.section	.rodata,"a",@progbits
	.p2align	6, 0x0
	.amdhsa_kernel _ZN7rocprim17ROCPRIM_400000_NS6detail17trampoline_kernelINS0_14default_configENS1_21merge_config_selectorINS0_5tupleIJiiEEENS0_10empty_typeEEEZNS1_10merge_implIS3_NS0_12zip_iteratorINS5_IJN6thrust23THRUST_200600_302600_NS6detail15normal_iteratorINSC_10device_ptrIKiEEEESI_EEEEESK_NSA_INS5_IJNSE_INSF_IiEEEESM_EEEEEPS7_SP_SP_NSC_11hip_rocprim7__merge17predicate_wrapperIiiNSC_4lessIiEEEEEE10hipError_tPvRmT0_T1_T2_T3_T4_T5_mmT6_P12ihipStream_tbEUlT_E_NS1_11comp_targetILNS1_3genE4ELNS1_11target_archE910ELNS1_3gpuE8ELNS1_3repE0EEENS1_30default_config_static_selectorELNS0_4arch9wavefront6targetE0EEEvS10_
		.amdhsa_group_segment_fixed_size 0
		.amdhsa_private_segment_fixed_size 0
		.amdhsa_kernarg_size 64
		.amdhsa_user_sgpr_count 2
		.amdhsa_user_sgpr_dispatch_ptr 0
		.amdhsa_user_sgpr_queue_ptr 0
		.amdhsa_user_sgpr_kernarg_segment_ptr 1
		.amdhsa_user_sgpr_dispatch_id 0
		.amdhsa_user_sgpr_kernarg_preload_length 0
		.amdhsa_user_sgpr_kernarg_preload_offset 0
		.amdhsa_user_sgpr_private_segment_size 0
		.amdhsa_wavefront_size32 1
		.amdhsa_uses_dynamic_stack 0
		.amdhsa_enable_private_segment 0
		.amdhsa_system_sgpr_workgroup_id_x 1
		.amdhsa_system_sgpr_workgroup_id_y 0
		.amdhsa_system_sgpr_workgroup_id_z 0
		.amdhsa_system_sgpr_workgroup_info 0
		.amdhsa_system_vgpr_workitem_id 0
		.amdhsa_next_free_vgpr 1
		.amdhsa_next_free_sgpr 1
		.amdhsa_named_barrier_count 0
		.amdhsa_reserve_vcc 0
		.amdhsa_float_round_mode_32 0
		.amdhsa_float_round_mode_16_64 0
		.amdhsa_float_denorm_mode_32 3
		.amdhsa_float_denorm_mode_16_64 3
		.amdhsa_fp16_overflow 0
		.amdhsa_memory_ordered 1
		.amdhsa_forward_progress 1
		.amdhsa_inst_pref_size 0
		.amdhsa_round_robin_scheduling 0
		.amdhsa_exception_fp_ieee_invalid_op 0
		.amdhsa_exception_fp_denorm_src 0
		.amdhsa_exception_fp_ieee_div_zero 0
		.amdhsa_exception_fp_ieee_overflow 0
		.amdhsa_exception_fp_ieee_underflow 0
		.amdhsa_exception_fp_ieee_inexact 0
		.amdhsa_exception_int_div_zero 0
	.end_amdhsa_kernel
	.section	.text._ZN7rocprim17ROCPRIM_400000_NS6detail17trampoline_kernelINS0_14default_configENS1_21merge_config_selectorINS0_5tupleIJiiEEENS0_10empty_typeEEEZNS1_10merge_implIS3_NS0_12zip_iteratorINS5_IJN6thrust23THRUST_200600_302600_NS6detail15normal_iteratorINSC_10device_ptrIKiEEEESI_EEEEESK_NSA_INS5_IJNSE_INSF_IiEEEESM_EEEEEPS7_SP_SP_NSC_11hip_rocprim7__merge17predicate_wrapperIiiNSC_4lessIiEEEEEE10hipError_tPvRmT0_T1_T2_T3_T4_T5_mmT6_P12ihipStream_tbEUlT_E_NS1_11comp_targetILNS1_3genE4ELNS1_11target_archE910ELNS1_3gpuE8ELNS1_3repE0EEENS1_30default_config_static_selectorELNS0_4arch9wavefront6targetE0EEEvS10_,"axG",@progbits,_ZN7rocprim17ROCPRIM_400000_NS6detail17trampoline_kernelINS0_14default_configENS1_21merge_config_selectorINS0_5tupleIJiiEEENS0_10empty_typeEEEZNS1_10merge_implIS3_NS0_12zip_iteratorINS5_IJN6thrust23THRUST_200600_302600_NS6detail15normal_iteratorINSC_10device_ptrIKiEEEESI_EEEEESK_NSA_INS5_IJNSE_INSF_IiEEEESM_EEEEEPS7_SP_SP_NSC_11hip_rocprim7__merge17predicate_wrapperIiiNSC_4lessIiEEEEEE10hipError_tPvRmT0_T1_T2_T3_T4_T5_mmT6_P12ihipStream_tbEUlT_E_NS1_11comp_targetILNS1_3genE4ELNS1_11target_archE910ELNS1_3gpuE8ELNS1_3repE0EEENS1_30default_config_static_selectorELNS0_4arch9wavefront6targetE0EEEvS10_,comdat
.Lfunc_end245:
	.size	_ZN7rocprim17ROCPRIM_400000_NS6detail17trampoline_kernelINS0_14default_configENS1_21merge_config_selectorINS0_5tupleIJiiEEENS0_10empty_typeEEEZNS1_10merge_implIS3_NS0_12zip_iteratorINS5_IJN6thrust23THRUST_200600_302600_NS6detail15normal_iteratorINSC_10device_ptrIKiEEEESI_EEEEESK_NSA_INS5_IJNSE_INSF_IiEEEESM_EEEEEPS7_SP_SP_NSC_11hip_rocprim7__merge17predicate_wrapperIiiNSC_4lessIiEEEEEE10hipError_tPvRmT0_T1_T2_T3_T4_T5_mmT6_P12ihipStream_tbEUlT_E_NS1_11comp_targetILNS1_3genE4ELNS1_11target_archE910ELNS1_3gpuE8ELNS1_3repE0EEENS1_30default_config_static_selectorELNS0_4arch9wavefront6targetE0EEEvS10_, .Lfunc_end245-_ZN7rocprim17ROCPRIM_400000_NS6detail17trampoline_kernelINS0_14default_configENS1_21merge_config_selectorINS0_5tupleIJiiEEENS0_10empty_typeEEEZNS1_10merge_implIS3_NS0_12zip_iteratorINS5_IJN6thrust23THRUST_200600_302600_NS6detail15normal_iteratorINSC_10device_ptrIKiEEEESI_EEEEESK_NSA_INS5_IJNSE_INSF_IiEEEESM_EEEEEPS7_SP_SP_NSC_11hip_rocprim7__merge17predicate_wrapperIiiNSC_4lessIiEEEEEE10hipError_tPvRmT0_T1_T2_T3_T4_T5_mmT6_P12ihipStream_tbEUlT_E_NS1_11comp_targetILNS1_3genE4ELNS1_11target_archE910ELNS1_3gpuE8ELNS1_3repE0EEENS1_30default_config_static_selectorELNS0_4arch9wavefront6targetE0EEEvS10_
                                        ; -- End function
	.set _ZN7rocprim17ROCPRIM_400000_NS6detail17trampoline_kernelINS0_14default_configENS1_21merge_config_selectorINS0_5tupleIJiiEEENS0_10empty_typeEEEZNS1_10merge_implIS3_NS0_12zip_iteratorINS5_IJN6thrust23THRUST_200600_302600_NS6detail15normal_iteratorINSC_10device_ptrIKiEEEESI_EEEEESK_NSA_INS5_IJNSE_INSF_IiEEEESM_EEEEEPS7_SP_SP_NSC_11hip_rocprim7__merge17predicate_wrapperIiiNSC_4lessIiEEEEEE10hipError_tPvRmT0_T1_T2_T3_T4_T5_mmT6_P12ihipStream_tbEUlT_E_NS1_11comp_targetILNS1_3genE4ELNS1_11target_archE910ELNS1_3gpuE8ELNS1_3repE0EEENS1_30default_config_static_selectorELNS0_4arch9wavefront6targetE0EEEvS10_.num_vgpr, 0
	.set _ZN7rocprim17ROCPRIM_400000_NS6detail17trampoline_kernelINS0_14default_configENS1_21merge_config_selectorINS0_5tupleIJiiEEENS0_10empty_typeEEEZNS1_10merge_implIS3_NS0_12zip_iteratorINS5_IJN6thrust23THRUST_200600_302600_NS6detail15normal_iteratorINSC_10device_ptrIKiEEEESI_EEEEESK_NSA_INS5_IJNSE_INSF_IiEEEESM_EEEEEPS7_SP_SP_NSC_11hip_rocprim7__merge17predicate_wrapperIiiNSC_4lessIiEEEEEE10hipError_tPvRmT0_T1_T2_T3_T4_T5_mmT6_P12ihipStream_tbEUlT_E_NS1_11comp_targetILNS1_3genE4ELNS1_11target_archE910ELNS1_3gpuE8ELNS1_3repE0EEENS1_30default_config_static_selectorELNS0_4arch9wavefront6targetE0EEEvS10_.num_agpr, 0
	.set _ZN7rocprim17ROCPRIM_400000_NS6detail17trampoline_kernelINS0_14default_configENS1_21merge_config_selectorINS0_5tupleIJiiEEENS0_10empty_typeEEEZNS1_10merge_implIS3_NS0_12zip_iteratorINS5_IJN6thrust23THRUST_200600_302600_NS6detail15normal_iteratorINSC_10device_ptrIKiEEEESI_EEEEESK_NSA_INS5_IJNSE_INSF_IiEEEESM_EEEEEPS7_SP_SP_NSC_11hip_rocprim7__merge17predicate_wrapperIiiNSC_4lessIiEEEEEE10hipError_tPvRmT0_T1_T2_T3_T4_T5_mmT6_P12ihipStream_tbEUlT_E_NS1_11comp_targetILNS1_3genE4ELNS1_11target_archE910ELNS1_3gpuE8ELNS1_3repE0EEENS1_30default_config_static_selectorELNS0_4arch9wavefront6targetE0EEEvS10_.numbered_sgpr, 0
	.set _ZN7rocprim17ROCPRIM_400000_NS6detail17trampoline_kernelINS0_14default_configENS1_21merge_config_selectorINS0_5tupleIJiiEEENS0_10empty_typeEEEZNS1_10merge_implIS3_NS0_12zip_iteratorINS5_IJN6thrust23THRUST_200600_302600_NS6detail15normal_iteratorINSC_10device_ptrIKiEEEESI_EEEEESK_NSA_INS5_IJNSE_INSF_IiEEEESM_EEEEEPS7_SP_SP_NSC_11hip_rocprim7__merge17predicate_wrapperIiiNSC_4lessIiEEEEEE10hipError_tPvRmT0_T1_T2_T3_T4_T5_mmT6_P12ihipStream_tbEUlT_E_NS1_11comp_targetILNS1_3genE4ELNS1_11target_archE910ELNS1_3gpuE8ELNS1_3repE0EEENS1_30default_config_static_selectorELNS0_4arch9wavefront6targetE0EEEvS10_.num_named_barrier, 0
	.set _ZN7rocprim17ROCPRIM_400000_NS6detail17trampoline_kernelINS0_14default_configENS1_21merge_config_selectorINS0_5tupleIJiiEEENS0_10empty_typeEEEZNS1_10merge_implIS3_NS0_12zip_iteratorINS5_IJN6thrust23THRUST_200600_302600_NS6detail15normal_iteratorINSC_10device_ptrIKiEEEESI_EEEEESK_NSA_INS5_IJNSE_INSF_IiEEEESM_EEEEEPS7_SP_SP_NSC_11hip_rocprim7__merge17predicate_wrapperIiiNSC_4lessIiEEEEEE10hipError_tPvRmT0_T1_T2_T3_T4_T5_mmT6_P12ihipStream_tbEUlT_E_NS1_11comp_targetILNS1_3genE4ELNS1_11target_archE910ELNS1_3gpuE8ELNS1_3repE0EEENS1_30default_config_static_selectorELNS0_4arch9wavefront6targetE0EEEvS10_.private_seg_size, 0
	.set _ZN7rocprim17ROCPRIM_400000_NS6detail17trampoline_kernelINS0_14default_configENS1_21merge_config_selectorINS0_5tupleIJiiEEENS0_10empty_typeEEEZNS1_10merge_implIS3_NS0_12zip_iteratorINS5_IJN6thrust23THRUST_200600_302600_NS6detail15normal_iteratorINSC_10device_ptrIKiEEEESI_EEEEESK_NSA_INS5_IJNSE_INSF_IiEEEESM_EEEEEPS7_SP_SP_NSC_11hip_rocprim7__merge17predicate_wrapperIiiNSC_4lessIiEEEEEE10hipError_tPvRmT0_T1_T2_T3_T4_T5_mmT6_P12ihipStream_tbEUlT_E_NS1_11comp_targetILNS1_3genE4ELNS1_11target_archE910ELNS1_3gpuE8ELNS1_3repE0EEENS1_30default_config_static_selectorELNS0_4arch9wavefront6targetE0EEEvS10_.uses_vcc, 0
	.set _ZN7rocprim17ROCPRIM_400000_NS6detail17trampoline_kernelINS0_14default_configENS1_21merge_config_selectorINS0_5tupleIJiiEEENS0_10empty_typeEEEZNS1_10merge_implIS3_NS0_12zip_iteratorINS5_IJN6thrust23THRUST_200600_302600_NS6detail15normal_iteratorINSC_10device_ptrIKiEEEESI_EEEEESK_NSA_INS5_IJNSE_INSF_IiEEEESM_EEEEEPS7_SP_SP_NSC_11hip_rocprim7__merge17predicate_wrapperIiiNSC_4lessIiEEEEEE10hipError_tPvRmT0_T1_T2_T3_T4_T5_mmT6_P12ihipStream_tbEUlT_E_NS1_11comp_targetILNS1_3genE4ELNS1_11target_archE910ELNS1_3gpuE8ELNS1_3repE0EEENS1_30default_config_static_selectorELNS0_4arch9wavefront6targetE0EEEvS10_.uses_flat_scratch, 0
	.set _ZN7rocprim17ROCPRIM_400000_NS6detail17trampoline_kernelINS0_14default_configENS1_21merge_config_selectorINS0_5tupleIJiiEEENS0_10empty_typeEEEZNS1_10merge_implIS3_NS0_12zip_iteratorINS5_IJN6thrust23THRUST_200600_302600_NS6detail15normal_iteratorINSC_10device_ptrIKiEEEESI_EEEEESK_NSA_INS5_IJNSE_INSF_IiEEEESM_EEEEEPS7_SP_SP_NSC_11hip_rocprim7__merge17predicate_wrapperIiiNSC_4lessIiEEEEEE10hipError_tPvRmT0_T1_T2_T3_T4_T5_mmT6_P12ihipStream_tbEUlT_E_NS1_11comp_targetILNS1_3genE4ELNS1_11target_archE910ELNS1_3gpuE8ELNS1_3repE0EEENS1_30default_config_static_selectorELNS0_4arch9wavefront6targetE0EEEvS10_.has_dyn_sized_stack, 0
	.set _ZN7rocprim17ROCPRIM_400000_NS6detail17trampoline_kernelINS0_14default_configENS1_21merge_config_selectorINS0_5tupleIJiiEEENS0_10empty_typeEEEZNS1_10merge_implIS3_NS0_12zip_iteratorINS5_IJN6thrust23THRUST_200600_302600_NS6detail15normal_iteratorINSC_10device_ptrIKiEEEESI_EEEEESK_NSA_INS5_IJNSE_INSF_IiEEEESM_EEEEEPS7_SP_SP_NSC_11hip_rocprim7__merge17predicate_wrapperIiiNSC_4lessIiEEEEEE10hipError_tPvRmT0_T1_T2_T3_T4_T5_mmT6_P12ihipStream_tbEUlT_E_NS1_11comp_targetILNS1_3genE4ELNS1_11target_archE910ELNS1_3gpuE8ELNS1_3repE0EEENS1_30default_config_static_selectorELNS0_4arch9wavefront6targetE0EEEvS10_.has_recursion, 0
	.set _ZN7rocprim17ROCPRIM_400000_NS6detail17trampoline_kernelINS0_14default_configENS1_21merge_config_selectorINS0_5tupleIJiiEEENS0_10empty_typeEEEZNS1_10merge_implIS3_NS0_12zip_iteratorINS5_IJN6thrust23THRUST_200600_302600_NS6detail15normal_iteratorINSC_10device_ptrIKiEEEESI_EEEEESK_NSA_INS5_IJNSE_INSF_IiEEEESM_EEEEEPS7_SP_SP_NSC_11hip_rocprim7__merge17predicate_wrapperIiiNSC_4lessIiEEEEEE10hipError_tPvRmT0_T1_T2_T3_T4_T5_mmT6_P12ihipStream_tbEUlT_E_NS1_11comp_targetILNS1_3genE4ELNS1_11target_archE910ELNS1_3gpuE8ELNS1_3repE0EEENS1_30default_config_static_selectorELNS0_4arch9wavefront6targetE0EEEvS10_.has_indirect_call, 0
	.section	.AMDGPU.csdata,"",@progbits
; Kernel info:
; codeLenInByte = 0
; TotalNumSgprs: 0
; NumVgprs: 0
; ScratchSize: 0
; MemoryBound: 0
; FloatMode: 240
; IeeeMode: 1
; LDSByteSize: 0 bytes/workgroup (compile time only)
; SGPRBlocks: 0
; VGPRBlocks: 0
; NumSGPRsForWavesPerEU: 1
; NumVGPRsForWavesPerEU: 1
; NamedBarCnt: 0
; Occupancy: 16
; WaveLimiterHint : 0
; COMPUTE_PGM_RSRC2:SCRATCH_EN: 0
; COMPUTE_PGM_RSRC2:USER_SGPR: 2
; COMPUTE_PGM_RSRC2:TRAP_HANDLER: 0
; COMPUTE_PGM_RSRC2:TGID_X_EN: 1
; COMPUTE_PGM_RSRC2:TGID_Y_EN: 0
; COMPUTE_PGM_RSRC2:TGID_Z_EN: 0
; COMPUTE_PGM_RSRC2:TIDIG_COMP_CNT: 0
	.section	.text._ZN7rocprim17ROCPRIM_400000_NS6detail17trampoline_kernelINS0_14default_configENS1_21merge_config_selectorINS0_5tupleIJiiEEENS0_10empty_typeEEEZNS1_10merge_implIS3_NS0_12zip_iteratorINS5_IJN6thrust23THRUST_200600_302600_NS6detail15normal_iteratorINSC_10device_ptrIKiEEEESI_EEEEESK_NSA_INS5_IJNSE_INSF_IiEEEESM_EEEEEPS7_SP_SP_NSC_11hip_rocprim7__merge17predicate_wrapperIiiNSC_4lessIiEEEEEE10hipError_tPvRmT0_T1_T2_T3_T4_T5_mmT6_P12ihipStream_tbEUlT_E_NS1_11comp_targetILNS1_3genE3ELNS1_11target_archE908ELNS1_3gpuE7ELNS1_3repE0EEENS1_30default_config_static_selectorELNS0_4arch9wavefront6targetE0EEEvS10_,"axG",@progbits,_ZN7rocprim17ROCPRIM_400000_NS6detail17trampoline_kernelINS0_14default_configENS1_21merge_config_selectorINS0_5tupleIJiiEEENS0_10empty_typeEEEZNS1_10merge_implIS3_NS0_12zip_iteratorINS5_IJN6thrust23THRUST_200600_302600_NS6detail15normal_iteratorINSC_10device_ptrIKiEEEESI_EEEEESK_NSA_INS5_IJNSE_INSF_IiEEEESM_EEEEEPS7_SP_SP_NSC_11hip_rocprim7__merge17predicate_wrapperIiiNSC_4lessIiEEEEEE10hipError_tPvRmT0_T1_T2_T3_T4_T5_mmT6_P12ihipStream_tbEUlT_E_NS1_11comp_targetILNS1_3genE3ELNS1_11target_archE908ELNS1_3gpuE7ELNS1_3repE0EEENS1_30default_config_static_selectorELNS0_4arch9wavefront6targetE0EEEvS10_,comdat
	.protected	_ZN7rocprim17ROCPRIM_400000_NS6detail17trampoline_kernelINS0_14default_configENS1_21merge_config_selectorINS0_5tupleIJiiEEENS0_10empty_typeEEEZNS1_10merge_implIS3_NS0_12zip_iteratorINS5_IJN6thrust23THRUST_200600_302600_NS6detail15normal_iteratorINSC_10device_ptrIKiEEEESI_EEEEESK_NSA_INS5_IJNSE_INSF_IiEEEESM_EEEEEPS7_SP_SP_NSC_11hip_rocprim7__merge17predicate_wrapperIiiNSC_4lessIiEEEEEE10hipError_tPvRmT0_T1_T2_T3_T4_T5_mmT6_P12ihipStream_tbEUlT_E_NS1_11comp_targetILNS1_3genE3ELNS1_11target_archE908ELNS1_3gpuE7ELNS1_3repE0EEENS1_30default_config_static_selectorELNS0_4arch9wavefront6targetE0EEEvS10_ ; -- Begin function _ZN7rocprim17ROCPRIM_400000_NS6detail17trampoline_kernelINS0_14default_configENS1_21merge_config_selectorINS0_5tupleIJiiEEENS0_10empty_typeEEEZNS1_10merge_implIS3_NS0_12zip_iteratorINS5_IJN6thrust23THRUST_200600_302600_NS6detail15normal_iteratorINSC_10device_ptrIKiEEEESI_EEEEESK_NSA_INS5_IJNSE_INSF_IiEEEESM_EEEEEPS7_SP_SP_NSC_11hip_rocprim7__merge17predicate_wrapperIiiNSC_4lessIiEEEEEE10hipError_tPvRmT0_T1_T2_T3_T4_T5_mmT6_P12ihipStream_tbEUlT_E_NS1_11comp_targetILNS1_3genE3ELNS1_11target_archE908ELNS1_3gpuE7ELNS1_3repE0EEENS1_30default_config_static_selectorELNS0_4arch9wavefront6targetE0EEEvS10_
	.globl	_ZN7rocprim17ROCPRIM_400000_NS6detail17trampoline_kernelINS0_14default_configENS1_21merge_config_selectorINS0_5tupleIJiiEEENS0_10empty_typeEEEZNS1_10merge_implIS3_NS0_12zip_iteratorINS5_IJN6thrust23THRUST_200600_302600_NS6detail15normal_iteratorINSC_10device_ptrIKiEEEESI_EEEEESK_NSA_INS5_IJNSE_INSF_IiEEEESM_EEEEEPS7_SP_SP_NSC_11hip_rocprim7__merge17predicate_wrapperIiiNSC_4lessIiEEEEEE10hipError_tPvRmT0_T1_T2_T3_T4_T5_mmT6_P12ihipStream_tbEUlT_E_NS1_11comp_targetILNS1_3genE3ELNS1_11target_archE908ELNS1_3gpuE7ELNS1_3repE0EEENS1_30default_config_static_selectorELNS0_4arch9wavefront6targetE0EEEvS10_
	.p2align	8
	.type	_ZN7rocprim17ROCPRIM_400000_NS6detail17trampoline_kernelINS0_14default_configENS1_21merge_config_selectorINS0_5tupleIJiiEEENS0_10empty_typeEEEZNS1_10merge_implIS3_NS0_12zip_iteratorINS5_IJN6thrust23THRUST_200600_302600_NS6detail15normal_iteratorINSC_10device_ptrIKiEEEESI_EEEEESK_NSA_INS5_IJNSE_INSF_IiEEEESM_EEEEEPS7_SP_SP_NSC_11hip_rocprim7__merge17predicate_wrapperIiiNSC_4lessIiEEEEEE10hipError_tPvRmT0_T1_T2_T3_T4_T5_mmT6_P12ihipStream_tbEUlT_E_NS1_11comp_targetILNS1_3genE3ELNS1_11target_archE908ELNS1_3gpuE7ELNS1_3repE0EEENS1_30default_config_static_selectorELNS0_4arch9wavefront6targetE0EEEvS10_,@function
_ZN7rocprim17ROCPRIM_400000_NS6detail17trampoline_kernelINS0_14default_configENS1_21merge_config_selectorINS0_5tupleIJiiEEENS0_10empty_typeEEEZNS1_10merge_implIS3_NS0_12zip_iteratorINS5_IJN6thrust23THRUST_200600_302600_NS6detail15normal_iteratorINSC_10device_ptrIKiEEEESI_EEEEESK_NSA_INS5_IJNSE_INSF_IiEEEESM_EEEEEPS7_SP_SP_NSC_11hip_rocprim7__merge17predicate_wrapperIiiNSC_4lessIiEEEEEE10hipError_tPvRmT0_T1_T2_T3_T4_T5_mmT6_P12ihipStream_tbEUlT_E_NS1_11comp_targetILNS1_3genE3ELNS1_11target_archE908ELNS1_3gpuE7ELNS1_3repE0EEENS1_30default_config_static_selectorELNS0_4arch9wavefront6targetE0EEEvS10_: ; @_ZN7rocprim17ROCPRIM_400000_NS6detail17trampoline_kernelINS0_14default_configENS1_21merge_config_selectorINS0_5tupleIJiiEEENS0_10empty_typeEEEZNS1_10merge_implIS3_NS0_12zip_iteratorINS5_IJN6thrust23THRUST_200600_302600_NS6detail15normal_iteratorINSC_10device_ptrIKiEEEESI_EEEEESK_NSA_INS5_IJNSE_INSF_IiEEEESM_EEEEEPS7_SP_SP_NSC_11hip_rocprim7__merge17predicate_wrapperIiiNSC_4lessIiEEEEEE10hipError_tPvRmT0_T1_T2_T3_T4_T5_mmT6_P12ihipStream_tbEUlT_E_NS1_11comp_targetILNS1_3genE3ELNS1_11target_archE908ELNS1_3gpuE7ELNS1_3repE0EEENS1_30default_config_static_selectorELNS0_4arch9wavefront6targetE0EEEvS10_
; %bb.0:
	.section	.rodata,"a",@progbits
	.p2align	6, 0x0
	.amdhsa_kernel _ZN7rocprim17ROCPRIM_400000_NS6detail17trampoline_kernelINS0_14default_configENS1_21merge_config_selectorINS0_5tupleIJiiEEENS0_10empty_typeEEEZNS1_10merge_implIS3_NS0_12zip_iteratorINS5_IJN6thrust23THRUST_200600_302600_NS6detail15normal_iteratorINSC_10device_ptrIKiEEEESI_EEEEESK_NSA_INS5_IJNSE_INSF_IiEEEESM_EEEEEPS7_SP_SP_NSC_11hip_rocprim7__merge17predicate_wrapperIiiNSC_4lessIiEEEEEE10hipError_tPvRmT0_T1_T2_T3_T4_T5_mmT6_P12ihipStream_tbEUlT_E_NS1_11comp_targetILNS1_3genE3ELNS1_11target_archE908ELNS1_3gpuE7ELNS1_3repE0EEENS1_30default_config_static_selectorELNS0_4arch9wavefront6targetE0EEEvS10_
		.amdhsa_group_segment_fixed_size 0
		.amdhsa_private_segment_fixed_size 0
		.amdhsa_kernarg_size 64
		.amdhsa_user_sgpr_count 2
		.amdhsa_user_sgpr_dispatch_ptr 0
		.amdhsa_user_sgpr_queue_ptr 0
		.amdhsa_user_sgpr_kernarg_segment_ptr 1
		.amdhsa_user_sgpr_dispatch_id 0
		.amdhsa_user_sgpr_kernarg_preload_length 0
		.amdhsa_user_sgpr_kernarg_preload_offset 0
		.amdhsa_user_sgpr_private_segment_size 0
		.amdhsa_wavefront_size32 1
		.amdhsa_uses_dynamic_stack 0
		.amdhsa_enable_private_segment 0
		.amdhsa_system_sgpr_workgroup_id_x 1
		.amdhsa_system_sgpr_workgroup_id_y 0
		.amdhsa_system_sgpr_workgroup_id_z 0
		.amdhsa_system_sgpr_workgroup_info 0
		.amdhsa_system_vgpr_workitem_id 0
		.amdhsa_next_free_vgpr 1
		.amdhsa_next_free_sgpr 1
		.amdhsa_named_barrier_count 0
		.amdhsa_reserve_vcc 0
		.amdhsa_float_round_mode_32 0
		.amdhsa_float_round_mode_16_64 0
		.amdhsa_float_denorm_mode_32 3
		.amdhsa_float_denorm_mode_16_64 3
		.amdhsa_fp16_overflow 0
		.amdhsa_memory_ordered 1
		.amdhsa_forward_progress 1
		.amdhsa_inst_pref_size 0
		.amdhsa_round_robin_scheduling 0
		.amdhsa_exception_fp_ieee_invalid_op 0
		.amdhsa_exception_fp_denorm_src 0
		.amdhsa_exception_fp_ieee_div_zero 0
		.amdhsa_exception_fp_ieee_overflow 0
		.amdhsa_exception_fp_ieee_underflow 0
		.amdhsa_exception_fp_ieee_inexact 0
		.amdhsa_exception_int_div_zero 0
	.end_amdhsa_kernel
	.section	.text._ZN7rocprim17ROCPRIM_400000_NS6detail17trampoline_kernelINS0_14default_configENS1_21merge_config_selectorINS0_5tupleIJiiEEENS0_10empty_typeEEEZNS1_10merge_implIS3_NS0_12zip_iteratorINS5_IJN6thrust23THRUST_200600_302600_NS6detail15normal_iteratorINSC_10device_ptrIKiEEEESI_EEEEESK_NSA_INS5_IJNSE_INSF_IiEEEESM_EEEEEPS7_SP_SP_NSC_11hip_rocprim7__merge17predicate_wrapperIiiNSC_4lessIiEEEEEE10hipError_tPvRmT0_T1_T2_T3_T4_T5_mmT6_P12ihipStream_tbEUlT_E_NS1_11comp_targetILNS1_3genE3ELNS1_11target_archE908ELNS1_3gpuE7ELNS1_3repE0EEENS1_30default_config_static_selectorELNS0_4arch9wavefront6targetE0EEEvS10_,"axG",@progbits,_ZN7rocprim17ROCPRIM_400000_NS6detail17trampoline_kernelINS0_14default_configENS1_21merge_config_selectorINS0_5tupleIJiiEEENS0_10empty_typeEEEZNS1_10merge_implIS3_NS0_12zip_iteratorINS5_IJN6thrust23THRUST_200600_302600_NS6detail15normal_iteratorINSC_10device_ptrIKiEEEESI_EEEEESK_NSA_INS5_IJNSE_INSF_IiEEEESM_EEEEEPS7_SP_SP_NSC_11hip_rocprim7__merge17predicate_wrapperIiiNSC_4lessIiEEEEEE10hipError_tPvRmT0_T1_T2_T3_T4_T5_mmT6_P12ihipStream_tbEUlT_E_NS1_11comp_targetILNS1_3genE3ELNS1_11target_archE908ELNS1_3gpuE7ELNS1_3repE0EEENS1_30default_config_static_selectorELNS0_4arch9wavefront6targetE0EEEvS10_,comdat
.Lfunc_end246:
	.size	_ZN7rocprim17ROCPRIM_400000_NS6detail17trampoline_kernelINS0_14default_configENS1_21merge_config_selectorINS0_5tupleIJiiEEENS0_10empty_typeEEEZNS1_10merge_implIS3_NS0_12zip_iteratorINS5_IJN6thrust23THRUST_200600_302600_NS6detail15normal_iteratorINSC_10device_ptrIKiEEEESI_EEEEESK_NSA_INS5_IJNSE_INSF_IiEEEESM_EEEEEPS7_SP_SP_NSC_11hip_rocprim7__merge17predicate_wrapperIiiNSC_4lessIiEEEEEE10hipError_tPvRmT0_T1_T2_T3_T4_T5_mmT6_P12ihipStream_tbEUlT_E_NS1_11comp_targetILNS1_3genE3ELNS1_11target_archE908ELNS1_3gpuE7ELNS1_3repE0EEENS1_30default_config_static_selectorELNS0_4arch9wavefront6targetE0EEEvS10_, .Lfunc_end246-_ZN7rocprim17ROCPRIM_400000_NS6detail17trampoline_kernelINS0_14default_configENS1_21merge_config_selectorINS0_5tupleIJiiEEENS0_10empty_typeEEEZNS1_10merge_implIS3_NS0_12zip_iteratorINS5_IJN6thrust23THRUST_200600_302600_NS6detail15normal_iteratorINSC_10device_ptrIKiEEEESI_EEEEESK_NSA_INS5_IJNSE_INSF_IiEEEESM_EEEEEPS7_SP_SP_NSC_11hip_rocprim7__merge17predicate_wrapperIiiNSC_4lessIiEEEEEE10hipError_tPvRmT0_T1_T2_T3_T4_T5_mmT6_P12ihipStream_tbEUlT_E_NS1_11comp_targetILNS1_3genE3ELNS1_11target_archE908ELNS1_3gpuE7ELNS1_3repE0EEENS1_30default_config_static_selectorELNS0_4arch9wavefront6targetE0EEEvS10_
                                        ; -- End function
	.set _ZN7rocprim17ROCPRIM_400000_NS6detail17trampoline_kernelINS0_14default_configENS1_21merge_config_selectorINS0_5tupleIJiiEEENS0_10empty_typeEEEZNS1_10merge_implIS3_NS0_12zip_iteratorINS5_IJN6thrust23THRUST_200600_302600_NS6detail15normal_iteratorINSC_10device_ptrIKiEEEESI_EEEEESK_NSA_INS5_IJNSE_INSF_IiEEEESM_EEEEEPS7_SP_SP_NSC_11hip_rocprim7__merge17predicate_wrapperIiiNSC_4lessIiEEEEEE10hipError_tPvRmT0_T1_T2_T3_T4_T5_mmT6_P12ihipStream_tbEUlT_E_NS1_11comp_targetILNS1_3genE3ELNS1_11target_archE908ELNS1_3gpuE7ELNS1_3repE0EEENS1_30default_config_static_selectorELNS0_4arch9wavefront6targetE0EEEvS10_.num_vgpr, 0
	.set _ZN7rocprim17ROCPRIM_400000_NS6detail17trampoline_kernelINS0_14default_configENS1_21merge_config_selectorINS0_5tupleIJiiEEENS0_10empty_typeEEEZNS1_10merge_implIS3_NS0_12zip_iteratorINS5_IJN6thrust23THRUST_200600_302600_NS6detail15normal_iteratorINSC_10device_ptrIKiEEEESI_EEEEESK_NSA_INS5_IJNSE_INSF_IiEEEESM_EEEEEPS7_SP_SP_NSC_11hip_rocprim7__merge17predicate_wrapperIiiNSC_4lessIiEEEEEE10hipError_tPvRmT0_T1_T2_T3_T4_T5_mmT6_P12ihipStream_tbEUlT_E_NS1_11comp_targetILNS1_3genE3ELNS1_11target_archE908ELNS1_3gpuE7ELNS1_3repE0EEENS1_30default_config_static_selectorELNS0_4arch9wavefront6targetE0EEEvS10_.num_agpr, 0
	.set _ZN7rocprim17ROCPRIM_400000_NS6detail17trampoline_kernelINS0_14default_configENS1_21merge_config_selectorINS0_5tupleIJiiEEENS0_10empty_typeEEEZNS1_10merge_implIS3_NS0_12zip_iteratorINS5_IJN6thrust23THRUST_200600_302600_NS6detail15normal_iteratorINSC_10device_ptrIKiEEEESI_EEEEESK_NSA_INS5_IJNSE_INSF_IiEEEESM_EEEEEPS7_SP_SP_NSC_11hip_rocprim7__merge17predicate_wrapperIiiNSC_4lessIiEEEEEE10hipError_tPvRmT0_T1_T2_T3_T4_T5_mmT6_P12ihipStream_tbEUlT_E_NS1_11comp_targetILNS1_3genE3ELNS1_11target_archE908ELNS1_3gpuE7ELNS1_3repE0EEENS1_30default_config_static_selectorELNS0_4arch9wavefront6targetE0EEEvS10_.numbered_sgpr, 0
	.set _ZN7rocprim17ROCPRIM_400000_NS6detail17trampoline_kernelINS0_14default_configENS1_21merge_config_selectorINS0_5tupleIJiiEEENS0_10empty_typeEEEZNS1_10merge_implIS3_NS0_12zip_iteratorINS5_IJN6thrust23THRUST_200600_302600_NS6detail15normal_iteratorINSC_10device_ptrIKiEEEESI_EEEEESK_NSA_INS5_IJNSE_INSF_IiEEEESM_EEEEEPS7_SP_SP_NSC_11hip_rocprim7__merge17predicate_wrapperIiiNSC_4lessIiEEEEEE10hipError_tPvRmT0_T1_T2_T3_T4_T5_mmT6_P12ihipStream_tbEUlT_E_NS1_11comp_targetILNS1_3genE3ELNS1_11target_archE908ELNS1_3gpuE7ELNS1_3repE0EEENS1_30default_config_static_selectorELNS0_4arch9wavefront6targetE0EEEvS10_.num_named_barrier, 0
	.set _ZN7rocprim17ROCPRIM_400000_NS6detail17trampoline_kernelINS0_14default_configENS1_21merge_config_selectorINS0_5tupleIJiiEEENS0_10empty_typeEEEZNS1_10merge_implIS3_NS0_12zip_iteratorINS5_IJN6thrust23THRUST_200600_302600_NS6detail15normal_iteratorINSC_10device_ptrIKiEEEESI_EEEEESK_NSA_INS5_IJNSE_INSF_IiEEEESM_EEEEEPS7_SP_SP_NSC_11hip_rocprim7__merge17predicate_wrapperIiiNSC_4lessIiEEEEEE10hipError_tPvRmT0_T1_T2_T3_T4_T5_mmT6_P12ihipStream_tbEUlT_E_NS1_11comp_targetILNS1_3genE3ELNS1_11target_archE908ELNS1_3gpuE7ELNS1_3repE0EEENS1_30default_config_static_selectorELNS0_4arch9wavefront6targetE0EEEvS10_.private_seg_size, 0
	.set _ZN7rocprim17ROCPRIM_400000_NS6detail17trampoline_kernelINS0_14default_configENS1_21merge_config_selectorINS0_5tupleIJiiEEENS0_10empty_typeEEEZNS1_10merge_implIS3_NS0_12zip_iteratorINS5_IJN6thrust23THRUST_200600_302600_NS6detail15normal_iteratorINSC_10device_ptrIKiEEEESI_EEEEESK_NSA_INS5_IJNSE_INSF_IiEEEESM_EEEEEPS7_SP_SP_NSC_11hip_rocprim7__merge17predicate_wrapperIiiNSC_4lessIiEEEEEE10hipError_tPvRmT0_T1_T2_T3_T4_T5_mmT6_P12ihipStream_tbEUlT_E_NS1_11comp_targetILNS1_3genE3ELNS1_11target_archE908ELNS1_3gpuE7ELNS1_3repE0EEENS1_30default_config_static_selectorELNS0_4arch9wavefront6targetE0EEEvS10_.uses_vcc, 0
	.set _ZN7rocprim17ROCPRIM_400000_NS6detail17trampoline_kernelINS0_14default_configENS1_21merge_config_selectorINS0_5tupleIJiiEEENS0_10empty_typeEEEZNS1_10merge_implIS3_NS0_12zip_iteratorINS5_IJN6thrust23THRUST_200600_302600_NS6detail15normal_iteratorINSC_10device_ptrIKiEEEESI_EEEEESK_NSA_INS5_IJNSE_INSF_IiEEEESM_EEEEEPS7_SP_SP_NSC_11hip_rocprim7__merge17predicate_wrapperIiiNSC_4lessIiEEEEEE10hipError_tPvRmT0_T1_T2_T3_T4_T5_mmT6_P12ihipStream_tbEUlT_E_NS1_11comp_targetILNS1_3genE3ELNS1_11target_archE908ELNS1_3gpuE7ELNS1_3repE0EEENS1_30default_config_static_selectorELNS0_4arch9wavefront6targetE0EEEvS10_.uses_flat_scratch, 0
	.set _ZN7rocprim17ROCPRIM_400000_NS6detail17trampoline_kernelINS0_14default_configENS1_21merge_config_selectorINS0_5tupleIJiiEEENS0_10empty_typeEEEZNS1_10merge_implIS3_NS0_12zip_iteratorINS5_IJN6thrust23THRUST_200600_302600_NS6detail15normal_iteratorINSC_10device_ptrIKiEEEESI_EEEEESK_NSA_INS5_IJNSE_INSF_IiEEEESM_EEEEEPS7_SP_SP_NSC_11hip_rocprim7__merge17predicate_wrapperIiiNSC_4lessIiEEEEEE10hipError_tPvRmT0_T1_T2_T3_T4_T5_mmT6_P12ihipStream_tbEUlT_E_NS1_11comp_targetILNS1_3genE3ELNS1_11target_archE908ELNS1_3gpuE7ELNS1_3repE0EEENS1_30default_config_static_selectorELNS0_4arch9wavefront6targetE0EEEvS10_.has_dyn_sized_stack, 0
	.set _ZN7rocprim17ROCPRIM_400000_NS6detail17trampoline_kernelINS0_14default_configENS1_21merge_config_selectorINS0_5tupleIJiiEEENS0_10empty_typeEEEZNS1_10merge_implIS3_NS0_12zip_iteratorINS5_IJN6thrust23THRUST_200600_302600_NS6detail15normal_iteratorINSC_10device_ptrIKiEEEESI_EEEEESK_NSA_INS5_IJNSE_INSF_IiEEEESM_EEEEEPS7_SP_SP_NSC_11hip_rocprim7__merge17predicate_wrapperIiiNSC_4lessIiEEEEEE10hipError_tPvRmT0_T1_T2_T3_T4_T5_mmT6_P12ihipStream_tbEUlT_E_NS1_11comp_targetILNS1_3genE3ELNS1_11target_archE908ELNS1_3gpuE7ELNS1_3repE0EEENS1_30default_config_static_selectorELNS0_4arch9wavefront6targetE0EEEvS10_.has_recursion, 0
	.set _ZN7rocprim17ROCPRIM_400000_NS6detail17trampoline_kernelINS0_14default_configENS1_21merge_config_selectorINS0_5tupleIJiiEEENS0_10empty_typeEEEZNS1_10merge_implIS3_NS0_12zip_iteratorINS5_IJN6thrust23THRUST_200600_302600_NS6detail15normal_iteratorINSC_10device_ptrIKiEEEESI_EEEEESK_NSA_INS5_IJNSE_INSF_IiEEEESM_EEEEEPS7_SP_SP_NSC_11hip_rocprim7__merge17predicate_wrapperIiiNSC_4lessIiEEEEEE10hipError_tPvRmT0_T1_T2_T3_T4_T5_mmT6_P12ihipStream_tbEUlT_E_NS1_11comp_targetILNS1_3genE3ELNS1_11target_archE908ELNS1_3gpuE7ELNS1_3repE0EEENS1_30default_config_static_selectorELNS0_4arch9wavefront6targetE0EEEvS10_.has_indirect_call, 0
	.section	.AMDGPU.csdata,"",@progbits
; Kernel info:
; codeLenInByte = 0
; TotalNumSgprs: 0
; NumVgprs: 0
; ScratchSize: 0
; MemoryBound: 0
; FloatMode: 240
; IeeeMode: 1
; LDSByteSize: 0 bytes/workgroup (compile time only)
; SGPRBlocks: 0
; VGPRBlocks: 0
; NumSGPRsForWavesPerEU: 1
; NumVGPRsForWavesPerEU: 1
; NamedBarCnt: 0
; Occupancy: 16
; WaveLimiterHint : 0
; COMPUTE_PGM_RSRC2:SCRATCH_EN: 0
; COMPUTE_PGM_RSRC2:USER_SGPR: 2
; COMPUTE_PGM_RSRC2:TRAP_HANDLER: 0
; COMPUTE_PGM_RSRC2:TGID_X_EN: 1
; COMPUTE_PGM_RSRC2:TGID_Y_EN: 0
; COMPUTE_PGM_RSRC2:TGID_Z_EN: 0
; COMPUTE_PGM_RSRC2:TIDIG_COMP_CNT: 0
	.section	.text._ZN7rocprim17ROCPRIM_400000_NS6detail17trampoline_kernelINS0_14default_configENS1_21merge_config_selectorINS0_5tupleIJiiEEENS0_10empty_typeEEEZNS1_10merge_implIS3_NS0_12zip_iteratorINS5_IJN6thrust23THRUST_200600_302600_NS6detail15normal_iteratorINSC_10device_ptrIKiEEEESI_EEEEESK_NSA_INS5_IJNSE_INSF_IiEEEESM_EEEEEPS7_SP_SP_NSC_11hip_rocprim7__merge17predicate_wrapperIiiNSC_4lessIiEEEEEE10hipError_tPvRmT0_T1_T2_T3_T4_T5_mmT6_P12ihipStream_tbEUlT_E_NS1_11comp_targetILNS1_3genE2ELNS1_11target_archE906ELNS1_3gpuE6ELNS1_3repE0EEENS1_30default_config_static_selectorELNS0_4arch9wavefront6targetE0EEEvS10_,"axG",@progbits,_ZN7rocprim17ROCPRIM_400000_NS6detail17trampoline_kernelINS0_14default_configENS1_21merge_config_selectorINS0_5tupleIJiiEEENS0_10empty_typeEEEZNS1_10merge_implIS3_NS0_12zip_iteratorINS5_IJN6thrust23THRUST_200600_302600_NS6detail15normal_iteratorINSC_10device_ptrIKiEEEESI_EEEEESK_NSA_INS5_IJNSE_INSF_IiEEEESM_EEEEEPS7_SP_SP_NSC_11hip_rocprim7__merge17predicate_wrapperIiiNSC_4lessIiEEEEEE10hipError_tPvRmT0_T1_T2_T3_T4_T5_mmT6_P12ihipStream_tbEUlT_E_NS1_11comp_targetILNS1_3genE2ELNS1_11target_archE906ELNS1_3gpuE6ELNS1_3repE0EEENS1_30default_config_static_selectorELNS0_4arch9wavefront6targetE0EEEvS10_,comdat
	.protected	_ZN7rocprim17ROCPRIM_400000_NS6detail17trampoline_kernelINS0_14default_configENS1_21merge_config_selectorINS0_5tupleIJiiEEENS0_10empty_typeEEEZNS1_10merge_implIS3_NS0_12zip_iteratorINS5_IJN6thrust23THRUST_200600_302600_NS6detail15normal_iteratorINSC_10device_ptrIKiEEEESI_EEEEESK_NSA_INS5_IJNSE_INSF_IiEEEESM_EEEEEPS7_SP_SP_NSC_11hip_rocprim7__merge17predicate_wrapperIiiNSC_4lessIiEEEEEE10hipError_tPvRmT0_T1_T2_T3_T4_T5_mmT6_P12ihipStream_tbEUlT_E_NS1_11comp_targetILNS1_3genE2ELNS1_11target_archE906ELNS1_3gpuE6ELNS1_3repE0EEENS1_30default_config_static_selectorELNS0_4arch9wavefront6targetE0EEEvS10_ ; -- Begin function _ZN7rocprim17ROCPRIM_400000_NS6detail17trampoline_kernelINS0_14default_configENS1_21merge_config_selectorINS0_5tupleIJiiEEENS0_10empty_typeEEEZNS1_10merge_implIS3_NS0_12zip_iteratorINS5_IJN6thrust23THRUST_200600_302600_NS6detail15normal_iteratorINSC_10device_ptrIKiEEEESI_EEEEESK_NSA_INS5_IJNSE_INSF_IiEEEESM_EEEEEPS7_SP_SP_NSC_11hip_rocprim7__merge17predicate_wrapperIiiNSC_4lessIiEEEEEE10hipError_tPvRmT0_T1_T2_T3_T4_T5_mmT6_P12ihipStream_tbEUlT_E_NS1_11comp_targetILNS1_3genE2ELNS1_11target_archE906ELNS1_3gpuE6ELNS1_3repE0EEENS1_30default_config_static_selectorELNS0_4arch9wavefront6targetE0EEEvS10_
	.globl	_ZN7rocprim17ROCPRIM_400000_NS6detail17trampoline_kernelINS0_14default_configENS1_21merge_config_selectorINS0_5tupleIJiiEEENS0_10empty_typeEEEZNS1_10merge_implIS3_NS0_12zip_iteratorINS5_IJN6thrust23THRUST_200600_302600_NS6detail15normal_iteratorINSC_10device_ptrIKiEEEESI_EEEEESK_NSA_INS5_IJNSE_INSF_IiEEEESM_EEEEEPS7_SP_SP_NSC_11hip_rocprim7__merge17predicate_wrapperIiiNSC_4lessIiEEEEEE10hipError_tPvRmT0_T1_T2_T3_T4_T5_mmT6_P12ihipStream_tbEUlT_E_NS1_11comp_targetILNS1_3genE2ELNS1_11target_archE906ELNS1_3gpuE6ELNS1_3repE0EEENS1_30default_config_static_selectorELNS0_4arch9wavefront6targetE0EEEvS10_
	.p2align	8
	.type	_ZN7rocprim17ROCPRIM_400000_NS6detail17trampoline_kernelINS0_14default_configENS1_21merge_config_selectorINS0_5tupleIJiiEEENS0_10empty_typeEEEZNS1_10merge_implIS3_NS0_12zip_iteratorINS5_IJN6thrust23THRUST_200600_302600_NS6detail15normal_iteratorINSC_10device_ptrIKiEEEESI_EEEEESK_NSA_INS5_IJNSE_INSF_IiEEEESM_EEEEEPS7_SP_SP_NSC_11hip_rocprim7__merge17predicate_wrapperIiiNSC_4lessIiEEEEEE10hipError_tPvRmT0_T1_T2_T3_T4_T5_mmT6_P12ihipStream_tbEUlT_E_NS1_11comp_targetILNS1_3genE2ELNS1_11target_archE906ELNS1_3gpuE6ELNS1_3repE0EEENS1_30default_config_static_selectorELNS0_4arch9wavefront6targetE0EEEvS10_,@function
_ZN7rocprim17ROCPRIM_400000_NS6detail17trampoline_kernelINS0_14default_configENS1_21merge_config_selectorINS0_5tupleIJiiEEENS0_10empty_typeEEEZNS1_10merge_implIS3_NS0_12zip_iteratorINS5_IJN6thrust23THRUST_200600_302600_NS6detail15normal_iteratorINSC_10device_ptrIKiEEEESI_EEEEESK_NSA_INS5_IJNSE_INSF_IiEEEESM_EEEEEPS7_SP_SP_NSC_11hip_rocprim7__merge17predicate_wrapperIiiNSC_4lessIiEEEEEE10hipError_tPvRmT0_T1_T2_T3_T4_T5_mmT6_P12ihipStream_tbEUlT_E_NS1_11comp_targetILNS1_3genE2ELNS1_11target_archE906ELNS1_3gpuE6ELNS1_3repE0EEENS1_30default_config_static_selectorELNS0_4arch9wavefront6targetE0EEEvS10_: ; @_ZN7rocprim17ROCPRIM_400000_NS6detail17trampoline_kernelINS0_14default_configENS1_21merge_config_selectorINS0_5tupleIJiiEEENS0_10empty_typeEEEZNS1_10merge_implIS3_NS0_12zip_iteratorINS5_IJN6thrust23THRUST_200600_302600_NS6detail15normal_iteratorINSC_10device_ptrIKiEEEESI_EEEEESK_NSA_INS5_IJNSE_INSF_IiEEEESM_EEEEEPS7_SP_SP_NSC_11hip_rocprim7__merge17predicate_wrapperIiiNSC_4lessIiEEEEEE10hipError_tPvRmT0_T1_T2_T3_T4_T5_mmT6_P12ihipStream_tbEUlT_E_NS1_11comp_targetILNS1_3genE2ELNS1_11target_archE906ELNS1_3gpuE6ELNS1_3repE0EEENS1_30default_config_static_selectorELNS0_4arch9wavefront6targetE0EEEvS10_
; %bb.0:
	.section	.rodata,"a",@progbits
	.p2align	6, 0x0
	.amdhsa_kernel _ZN7rocprim17ROCPRIM_400000_NS6detail17trampoline_kernelINS0_14default_configENS1_21merge_config_selectorINS0_5tupleIJiiEEENS0_10empty_typeEEEZNS1_10merge_implIS3_NS0_12zip_iteratorINS5_IJN6thrust23THRUST_200600_302600_NS6detail15normal_iteratorINSC_10device_ptrIKiEEEESI_EEEEESK_NSA_INS5_IJNSE_INSF_IiEEEESM_EEEEEPS7_SP_SP_NSC_11hip_rocprim7__merge17predicate_wrapperIiiNSC_4lessIiEEEEEE10hipError_tPvRmT0_T1_T2_T3_T4_T5_mmT6_P12ihipStream_tbEUlT_E_NS1_11comp_targetILNS1_3genE2ELNS1_11target_archE906ELNS1_3gpuE6ELNS1_3repE0EEENS1_30default_config_static_selectorELNS0_4arch9wavefront6targetE0EEEvS10_
		.amdhsa_group_segment_fixed_size 0
		.amdhsa_private_segment_fixed_size 0
		.amdhsa_kernarg_size 64
		.amdhsa_user_sgpr_count 2
		.amdhsa_user_sgpr_dispatch_ptr 0
		.amdhsa_user_sgpr_queue_ptr 0
		.amdhsa_user_sgpr_kernarg_segment_ptr 1
		.amdhsa_user_sgpr_dispatch_id 0
		.amdhsa_user_sgpr_kernarg_preload_length 0
		.amdhsa_user_sgpr_kernarg_preload_offset 0
		.amdhsa_user_sgpr_private_segment_size 0
		.amdhsa_wavefront_size32 1
		.amdhsa_uses_dynamic_stack 0
		.amdhsa_enable_private_segment 0
		.amdhsa_system_sgpr_workgroup_id_x 1
		.amdhsa_system_sgpr_workgroup_id_y 0
		.amdhsa_system_sgpr_workgroup_id_z 0
		.amdhsa_system_sgpr_workgroup_info 0
		.amdhsa_system_vgpr_workitem_id 0
		.amdhsa_next_free_vgpr 1
		.amdhsa_next_free_sgpr 1
		.amdhsa_named_barrier_count 0
		.amdhsa_reserve_vcc 0
		.amdhsa_float_round_mode_32 0
		.amdhsa_float_round_mode_16_64 0
		.amdhsa_float_denorm_mode_32 3
		.amdhsa_float_denorm_mode_16_64 3
		.amdhsa_fp16_overflow 0
		.amdhsa_memory_ordered 1
		.amdhsa_forward_progress 1
		.amdhsa_inst_pref_size 0
		.amdhsa_round_robin_scheduling 0
		.amdhsa_exception_fp_ieee_invalid_op 0
		.amdhsa_exception_fp_denorm_src 0
		.amdhsa_exception_fp_ieee_div_zero 0
		.amdhsa_exception_fp_ieee_overflow 0
		.amdhsa_exception_fp_ieee_underflow 0
		.amdhsa_exception_fp_ieee_inexact 0
		.amdhsa_exception_int_div_zero 0
	.end_amdhsa_kernel
	.section	.text._ZN7rocprim17ROCPRIM_400000_NS6detail17trampoline_kernelINS0_14default_configENS1_21merge_config_selectorINS0_5tupleIJiiEEENS0_10empty_typeEEEZNS1_10merge_implIS3_NS0_12zip_iteratorINS5_IJN6thrust23THRUST_200600_302600_NS6detail15normal_iteratorINSC_10device_ptrIKiEEEESI_EEEEESK_NSA_INS5_IJNSE_INSF_IiEEEESM_EEEEEPS7_SP_SP_NSC_11hip_rocprim7__merge17predicate_wrapperIiiNSC_4lessIiEEEEEE10hipError_tPvRmT0_T1_T2_T3_T4_T5_mmT6_P12ihipStream_tbEUlT_E_NS1_11comp_targetILNS1_3genE2ELNS1_11target_archE906ELNS1_3gpuE6ELNS1_3repE0EEENS1_30default_config_static_selectorELNS0_4arch9wavefront6targetE0EEEvS10_,"axG",@progbits,_ZN7rocprim17ROCPRIM_400000_NS6detail17trampoline_kernelINS0_14default_configENS1_21merge_config_selectorINS0_5tupleIJiiEEENS0_10empty_typeEEEZNS1_10merge_implIS3_NS0_12zip_iteratorINS5_IJN6thrust23THRUST_200600_302600_NS6detail15normal_iteratorINSC_10device_ptrIKiEEEESI_EEEEESK_NSA_INS5_IJNSE_INSF_IiEEEESM_EEEEEPS7_SP_SP_NSC_11hip_rocprim7__merge17predicate_wrapperIiiNSC_4lessIiEEEEEE10hipError_tPvRmT0_T1_T2_T3_T4_T5_mmT6_P12ihipStream_tbEUlT_E_NS1_11comp_targetILNS1_3genE2ELNS1_11target_archE906ELNS1_3gpuE6ELNS1_3repE0EEENS1_30default_config_static_selectorELNS0_4arch9wavefront6targetE0EEEvS10_,comdat
.Lfunc_end247:
	.size	_ZN7rocprim17ROCPRIM_400000_NS6detail17trampoline_kernelINS0_14default_configENS1_21merge_config_selectorINS0_5tupleIJiiEEENS0_10empty_typeEEEZNS1_10merge_implIS3_NS0_12zip_iteratorINS5_IJN6thrust23THRUST_200600_302600_NS6detail15normal_iteratorINSC_10device_ptrIKiEEEESI_EEEEESK_NSA_INS5_IJNSE_INSF_IiEEEESM_EEEEEPS7_SP_SP_NSC_11hip_rocprim7__merge17predicate_wrapperIiiNSC_4lessIiEEEEEE10hipError_tPvRmT0_T1_T2_T3_T4_T5_mmT6_P12ihipStream_tbEUlT_E_NS1_11comp_targetILNS1_3genE2ELNS1_11target_archE906ELNS1_3gpuE6ELNS1_3repE0EEENS1_30default_config_static_selectorELNS0_4arch9wavefront6targetE0EEEvS10_, .Lfunc_end247-_ZN7rocprim17ROCPRIM_400000_NS6detail17trampoline_kernelINS0_14default_configENS1_21merge_config_selectorINS0_5tupleIJiiEEENS0_10empty_typeEEEZNS1_10merge_implIS3_NS0_12zip_iteratorINS5_IJN6thrust23THRUST_200600_302600_NS6detail15normal_iteratorINSC_10device_ptrIKiEEEESI_EEEEESK_NSA_INS5_IJNSE_INSF_IiEEEESM_EEEEEPS7_SP_SP_NSC_11hip_rocprim7__merge17predicate_wrapperIiiNSC_4lessIiEEEEEE10hipError_tPvRmT0_T1_T2_T3_T4_T5_mmT6_P12ihipStream_tbEUlT_E_NS1_11comp_targetILNS1_3genE2ELNS1_11target_archE906ELNS1_3gpuE6ELNS1_3repE0EEENS1_30default_config_static_selectorELNS0_4arch9wavefront6targetE0EEEvS10_
                                        ; -- End function
	.set _ZN7rocprim17ROCPRIM_400000_NS6detail17trampoline_kernelINS0_14default_configENS1_21merge_config_selectorINS0_5tupleIJiiEEENS0_10empty_typeEEEZNS1_10merge_implIS3_NS0_12zip_iteratorINS5_IJN6thrust23THRUST_200600_302600_NS6detail15normal_iteratorINSC_10device_ptrIKiEEEESI_EEEEESK_NSA_INS5_IJNSE_INSF_IiEEEESM_EEEEEPS7_SP_SP_NSC_11hip_rocprim7__merge17predicate_wrapperIiiNSC_4lessIiEEEEEE10hipError_tPvRmT0_T1_T2_T3_T4_T5_mmT6_P12ihipStream_tbEUlT_E_NS1_11comp_targetILNS1_3genE2ELNS1_11target_archE906ELNS1_3gpuE6ELNS1_3repE0EEENS1_30default_config_static_selectorELNS0_4arch9wavefront6targetE0EEEvS10_.num_vgpr, 0
	.set _ZN7rocprim17ROCPRIM_400000_NS6detail17trampoline_kernelINS0_14default_configENS1_21merge_config_selectorINS0_5tupleIJiiEEENS0_10empty_typeEEEZNS1_10merge_implIS3_NS0_12zip_iteratorINS5_IJN6thrust23THRUST_200600_302600_NS6detail15normal_iteratorINSC_10device_ptrIKiEEEESI_EEEEESK_NSA_INS5_IJNSE_INSF_IiEEEESM_EEEEEPS7_SP_SP_NSC_11hip_rocprim7__merge17predicate_wrapperIiiNSC_4lessIiEEEEEE10hipError_tPvRmT0_T1_T2_T3_T4_T5_mmT6_P12ihipStream_tbEUlT_E_NS1_11comp_targetILNS1_3genE2ELNS1_11target_archE906ELNS1_3gpuE6ELNS1_3repE0EEENS1_30default_config_static_selectorELNS0_4arch9wavefront6targetE0EEEvS10_.num_agpr, 0
	.set _ZN7rocprim17ROCPRIM_400000_NS6detail17trampoline_kernelINS0_14default_configENS1_21merge_config_selectorINS0_5tupleIJiiEEENS0_10empty_typeEEEZNS1_10merge_implIS3_NS0_12zip_iteratorINS5_IJN6thrust23THRUST_200600_302600_NS6detail15normal_iteratorINSC_10device_ptrIKiEEEESI_EEEEESK_NSA_INS5_IJNSE_INSF_IiEEEESM_EEEEEPS7_SP_SP_NSC_11hip_rocprim7__merge17predicate_wrapperIiiNSC_4lessIiEEEEEE10hipError_tPvRmT0_T1_T2_T3_T4_T5_mmT6_P12ihipStream_tbEUlT_E_NS1_11comp_targetILNS1_3genE2ELNS1_11target_archE906ELNS1_3gpuE6ELNS1_3repE0EEENS1_30default_config_static_selectorELNS0_4arch9wavefront6targetE0EEEvS10_.numbered_sgpr, 0
	.set _ZN7rocprim17ROCPRIM_400000_NS6detail17trampoline_kernelINS0_14default_configENS1_21merge_config_selectorINS0_5tupleIJiiEEENS0_10empty_typeEEEZNS1_10merge_implIS3_NS0_12zip_iteratorINS5_IJN6thrust23THRUST_200600_302600_NS6detail15normal_iteratorINSC_10device_ptrIKiEEEESI_EEEEESK_NSA_INS5_IJNSE_INSF_IiEEEESM_EEEEEPS7_SP_SP_NSC_11hip_rocprim7__merge17predicate_wrapperIiiNSC_4lessIiEEEEEE10hipError_tPvRmT0_T1_T2_T3_T4_T5_mmT6_P12ihipStream_tbEUlT_E_NS1_11comp_targetILNS1_3genE2ELNS1_11target_archE906ELNS1_3gpuE6ELNS1_3repE0EEENS1_30default_config_static_selectorELNS0_4arch9wavefront6targetE0EEEvS10_.num_named_barrier, 0
	.set _ZN7rocprim17ROCPRIM_400000_NS6detail17trampoline_kernelINS0_14default_configENS1_21merge_config_selectorINS0_5tupleIJiiEEENS0_10empty_typeEEEZNS1_10merge_implIS3_NS0_12zip_iteratorINS5_IJN6thrust23THRUST_200600_302600_NS6detail15normal_iteratorINSC_10device_ptrIKiEEEESI_EEEEESK_NSA_INS5_IJNSE_INSF_IiEEEESM_EEEEEPS7_SP_SP_NSC_11hip_rocprim7__merge17predicate_wrapperIiiNSC_4lessIiEEEEEE10hipError_tPvRmT0_T1_T2_T3_T4_T5_mmT6_P12ihipStream_tbEUlT_E_NS1_11comp_targetILNS1_3genE2ELNS1_11target_archE906ELNS1_3gpuE6ELNS1_3repE0EEENS1_30default_config_static_selectorELNS0_4arch9wavefront6targetE0EEEvS10_.private_seg_size, 0
	.set _ZN7rocprim17ROCPRIM_400000_NS6detail17trampoline_kernelINS0_14default_configENS1_21merge_config_selectorINS0_5tupleIJiiEEENS0_10empty_typeEEEZNS1_10merge_implIS3_NS0_12zip_iteratorINS5_IJN6thrust23THRUST_200600_302600_NS6detail15normal_iteratorINSC_10device_ptrIKiEEEESI_EEEEESK_NSA_INS5_IJNSE_INSF_IiEEEESM_EEEEEPS7_SP_SP_NSC_11hip_rocprim7__merge17predicate_wrapperIiiNSC_4lessIiEEEEEE10hipError_tPvRmT0_T1_T2_T3_T4_T5_mmT6_P12ihipStream_tbEUlT_E_NS1_11comp_targetILNS1_3genE2ELNS1_11target_archE906ELNS1_3gpuE6ELNS1_3repE0EEENS1_30default_config_static_selectorELNS0_4arch9wavefront6targetE0EEEvS10_.uses_vcc, 0
	.set _ZN7rocprim17ROCPRIM_400000_NS6detail17trampoline_kernelINS0_14default_configENS1_21merge_config_selectorINS0_5tupleIJiiEEENS0_10empty_typeEEEZNS1_10merge_implIS3_NS0_12zip_iteratorINS5_IJN6thrust23THRUST_200600_302600_NS6detail15normal_iteratorINSC_10device_ptrIKiEEEESI_EEEEESK_NSA_INS5_IJNSE_INSF_IiEEEESM_EEEEEPS7_SP_SP_NSC_11hip_rocprim7__merge17predicate_wrapperIiiNSC_4lessIiEEEEEE10hipError_tPvRmT0_T1_T2_T3_T4_T5_mmT6_P12ihipStream_tbEUlT_E_NS1_11comp_targetILNS1_3genE2ELNS1_11target_archE906ELNS1_3gpuE6ELNS1_3repE0EEENS1_30default_config_static_selectorELNS0_4arch9wavefront6targetE0EEEvS10_.uses_flat_scratch, 0
	.set _ZN7rocprim17ROCPRIM_400000_NS6detail17trampoline_kernelINS0_14default_configENS1_21merge_config_selectorINS0_5tupleIJiiEEENS0_10empty_typeEEEZNS1_10merge_implIS3_NS0_12zip_iteratorINS5_IJN6thrust23THRUST_200600_302600_NS6detail15normal_iteratorINSC_10device_ptrIKiEEEESI_EEEEESK_NSA_INS5_IJNSE_INSF_IiEEEESM_EEEEEPS7_SP_SP_NSC_11hip_rocprim7__merge17predicate_wrapperIiiNSC_4lessIiEEEEEE10hipError_tPvRmT0_T1_T2_T3_T4_T5_mmT6_P12ihipStream_tbEUlT_E_NS1_11comp_targetILNS1_3genE2ELNS1_11target_archE906ELNS1_3gpuE6ELNS1_3repE0EEENS1_30default_config_static_selectorELNS0_4arch9wavefront6targetE0EEEvS10_.has_dyn_sized_stack, 0
	.set _ZN7rocprim17ROCPRIM_400000_NS6detail17trampoline_kernelINS0_14default_configENS1_21merge_config_selectorINS0_5tupleIJiiEEENS0_10empty_typeEEEZNS1_10merge_implIS3_NS0_12zip_iteratorINS5_IJN6thrust23THRUST_200600_302600_NS6detail15normal_iteratorINSC_10device_ptrIKiEEEESI_EEEEESK_NSA_INS5_IJNSE_INSF_IiEEEESM_EEEEEPS7_SP_SP_NSC_11hip_rocprim7__merge17predicate_wrapperIiiNSC_4lessIiEEEEEE10hipError_tPvRmT0_T1_T2_T3_T4_T5_mmT6_P12ihipStream_tbEUlT_E_NS1_11comp_targetILNS1_3genE2ELNS1_11target_archE906ELNS1_3gpuE6ELNS1_3repE0EEENS1_30default_config_static_selectorELNS0_4arch9wavefront6targetE0EEEvS10_.has_recursion, 0
	.set _ZN7rocprim17ROCPRIM_400000_NS6detail17trampoline_kernelINS0_14default_configENS1_21merge_config_selectorINS0_5tupleIJiiEEENS0_10empty_typeEEEZNS1_10merge_implIS3_NS0_12zip_iteratorINS5_IJN6thrust23THRUST_200600_302600_NS6detail15normal_iteratorINSC_10device_ptrIKiEEEESI_EEEEESK_NSA_INS5_IJNSE_INSF_IiEEEESM_EEEEEPS7_SP_SP_NSC_11hip_rocprim7__merge17predicate_wrapperIiiNSC_4lessIiEEEEEE10hipError_tPvRmT0_T1_T2_T3_T4_T5_mmT6_P12ihipStream_tbEUlT_E_NS1_11comp_targetILNS1_3genE2ELNS1_11target_archE906ELNS1_3gpuE6ELNS1_3repE0EEENS1_30default_config_static_selectorELNS0_4arch9wavefront6targetE0EEEvS10_.has_indirect_call, 0
	.section	.AMDGPU.csdata,"",@progbits
; Kernel info:
; codeLenInByte = 0
; TotalNumSgprs: 0
; NumVgprs: 0
; ScratchSize: 0
; MemoryBound: 0
; FloatMode: 240
; IeeeMode: 1
; LDSByteSize: 0 bytes/workgroup (compile time only)
; SGPRBlocks: 0
; VGPRBlocks: 0
; NumSGPRsForWavesPerEU: 1
; NumVGPRsForWavesPerEU: 1
; NamedBarCnt: 0
; Occupancy: 16
; WaveLimiterHint : 0
; COMPUTE_PGM_RSRC2:SCRATCH_EN: 0
; COMPUTE_PGM_RSRC2:USER_SGPR: 2
; COMPUTE_PGM_RSRC2:TRAP_HANDLER: 0
; COMPUTE_PGM_RSRC2:TGID_X_EN: 1
; COMPUTE_PGM_RSRC2:TGID_Y_EN: 0
; COMPUTE_PGM_RSRC2:TGID_Z_EN: 0
; COMPUTE_PGM_RSRC2:TIDIG_COMP_CNT: 0
	.section	.text._ZN7rocprim17ROCPRIM_400000_NS6detail17trampoline_kernelINS0_14default_configENS1_21merge_config_selectorINS0_5tupleIJiiEEENS0_10empty_typeEEEZNS1_10merge_implIS3_NS0_12zip_iteratorINS5_IJN6thrust23THRUST_200600_302600_NS6detail15normal_iteratorINSC_10device_ptrIKiEEEESI_EEEEESK_NSA_INS5_IJNSE_INSF_IiEEEESM_EEEEEPS7_SP_SP_NSC_11hip_rocprim7__merge17predicate_wrapperIiiNSC_4lessIiEEEEEE10hipError_tPvRmT0_T1_T2_T3_T4_T5_mmT6_P12ihipStream_tbEUlT_E_NS1_11comp_targetILNS1_3genE10ELNS1_11target_archE1201ELNS1_3gpuE5ELNS1_3repE0EEENS1_30default_config_static_selectorELNS0_4arch9wavefront6targetE0EEEvS10_,"axG",@progbits,_ZN7rocprim17ROCPRIM_400000_NS6detail17trampoline_kernelINS0_14default_configENS1_21merge_config_selectorINS0_5tupleIJiiEEENS0_10empty_typeEEEZNS1_10merge_implIS3_NS0_12zip_iteratorINS5_IJN6thrust23THRUST_200600_302600_NS6detail15normal_iteratorINSC_10device_ptrIKiEEEESI_EEEEESK_NSA_INS5_IJNSE_INSF_IiEEEESM_EEEEEPS7_SP_SP_NSC_11hip_rocprim7__merge17predicate_wrapperIiiNSC_4lessIiEEEEEE10hipError_tPvRmT0_T1_T2_T3_T4_T5_mmT6_P12ihipStream_tbEUlT_E_NS1_11comp_targetILNS1_3genE10ELNS1_11target_archE1201ELNS1_3gpuE5ELNS1_3repE0EEENS1_30default_config_static_selectorELNS0_4arch9wavefront6targetE0EEEvS10_,comdat
	.protected	_ZN7rocprim17ROCPRIM_400000_NS6detail17trampoline_kernelINS0_14default_configENS1_21merge_config_selectorINS0_5tupleIJiiEEENS0_10empty_typeEEEZNS1_10merge_implIS3_NS0_12zip_iteratorINS5_IJN6thrust23THRUST_200600_302600_NS6detail15normal_iteratorINSC_10device_ptrIKiEEEESI_EEEEESK_NSA_INS5_IJNSE_INSF_IiEEEESM_EEEEEPS7_SP_SP_NSC_11hip_rocprim7__merge17predicate_wrapperIiiNSC_4lessIiEEEEEE10hipError_tPvRmT0_T1_T2_T3_T4_T5_mmT6_P12ihipStream_tbEUlT_E_NS1_11comp_targetILNS1_3genE10ELNS1_11target_archE1201ELNS1_3gpuE5ELNS1_3repE0EEENS1_30default_config_static_selectorELNS0_4arch9wavefront6targetE0EEEvS10_ ; -- Begin function _ZN7rocprim17ROCPRIM_400000_NS6detail17trampoline_kernelINS0_14default_configENS1_21merge_config_selectorINS0_5tupleIJiiEEENS0_10empty_typeEEEZNS1_10merge_implIS3_NS0_12zip_iteratorINS5_IJN6thrust23THRUST_200600_302600_NS6detail15normal_iteratorINSC_10device_ptrIKiEEEESI_EEEEESK_NSA_INS5_IJNSE_INSF_IiEEEESM_EEEEEPS7_SP_SP_NSC_11hip_rocprim7__merge17predicate_wrapperIiiNSC_4lessIiEEEEEE10hipError_tPvRmT0_T1_T2_T3_T4_T5_mmT6_P12ihipStream_tbEUlT_E_NS1_11comp_targetILNS1_3genE10ELNS1_11target_archE1201ELNS1_3gpuE5ELNS1_3repE0EEENS1_30default_config_static_selectorELNS0_4arch9wavefront6targetE0EEEvS10_
	.globl	_ZN7rocprim17ROCPRIM_400000_NS6detail17trampoline_kernelINS0_14default_configENS1_21merge_config_selectorINS0_5tupleIJiiEEENS0_10empty_typeEEEZNS1_10merge_implIS3_NS0_12zip_iteratorINS5_IJN6thrust23THRUST_200600_302600_NS6detail15normal_iteratorINSC_10device_ptrIKiEEEESI_EEEEESK_NSA_INS5_IJNSE_INSF_IiEEEESM_EEEEEPS7_SP_SP_NSC_11hip_rocprim7__merge17predicate_wrapperIiiNSC_4lessIiEEEEEE10hipError_tPvRmT0_T1_T2_T3_T4_T5_mmT6_P12ihipStream_tbEUlT_E_NS1_11comp_targetILNS1_3genE10ELNS1_11target_archE1201ELNS1_3gpuE5ELNS1_3repE0EEENS1_30default_config_static_selectorELNS0_4arch9wavefront6targetE0EEEvS10_
	.p2align	8
	.type	_ZN7rocprim17ROCPRIM_400000_NS6detail17trampoline_kernelINS0_14default_configENS1_21merge_config_selectorINS0_5tupleIJiiEEENS0_10empty_typeEEEZNS1_10merge_implIS3_NS0_12zip_iteratorINS5_IJN6thrust23THRUST_200600_302600_NS6detail15normal_iteratorINSC_10device_ptrIKiEEEESI_EEEEESK_NSA_INS5_IJNSE_INSF_IiEEEESM_EEEEEPS7_SP_SP_NSC_11hip_rocprim7__merge17predicate_wrapperIiiNSC_4lessIiEEEEEE10hipError_tPvRmT0_T1_T2_T3_T4_T5_mmT6_P12ihipStream_tbEUlT_E_NS1_11comp_targetILNS1_3genE10ELNS1_11target_archE1201ELNS1_3gpuE5ELNS1_3repE0EEENS1_30default_config_static_selectorELNS0_4arch9wavefront6targetE0EEEvS10_,@function
_ZN7rocprim17ROCPRIM_400000_NS6detail17trampoline_kernelINS0_14default_configENS1_21merge_config_selectorINS0_5tupleIJiiEEENS0_10empty_typeEEEZNS1_10merge_implIS3_NS0_12zip_iteratorINS5_IJN6thrust23THRUST_200600_302600_NS6detail15normal_iteratorINSC_10device_ptrIKiEEEESI_EEEEESK_NSA_INS5_IJNSE_INSF_IiEEEESM_EEEEEPS7_SP_SP_NSC_11hip_rocprim7__merge17predicate_wrapperIiiNSC_4lessIiEEEEEE10hipError_tPvRmT0_T1_T2_T3_T4_T5_mmT6_P12ihipStream_tbEUlT_E_NS1_11comp_targetILNS1_3genE10ELNS1_11target_archE1201ELNS1_3gpuE5ELNS1_3repE0EEENS1_30default_config_static_selectorELNS0_4arch9wavefront6targetE0EEEvS10_: ; @_ZN7rocprim17ROCPRIM_400000_NS6detail17trampoline_kernelINS0_14default_configENS1_21merge_config_selectorINS0_5tupleIJiiEEENS0_10empty_typeEEEZNS1_10merge_implIS3_NS0_12zip_iteratorINS5_IJN6thrust23THRUST_200600_302600_NS6detail15normal_iteratorINSC_10device_ptrIKiEEEESI_EEEEESK_NSA_INS5_IJNSE_INSF_IiEEEESM_EEEEEPS7_SP_SP_NSC_11hip_rocprim7__merge17predicate_wrapperIiiNSC_4lessIiEEEEEE10hipError_tPvRmT0_T1_T2_T3_T4_T5_mmT6_P12ihipStream_tbEUlT_E_NS1_11comp_targetILNS1_3genE10ELNS1_11target_archE1201ELNS1_3gpuE5ELNS1_3repE0EEENS1_30default_config_static_selectorELNS0_4arch9wavefront6targetE0EEEvS10_
; %bb.0:
	.section	.rodata,"a",@progbits
	.p2align	6, 0x0
	.amdhsa_kernel _ZN7rocprim17ROCPRIM_400000_NS6detail17trampoline_kernelINS0_14default_configENS1_21merge_config_selectorINS0_5tupleIJiiEEENS0_10empty_typeEEEZNS1_10merge_implIS3_NS0_12zip_iteratorINS5_IJN6thrust23THRUST_200600_302600_NS6detail15normal_iteratorINSC_10device_ptrIKiEEEESI_EEEEESK_NSA_INS5_IJNSE_INSF_IiEEEESM_EEEEEPS7_SP_SP_NSC_11hip_rocprim7__merge17predicate_wrapperIiiNSC_4lessIiEEEEEE10hipError_tPvRmT0_T1_T2_T3_T4_T5_mmT6_P12ihipStream_tbEUlT_E_NS1_11comp_targetILNS1_3genE10ELNS1_11target_archE1201ELNS1_3gpuE5ELNS1_3repE0EEENS1_30default_config_static_selectorELNS0_4arch9wavefront6targetE0EEEvS10_
		.amdhsa_group_segment_fixed_size 0
		.amdhsa_private_segment_fixed_size 0
		.amdhsa_kernarg_size 64
		.amdhsa_user_sgpr_count 2
		.amdhsa_user_sgpr_dispatch_ptr 0
		.amdhsa_user_sgpr_queue_ptr 0
		.amdhsa_user_sgpr_kernarg_segment_ptr 1
		.amdhsa_user_sgpr_dispatch_id 0
		.amdhsa_user_sgpr_kernarg_preload_length 0
		.amdhsa_user_sgpr_kernarg_preload_offset 0
		.amdhsa_user_sgpr_private_segment_size 0
		.amdhsa_wavefront_size32 1
		.amdhsa_uses_dynamic_stack 0
		.amdhsa_enable_private_segment 0
		.amdhsa_system_sgpr_workgroup_id_x 1
		.amdhsa_system_sgpr_workgroup_id_y 0
		.amdhsa_system_sgpr_workgroup_id_z 0
		.amdhsa_system_sgpr_workgroup_info 0
		.amdhsa_system_vgpr_workitem_id 0
		.amdhsa_next_free_vgpr 1
		.amdhsa_next_free_sgpr 1
		.amdhsa_named_barrier_count 0
		.amdhsa_reserve_vcc 0
		.amdhsa_float_round_mode_32 0
		.amdhsa_float_round_mode_16_64 0
		.amdhsa_float_denorm_mode_32 3
		.amdhsa_float_denorm_mode_16_64 3
		.amdhsa_fp16_overflow 0
		.amdhsa_memory_ordered 1
		.amdhsa_forward_progress 1
		.amdhsa_inst_pref_size 0
		.amdhsa_round_robin_scheduling 0
		.amdhsa_exception_fp_ieee_invalid_op 0
		.amdhsa_exception_fp_denorm_src 0
		.amdhsa_exception_fp_ieee_div_zero 0
		.amdhsa_exception_fp_ieee_overflow 0
		.amdhsa_exception_fp_ieee_underflow 0
		.amdhsa_exception_fp_ieee_inexact 0
		.amdhsa_exception_int_div_zero 0
	.end_amdhsa_kernel
	.section	.text._ZN7rocprim17ROCPRIM_400000_NS6detail17trampoline_kernelINS0_14default_configENS1_21merge_config_selectorINS0_5tupleIJiiEEENS0_10empty_typeEEEZNS1_10merge_implIS3_NS0_12zip_iteratorINS5_IJN6thrust23THRUST_200600_302600_NS6detail15normal_iteratorINSC_10device_ptrIKiEEEESI_EEEEESK_NSA_INS5_IJNSE_INSF_IiEEEESM_EEEEEPS7_SP_SP_NSC_11hip_rocprim7__merge17predicate_wrapperIiiNSC_4lessIiEEEEEE10hipError_tPvRmT0_T1_T2_T3_T4_T5_mmT6_P12ihipStream_tbEUlT_E_NS1_11comp_targetILNS1_3genE10ELNS1_11target_archE1201ELNS1_3gpuE5ELNS1_3repE0EEENS1_30default_config_static_selectorELNS0_4arch9wavefront6targetE0EEEvS10_,"axG",@progbits,_ZN7rocprim17ROCPRIM_400000_NS6detail17trampoline_kernelINS0_14default_configENS1_21merge_config_selectorINS0_5tupleIJiiEEENS0_10empty_typeEEEZNS1_10merge_implIS3_NS0_12zip_iteratorINS5_IJN6thrust23THRUST_200600_302600_NS6detail15normal_iteratorINSC_10device_ptrIKiEEEESI_EEEEESK_NSA_INS5_IJNSE_INSF_IiEEEESM_EEEEEPS7_SP_SP_NSC_11hip_rocprim7__merge17predicate_wrapperIiiNSC_4lessIiEEEEEE10hipError_tPvRmT0_T1_T2_T3_T4_T5_mmT6_P12ihipStream_tbEUlT_E_NS1_11comp_targetILNS1_3genE10ELNS1_11target_archE1201ELNS1_3gpuE5ELNS1_3repE0EEENS1_30default_config_static_selectorELNS0_4arch9wavefront6targetE0EEEvS10_,comdat
.Lfunc_end248:
	.size	_ZN7rocprim17ROCPRIM_400000_NS6detail17trampoline_kernelINS0_14default_configENS1_21merge_config_selectorINS0_5tupleIJiiEEENS0_10empty_typeEEEZNS1_10merge_implIS3_NS0_12zip_iteratorINS5_IJN6thrust23THRUST_200600_302600_NS6detail15normal_iteratorINSC_10device_ptrIKiEEEESI_EEEEESK_NSA_INS5_IJNSE_INSF_IiEEEESM_EEEEEPS7_SP_SP_NSC_11hip_rocprim7__merge17predicate_wrapperIiiNSC_4lessIiEEEEEE10hipError_tPvRmT0_T1_T2_T3_T4_T5_mmT6_P12ihipStream_tbEUlT_E_NS1_11comp_targetILNS1_3genE10ELNS1_11target_archE1201ELNS1_3gpuE5ELNS1_3repE0EEENS1_30default_config_static_selectorELNS0_4arch9wavefront6targetE0EEEvS10_, .Lfunc_end248-_ZN7rocprim17ROCPRIM_400000_NS6detail17trampoline_kernelINS0_14default_configENS1_21merge_config_selectorINS0_5tupleIJiiEEENS0_10empty_typeEEEZNS1_10merge_implIS3_NS0_12zip_iteratorINS5_IJN6thrust23THRUST_200600_302600_NS6detail15normal_iteratorINSC_10device_ptrIKiEEEESI_EEEEESK_NSA_INS5_IJNSE_INSF_IiEEEESM_EEEEEPS7_SP_SP_NSC_11hip_rocprim7__merge17predicate_wrapperIiiNSC_4lessIiEEEEEE10hipError_tPvRmT0_T1_T2_T3_T4_T5_mmT6_P12ihipStream_tbEUlT_E_NS1_11comp_targetILNS1_3genE10ELNS1_11target_archE1201ELNS1_3gpuE5ELNS1_3repE0EEENS1_30default_config_static_selectorELNS0_4arch9wavefront6targetE0EEEvS10_
                                        ; -- End function
	.set _ZN7rocprim17ROCPRIM_400000_NS6detail17trampoline_kernelINS0_14default_configENS1_21merge_config_selectorINS0_5tupleIJiiEEENS0_10empty_typeEEEZNS1_10merge_implIS3_NS0_12zip_iteratorINS5_IJN6thrust23THRUST_200600_302600_NS6detail15normal_iteratorINSC_10device_ptrIKiEEEESI_EEEEESK_NSA_INS5_IJNSE_INSF_IiEEEESM_EEEEEPS7_SP_SP_NSC_11hip_rocprim7__merge17predicate_wrapperIiiNSC_4lessIiEEEEEE10hipError_tPvRmT0_T1_T2_T3_T4_T5_mmT6_P12ihipStream_tbEUlT_E_NS1_11comp_targetILNS1_3genE10ELNS1_11target_archE1201ELNS1_3gpuE5ELNS1_3repE0EEENS1_30default_config_static_selectorELNS0_4arch9wavefront6targetE0EEEvS10_.num_vgpr, 0
	.set _ZN7rocprim17ROCPRIM_400000_NS6detail17trampoline_kernelINS0_14default_configENS1_21merge_config_selectorINS0_5tupleIJiiEEENS0_10empty_typeEEEZNS1_10merge_implIS3_NS0_12zip_iteratorINS5_IJN6thrust23THRUST_200600_302600_NS6detail15normal_iteratorINSC_10device_ptrIKiEEEESI_EEEEESK_NSA_INS5_IJNSE_INSF_IiEEEESM_EEEEEPS7_SP_SP_NSC_11hip_rocprim7__merge17predicate_wrapperIiiNSC_4lessIiEEEEEE10hipError_tPvRmT0_T1_T2_T3_T4_T5_mmT6_P12ihipStream_tbEUlT_E_NS1_11comp_targetILNS1_3genE10ELNS1_11target_archE1201ELNS1_3gpuE5ELNS1_3repE0EEENS1_30default_config_static_selectorELNS0_4arch9wavefront6targetE0EEEvS10_.num_agpr, 0
	.set _ZN7rocprim17ROCPRIM_400000_NS6detail17trampoline_kernelINS0_14default_configENS1_21merge_config_selectorINS0_5tupleIJiiEEENS0_10empty_typeEEEZNS1_10merge_implIS3_NS0_12zip_iteratorINS5_IJN6thrust23THRUST_200600_302600_NS6detail15normal_iteratorINSC_10device_ptrIKiEEEESI_EEEEESK_NSA_INS5_IJNSE_INSF_IiEEEESM_EEEEEPS7_SP_SP_NSC_11hip_rocprim7__merge17predicate_wrapperIiiNSC_4lessIiEEEEEE10hipError_tPvRmT0_T1_T2_T3_T4_T5_mmT6_P12ihipStream_tbEUlT_E_NS1_11comp_targetILNS1_3genE10ELNS1_11target_archE1201ELNS1_3gpuE5ELNS1_3repE0EEENS1_30default_config_static_selectorELNS0_4arch9wavefront6targetE0EEEvS10_.numbered_sgpr, 0
	.set _ZN7rocprim17ROCPRIM_400000_NS6detail17trampoline_kernelINS0_14default_configENS1_21merge_config_selectorINS0_5tupleIJiiEEENS0_10empty_typeEEEZNS1_10merge_implIS3_NS0_12zip_iteratorINS5_IJN6thrust23THRUST_200600_302600_NS6detail15normal_iteratorINSC_10device_ptrIKiEEEESI_EEEEESK_NSA_INS5_IJNSE_INSF_IiEEEESM_EEEEEPS7_SP_SP_NSC_11hip_rocprim7__merge17predicate_wrapperIiiNSC_4lessIiEEEEEE10hipError_tPvRmT0_T1_T2_T3_T4_T5_mmT6_P12ihipStream_tbEUlT_E_NS1_11comp_targetILNS1_3genE10ELNS1_11target_archE1201ELNS1_3gpuE5ELNS1_3repE0EEENS1_30default_config_static_selectorELNS0_4arch9wavefront6targetE0EEEvS10_.num_named_barrier, 0
	.set _ZN7rocprim17ROCPRIM_400000_NS6detail17trampoline_kernelINS0_14default_configENS1_21merge_config_selectorINS0_5tupleIJiiEEENS0_10empty_typeEEEZNS1_10merge_implIS3_NS0_12zip_iteratorINS5_IJN6thrust23THRUST_200600_302600_NS6detail15normal_iteratorINSC_10device_ptrIKiEEEESI_EEEEESK_NSA_INS5_IJNSE_INSF_IiEEEESM_EEEEEPS7_SP_SP_NSC_11hip_rocprim7__merge17predicate_wrapperIiiNSC_4lessIiEEEEEE10hipError_tPvRmT0_T1_T2_T3_T4_T5_mmT6_P12ihipStream_tbEUlT_E_NS1_11comp_targetILNS1_3genE10ELNS1_11target_archE1201ELNS1_3gpuE5ELNS1_3repE0EEENS1_30default_config_static_selectorELNS0_4arch9wavefront6targetE0EEEvS10_.private_seg_size, 0
	.set _ZN7rocprim17ROCPRIM_400000_NS6detail17trampoline_kernelINS0_14default_configENS1_21merge_config_selectorINS0_5tupleIJiiEEENS0_10empty_typeEEEZNS1_10merge_implIS3_NS0_12zip_iteratorINS5_IJN6thrust23THRUST_200600_302600_NS6detail15normal_iteratorINSC_10device_ptrIKiEEEESI_EEEEESK_NSA_INS5_IJNSE_INSF_IiEEEESM_EEEEEPS7_SP_SP_NSC_11hip_rocprim7__merge17predicate_wrapperIiiNSC_4lessIiEEEEEE10hipError_tPvRmT0_T1_T2_T3_T4_T5_mmT6_P12ihipStream_tbEUlT_E_NS1_11comp_targetILNS1_3genE10ELNS1_11target_archE1201ELNS1_3gpuE5ELNS1_3repE0EEENS1_30default_config_static_selectorELNS0_4arch9wavefront6targetE0EEEvS10_.uses_vcc, 0
	.set _ZN7rocprim17ROCPRIM_400000_NS6detail17trampoline_kernelINS0_14default_configENS1_21merge_config_selectorINS0_5tupleIJiiEEENS0_10empty_typeEEEZNS1_10merge_implIS3_NS0_12zip_iteratorINS5_IJN6thrust23THRUST_200600_302600_NS6detail15normal_iteratorINSC_10device_ptrIKiEEEESI_EEEEESK_NSA_INS5_IJNSE_INSF_IiEEEESM_EEEEEPS7_SP_SP_NSC_11hip_rocprim7__merge17predicate_wrapperIiiNSC_4lessIiEEEEEE10hipError_tPvRmT0_T1_T2_T3_T4_T5_mmT6_P12ihipStream_tbEUlT_E_NS1_11comp_targetILNS1_3genE10ELNS1_11target_archE1201ELNS1_3gpuE5ELNS1_3repE0EEENS1_30default_config_static_selectorELNS0_4arch9wavefront6targetE0EEEvS10_.uses_flat_scratch, 0
	.set _ZN7rocprim17ROCPRIM_400000_NS6detail17trampoline_kernelINS0_14default_configENS1_21merge_config_selectorINS0_5tupleIJiiEEENS0_10empty_typeEEEZNS1_10merge_implIS3_NS0_12zip_iteratorINS5_IJN6thrust23THRUST_200600_302600_NS6detail15normal_iteratorINSC_10device_ptrIKiEEEESI_EEEEESK_NSA_INS5_IJNSE_INSF_IiEEEESM_EEEEEPS7_SP_SP_NSC_11hip_rocprim7__merge17predicate_wrapperIiiNSC_4lessIiEEEEEE10hipError_tPvRmT0_T1_T2_T3_T4_T5_mmT6_P12ihipStream_tbEUlT_E_NS1_11comp_targetILNS1_3genE10ELNS1_11target_archE1201ELNS1_3gpuE5ELNS1_3repE0EEENS1_30default_config_static_selectorELNS0_4arch9wavefront6targetE0EEEvS10_.has_dyn_sized_stack, 0
	.set _ZN7rocprim17ROCPRIM_400000_NS6detail17trampoline_kernelINS0_14default_configENS1_21merge_config_selectorINS0_5tupleIJiiEEENS0_10empty_typeEEEZNS1_10merge_implIS3_NS0_12zip_iteratorINS5_IJN6thrust23THRUST_200600_302600_NS6detail15normal_iteratorINSC_10device_ptrIKiEEEESI_EEEEESK_NSA_INS5_IJNSE_INSF_IiEEEESM_EEEEEPS7_SP_SP_NSC_11hip_rocprim7__merge17predicate_wrapperIiiNSC_4lessIiEEEEEE10hipError_tPvRmT0_T1_T2_T3_T4_T5_mmT6_P12ihipStream_tbEUlT_E_NS1_11comp_targetILNS1_3genE10ELNS1_11target_archE1201ELNS1_3gpuE5ELNS1_3repE0EEENS1_30default_config_static_selectorELNS0_4arch9wavefront6targetE0EEEvS10_.has_recursion, 0
	.set _ZN7rocprim17ROCPRIM_400000_NS6detail17trampoline_kernelINS0_14default_configENS1_21merge_config_selectorINS0_5tupleIJiiEEENS0_10empty_typeEEEZNS1_10merge_implIS3_NS0_12zip_iteratorINS5_IJN6thrust23THRUST_200600_302600_NS6detail15normal_iteratorINSC_10device_ptrIKiEEEESI_EEEEESK_NSA_INS5_IJNSE_INSF_IiEEEESM_EEEEEPS7_SP_SP_NSC_11hip_rocprim7__merge17predicate_wrapperIiiNSC_4lessIiEEEEEE10hipError_tPvRmT0_T1_T2_T3_T4_T5_mmT6_P12ihipStream_tbEUlT_E_NS1_11comp_targetILNS1_3genE10ELNS1_11target_archE1201ELNS1_3gpuE5ELNS1_3repE0EEENS1_30default_config_static_selectorELNS0_4arch9wavefront6targetE0EEEvS10_.has_indirect_call, 0
	.section	.AMDGPU.csdata,"",@progbits
; Kernel info:
; codeLenInByte = 0
; TotalNumSgprs: 0
; NumVgprs: 0
; ScratchSize: 0
; MemoryBound: 0
; FloatMode: 240
; IeeeMode: 1
; LDSByteSize: 0 bytes/workgroup (compile time only)
; SGPRBlocks: 0
; VGPRBlocks: 0
; NumSGPRsForWavesPerEU: 1
; NumVGPRsForWavesPerEU: 1
; NamedBarCnt: 0
; Occupancy: 16
; WaveLimiterHint : 0
; COMPUTE_PGM_RSRC2:SCRATCH_EN: 0
; COMPUTE_PGM_RSRC2:USER_SGPR: 2
; COMPUTE_PGM_RSRC2:TRAP_HANDLER: 0
; COMPUTE_PGM_RSRC2:TGID_X_EN: 1
; COMPUTE_PGM_RSRC2:TGID_Y_EN: 0
; COMPUTE_PGM_RSRC2:TGID_Z_EN: 0
; COMPUTE_PGM_RSRC2:TIDIG_COMP_CNT: 0
	.section	.text._ZN7rocprim17ROCPRIM_400000_NS6detail17trampoline_kernelINS0_14default_configENS1_21merge_config_selectorINS0_5tupleIJiiEEENS0_10empty_typeEEEZNS1_10merge_implIS3_NS0_12zip_iteratorINS5_IJN6thrust23THRUST_200600_302600_NS6detail15normal_iteratorINSC_10device_ptrIKiEEEESI_EEEEESK_NSA_INS5_IJNSE_INSF_IiEEEESM_EEEEEPS7_SP_SP_NSC_11hip_rocprim7__merge17predicate_wrapperIiiNSC_4lessIiEEEEEE10hipError_tPvRmT0_T1_T2_T3_T4_T5_mmT6_P12ihipStream_tbEUlT_E_NS1_11comp_targetILNS1_3genE10ELNS1_11target_archE1200ELNS1_3gpuE4ELNS1_3repE0EEENS1_30default_config_static_selectorELNS0_4arch9wavefront6targetE0EEEvS10_,"axG",@progbits,_ZN7rocprim17ROCPRIM_400000_NS6detail17trampoline_kernelINS0_14default_configENS1_21merge_config_selectorINS0_5tupleIJiiEEENS0_10empty_typeEEEZNS1_10merge_implIS3_NS0_12zip_iteratorINS5_IJN6thrust23THRUST_200600_302600_NS6detail15normal_iteratorINSC_10device_ptrIKiEEEESI_EEEEESK_NSA_INS5_IJNSE_INSF_IiEEEESM_EEEEEPS7_SP_SP_NSC_11hip_rocprim7__merge17predicate_wrapperIiiNSC_4lessIiEEEEEE10hipError_tPvRmT0_T1_T2_T3_T4_T5_mmT6_P12ihipStream_tbEUlT_E_NS1_11comp_targetILNS1_3genE10ELNS1_11target_archE1200ELNS1_3gpuE4ELNS1_3repE0EEENS1_30default_config_static_selectorELNS0_4arch9wavefront6targetE0EEEvS10_,comdat
	.protected	_ZN7rocprim17ROCPRIM_400000_NS6detail17trampoline_kernelINS0_14default_configENS1_21merge_config_selectorINS0_5tupleIJiiEEENS0_10empty_typeEEEZNS1_10merge_implIS3_NS0_12zip_iteratorINS5_IJN6thrust23THRUST_200600_302600_NS6detail15normal_iteratorINSC_10device_ptrIKiEEEESI_EEEEESK_NSA_INS5_IJNSE_INSF_IiEEEESM_EEEEEPS7_SP_SP_NSC_11hip_rocprim7__merge17predicate_wrapperIiiNSC_4lessIiEEEEEE10hipError_tPvRmT0_T1_T2_T3_T4_T5_mmT6_P12ihipStream_tbEUlT_E_NS1_11comp_targetILNS1_3genE10ELNS1_11target_archE1200ELNS1_3gpuE4ELNS1_3repE0EEENS1_30default_config_static_selectorELNS0_4arch9wavefront6targetE0EEEvS10_ ; -- Begin function _ZN7rocprim17ROCPRIM_400000_NS6detail17trampoline_kernelINS0_14default_configENS1_21merge_config_selectorINS0_5tupleIJiiEEENS0_10empty_typeEEEZNS1_10merge_implIS3_NS0_12zip_iteratorINS5_IJN6thrust23THRUST_200600_302600_NS6detail15normal_iteratorINSC_10device_ptrIKiEEEESI_EEEEESK_NSA_INS5_IJNSE_INSF_IiEEEESM_EEEEEPS7_SP_SP_NSC_11hip_rocprim7__merge17predicate_wrapperIiiNSC_4lessIiEEEEEE10hipError_tPvRmT0_T1_T2_T3_T4_T5_mmT6_P12ihipStream_tbEUlT_E_NS1_11comp_targetILNS1_3genE10ELNS1_11target_archE1200ELNS1_3gpuE4ELNS1_3repE0EEENS1_30default_config_static_selectorELNS0_4arch9wavefront6targetE0EEEvS10_
	.globl	_ZN7rocprim17ROCPRIM_400000_NS6detail17trampoline_kernelINS0_14default_configENS1_21merge_config_selectorINS0_5tupleIJiiEEENS0_10empty_typeEEEZNS1_10merge_implIS3_NS0_12zip_iteratorINS5_IJN6thrust23THRUST_200600_302600_NS6detail15normal_iteratorINSC_10device_ptrIKiEEEESI_EEEEESK_NSA_INS5_IJNSE_INSF_IiEEEESM_EEEEEPS7_SP_SP_NSC_11hip_rocprim7__merge17predicate_wrapperIiiNSC_4lessIiEEEEEE10hipError_tPvRmT0_T1_T2_T3_T4_T5_mmT6_P12ihipStream_tbEUlT_E_NS1_11comp_targetILNS1_3genE10ELNS1_11target_archE1200ELNS1_3gpuE4ELNS1_3repE0EEENS1_30default_config_static_selectorELNS0_4arch9wavefront6targetE0EEEvS10_
	.p2align	8
	.type	_ZN7rocprim17ROCPRIM_400000_NS6detail17trampoline_kernelINS0_14default_configENS1_21merge_config_selectorINS0_5tupleIJiiEEENS0_10empty_typeEEEZNS1_10merge_implIS3_NS0_12zip_iteratorINS5_IJN6thrust23THRUST_200600_302600_NS6detail15normal_iteratorINSC_10device_ptrIKiEEEESI_EEEEESK_NSA_INS5_IJNSE_INSF_IiEEEESM_EEEEEPS7_SP_SP_NSC_11hip_rocprim7__merge17predicate_wrapperIiiNSC_4lessIiEEEEEE10hipError_tPvRmT0_T1_T2_T3_T4_T5_mmT6_P12ihipStream_tbEUlT_E_NS1_11comp_targetILNS1_3genE10ELNS1_11target_archE1200ELNS1_3gpuE4ELNS1_3repE0EEENS1_30default_config_static_selectorELNS0_4arch9wavefront6targetE0EEEvS10_,@function
_ZN7rocprim17ROCPRIM_400000_NS6detail17trampoline_kernelINS0_14default_configENS1_21merge_config_selectorINS0_5tupleIJiiEEENS0_10empty_typeEEEZNS1_10merge_implIS3_NS0_12zip_iteratorINS5_IJN6thrust23THRUST_200600_302600_NS6detail15normal_iteratorINSC_10device_ptrIKiEEEESI_EEEEESK_NSA_INS5_IJNSE_INSF_IiEEEESM_EEEEEPS7_SP_SP_NSC_11hip_rocprim7__merge17predicate_wrapperIiiNSC_4lessIiEEEEEE10hipError_tPvRmT0_T1_T2_T3_T4_T5_mmT6_P12ihipStream_tbEUlT_E_NS1_11comp_targetILNS1_3genE10ELNS1_11target_archE1200ELNS1_3gpuE4ELNS1_3repE0EEENS1_30default_config_static_selectorELNS0_4arch9wavefront6targetE0EEEvS10_: ; @_ZN7rocprim17ROCPRIM_400000_NS6detail17trampoline_kernelINS0_14default_configENS1_21merge_config_selectorINS0_5tupleIJiiEEENS0_10empty_typeEEEZNS1_10merge_implIS3_NS0_12zip_iteratorINS5_IJN6thrust23THRUST_200600_302600_NS6detail15normal_iteratorINSC_10device_ptrIKiEEEESI_EEEEESK_NSA_INS5_IJNSE_INSF_IiEEEESM_EEEEEPS7_SP_SP_NSC_11hip_rocprim7__merge17predicate_wrapperIiiNSC_4lessIiEEEEEE10hipError_tPvRmT0_T1_T2_T3_T4_T5_mmT6_P12ihipStream_tbEUlT_E_NS1_11comp_targetILNS1_3genE10ELNS1_11target_archE1200ELNS1_3gpuE4ELNS1_3repE0EEENS1_30default_config_static_selectorELNS0_4arch9wavefront6targetE0EEEvS10_
; %bb.0:
	.section	.rodata,"a",@progbits
	.p2align	6, 0x0
	.amdhsa_kernel _ZN7rocprim17ROCPRIM_400000_NS6detail17trampoline_kernelINS0_14default_configENS1_21merge_config_selectorINS0_5tupleIJiiEEENS0_10empty_typeEEEZNS1_10merge_implIS3_NS0_12zip_iteratorINS5_IJN6thrust23THRUST_200600_302600_NS6detail15normal_iteratorINSC_10device_ptrIKiEEEESI_EEEEESK_NSA_INS5_IJNSE_INSF_IiEEEESM_EEEEEPS7_SP_SP_NSC_11hip_rocprim7__merge17predicate_wrapperIiiNSC_4lessIiEEEEEE10hipError_tPvRmT0_T1_T2_T3_T4_T5_mmT6_P12ihipStream_tbEUlT_E_NS1_11comp_targetILNS1_3genE10ELNS1_11target_archE1200ELNS1_3gpuE4ELNS1_3repE0EEENS1_30default_config_static_selectorELNS0_4arch9wavefront6targetE0EEEvS10_
		.amdhsa_group_segment_fixed_size 0
		.amdhsa_private_segment_fixed_size 0
		.amdhsa_kernarg_size 64
		.amdhsa_user_sgpr_count 2
		.amdhsa_user_sgpr_dispatch_ptr 0
		.amdhsa_user_sgpr_queue_ptr 0
		.amdhsa_user_sgpr_kernarg_segment_ptr 1
		.amdhsa_user_sgpr_dispatch_id 0
		.amdhsa_user_sgpr_kernarg_preload_length 0
		.amdhsa_user_sgpr_kernarg_preload_offset 0
		.amdhsa_user_sgpr_private_segment_size 0
		.amdhsa_wavefront_size32 1
		.amdhsa_uses_dynamic_stack 0
		.amdhsa_enable_private_segment 0
		.amdhsa_system_sgpr_workgroup_id_x 1
		.amdhsa_system_sgpr_workgroup_id_y 0
		.amdhsa_system_sgpr_workgroup_id_z 0
		.amdhsa_system_sgpr_workgroup_info 0
		.amdhsa_system_vgpr_workitem_id 0
		.amdhsa_next_free_vgpr 1
		.amdhsa_next_free_sgpr 1
		.amdhsa_named_barrier_count 0
		.amdhsa_reserve_vcc 0
		.amdhsa_float_round_mode_32 0
		.amdhsa_float_round_mode_16_64 0
		.amdhsa_float_denorm_mode_32 3
		.amdhsa_float_denorm_mode_16_64 3
		.amdhsa_fp16_overflow 0
		.amdhsa_memory_ordered 1
		.amdhsa_forward_progress 1
		.amdhsa_inst_pref_size 0
		.amdhsa_round_robin_scheduling 0
		.amdhsa_exception_fp_ieee_invalid_op 0
		.amdhsa_exception_fp_denorm_src 0
		.amdhsa_exception_fp_ieee_div_zero 0
		.amdhsa_exception_fp_ieee_overflow 0
		.amdhsa_exception_fp_ieee_underflow 0
		.amdhsa_exception_fp_ieee_inexact 0
		.amdhsa_exception_int_div_zero 0
	.end_amdhsa_kernel
	.section	.text._ZN7rocprim17ROCPRIM_400000_NS6detail17trampoline_kernelINS0_14default_configENS1_21merge_config_selectorINS0_5tupleIJiiEEENS0_10empty_typeEEEZNS1_10merge_implIS3_NS0_12zip_iteratorINS5_IJN6thrust23THRUST_200600_302600_NS6detail15normal_iteratorINSC_10device_ptrIKiEEEESI_EEEEESK_NSA_INS5_IJNSE_INSF_IiEEEESM_EEEEEPS7_SP_SP_NSC_11hip_rocprim7__merge17predicate_wrapperIiiNSC_4lessIiEEEEEE10hipError_tPvRmT0_T1_T2_T3_T4_T5_mmT6_P12ihipStream_tbEUlT_E_NS1_11comp_targetILNS1_3genE10ELNS1_11target_archE1200ELNS1_3gpuE4ELNS1_3repE0EEENS1_30default_config_static_selectorELNS0_4arch9wavefront6targetE0EEEvS10_,"axG",@progbits,_ZN7rocprim17ROCPRIM_400000_NS6detail17trampoline_kernelINS0_14default_configENS1_21merge_config_selectorINS0_5tupleIJiiEEENS0_10empty_typeEEEZNS1_10merge_implIS3_NS0_12zip_iteratorINS5_IJN6thrust23THRUST_200600_302600_NS6detail15normal_iteratorINSC_10device_ptrIKiEEEESI_EEEEESK_NSA_INS5_IJNSE_INSF_IiEEEESM_EEEEEPS7_SP_SP_NSC_11hip_rocprim7__merge17predicate_wrapperIiiNSC_4lessIiEEEEEE10hipError_tPvRmT0_T1_T2_T3_T4_T5_mmT6_P12ihipStream_tbEUlT_E_NS1_11comp_targetILNS1_3genE10ELNS1_11target_archE1200ELNS1_3gpuE4ELNS1_3repE0EEENS1_30default_config_static_selectorELNS0_4arch9wavefront6targetE0EEEvS10_,comdat
.Lfunc_end249:
	.size	_ZN7rocprim17ROCPRIM_400000_NS6detail17trampoline_kernelINS0_14default_configENS1_21merge_config_selectorINS0_5tupleIJiiEEENS0_10empty_typeEEEZNS1_10merge_implIS3_NS0_12zip_iteratorINS5_IJN6thrust23THRUST_200600_302600_NS6detail15normal_iteratorINSC_10device_ptrIKiEEEESI_EEEEESK_NSA_INS5_IJNSE_INSF_IiEEEESM_EEEEEPS7_SP_SP_NSC_11hip_rocprim7__merge17predicate_wrapperIiiNSC_4lessIiEEEEEE10hipError_tPvRmT0_T1_T2_T3_T4_T5_mmT6_P12ihipStream_tbEUlT_E_NS1_11comp_targetILNS1_3genE10ELNS1_11target_archE1200ELNS1_3gpuE4ELNS1_3repE0EEENS1_30default_config_static_selectorELNS0_4arch9wavefront6targetE0EEEvS10_, .Lfunc_end249-_ZN7rocprim17ROCPRIM_400000_NS6detail17trampoline_kernelINS0_14default_configENS1_21merge_config_selectorINS0_5tupleIJiiEEENS0_10empty_typeEEEZNS1_10merge_implIS3_NS0_12zip_iteratorINS5_IJN6thrust23THRUST_200600_302600_NS6detail15normal_iteratorINSC_10device_ptrIKiEEEESI_EEEEESK_NSA_INS5_IJNSE_INSF_IiEEEESM_EEEEEPS7_SP_SP_NSC_11hip_rocprim7__merge17predicate_wrapperIiiNSC_4lessIiEEEEEE10hipError_tPvRmT0_T1_T2_T3_T4_T5_mmT6_P12ihipStream_tbEUlT_E_NS1_11comp_targetILNS1_3genE10ELNS1_11target_archE1200ELNS1_3gpuE4ELNS1_3repE0EEENS1_30default_config_static_selectorELNS0_4arch9wavefront6targetE0EEEvS10_
                                        ; -- End function
	.set _ZN7rocprim17ROCPRIM_400000_NS6detail17trampoline_kernelINS0_14default_configENS1_21merge_config_selectorINS0_5tupleIJiiEEENS0_10empty_typeEEEZNS1_10merge_implIS3_NS0_12zip_iteratorINS5_IJN6thrust23THRUST_200600_302600_NS6detail15normal_iteratorINSC_10device_ptrIKiEEEESI_EEEEESK_NSA_INS5_IJNSE_INSF_IiEEEESM_EEEEEPS7_SP_SP_NSC_11hip_rocprim7__merge17predicate_wrapperIiiNSC_4lessIiEEEEEE10hipError_tPvRmT0_T1_T2_T3_T4_T5_mmT6_P12ihipStream_tbEUlT_E_NS1_11comp_targetILNS1_3genE10ELNS1_11target_archE1200ELNS1_3gpuE4ELNS1_3repE0EEENS1_30default_config_static_selectorELNS0_4arch9wavefront6targetE0EEEvS10_.num_vgpr, 0
	.set _ZN7rocprim17ROCPRIM_400000_NS6detail17trampoline_kernelINS0_14default_configENS1_21merge_config_selectorINS0_5tupleIJiiEEENS0_10empty_typeEEEZNS1_10merge_implIS3_NS0_12zip_iteratorINS5_IJN6thrust23THRUST_200600_302600_NS6detail15normal_iteratorINSC_10device_ptrIKiEEEESI_EEEEESK_NSA_INS5_IJNSE_INSF_IiEEEESM_EEEEEPS7_SP_SP_NSC_11hip_rocprim7__merge17predicate_wrapperIiiNSC_4lessIiEEEEEE10hipError_tPvRmT0_T1_T2_T3_T4_T5_mmT6_P12ihipStream_tbEUlT_E_NS1_11comp_targetILNS1_3genE10ELNS1_11target_archE1200ELNS1_3gpuE4ELNS1_3repE0EEENS1_30default_config_static_selectorELNS0_4arch9wavefront6targetE0EEEvS10_.num_agpr, 0
	.set _ZN7rocprim17ROCPRIM_400000_NS6detail17trampoline_kernelINS0_14default_configENS1_21merge_config_selectorINS0_5tupleIJiiEEENS0_10empty_typeEEEZNS1_10merge_implIS3_NS0_12zip_iteratorINS5_IJN6thrust23THRUST_200600_302600_NS6detail15normal_iteratorINSC_10device_ptrIKiEEEESI_EEEEESK_NSA_INS5_IJNSE_INSF_IiEEEESM_EEEEEPS7_SP_SP_NSC_11hip_rocprim7__merge17predicate_wrapperIiiNSC_4lessIiEEEEEE10hipError_tPvRmT0_T1_T2_T3_T4_T5_mmT6_P12ihipStream_tbEUlT_E_NS1_11comp_targetILNS1_3genE10ELNS1_11target_archE1200ELNS1_3gpuE4ELNS1_3repE0EEENS1_30default_config_static_selectorELNS0_4arch9wavefront6targetE0EEEvS10_.numbered_sgpr, 0
	.set _ZN7rocprim17ROCPRIM_400000_NS6detail17trampoline_kernelINS0_14default_configENS1_21merge_config_selectorINS0_5tupleIJiiEEENS0_10empty_typeEEEZNS1_10merge_implIS3_NS0_12zip_iteratorINS5_IJN6thrust23THRUST_200600_302600_NS6detail15normal_iteratorINSC_10device_ptrIKiEEEESI_EEEEESK_NSA_INS5_IJNSE_INSF_IiEEEESM_EEEEEPS7_SP_SP_NSC_11hip_rocprim7__merge17predicate_wrapperIiiNSC_4lessIiEEEEEE10hipError_tPvRmT0_T1_T2_T3_T4_T5_mmT6_P12ihipStream_tbEUlT_E_NS1_11comp_targetILNS1_3genE10ELNS1_11target_archE1200ELNS1_3gpuE4ELNS1_3repE0EEENS1_30default_config_static_selectorELNS0_4arch9wavefront6targetE0EEEvS10_.num_named_barrier, 0
	.set _ZN7rocprim17ROCPRIM_400000_NS6detail17trampoline_kernelINS0_14default_configENS1_21merge_config_selectorINS0_5tupleIJiiEEENS0_10empty_typeEEEZNS1_10merge_implIS3_NS0_12zip_iteratorINS5_IJN6thrust23THRUST_200600_302600_NS6detail15normal_iteratorINSC_10device_ptrIKiEEEESI_EEEEESK_NSA_INS5_IJNSE_INSF_IiEEEESM_EEEEEPS7_SP_SP_NSC_11hip_rocprim7__merge17predicate_wrapperIiiNSC_4lessIiEEEEEE10hipError_tPvRmT0_T1_T2_T3_T4_T5_mmT6_P12ihipStream_tbEUlT_E_NS1_11comp_targetILNS1_3genE10ELNS1_11target_archE1200ELNS1_3gpuE4ELNS1_3repE0EEENS1_30default_config_static_selectorELNS0_4arch9wavefront6targetE0EEEvS10_.private_seg_size, 0
	.set _ZN7rocprim17ROCPRIM_400000_NS6detail17trampoline_kernelINS0_14default_configENS1_21merge_config_selectorINS0_5tupleIJiiEEENS0_10empty_typeEEEZNS1_10merge_implIS3_NS0_12zip_iteratorINS5_IJN6thrust23THRUST_200600_302600_NS6detail15normal_iteratorINSC_10device_ptrIKiEEEESI_EEEEESK_NSA_INS5_IJNSE_INSF_IiEEEESM_EEEEEPS7_SP_SP_NSC_11hip_rocprim7__merge17predicate_wrapperIiiNSC_4lessIiEEEEEE10hipError_tPvRmT0_T1_T2_T3_T4_T5_mmT6_P12ihipStream_tbEUlT_E_NS1_11comp_targetILNS1_3genE10ELNS1_11target_archE1200ELNS1_3gpuE4ELNS1_3repE0EEENS1_30default_config_static_selectorELNS0_4arch9wavefront6targetE0EEEvS10_.uses_vcc, 0
	.set _ZN7rocprim17ROCPRIM_400000_NS6detail17trampoline_kernelINS0_14default_configENS1_21merge_config_selectorINS0_5tupleIJiiEEENS0_10empty_typeEEEZNS1_10merge_implIS3_NS0_12zip_iteratorINS5_IJN6thrust23THRUST_200600_302600_NS6detail15normal_iteratorINSC_10device_ptrIKiEEEESI_EEEEESK_NSA_INS5_IJNSE_INSF_IiEEEESM_EEEEEPS7_SP_SP_NSC_11hip_rocprim7__merge17predicate_wrapperIiiNSC_4lessIiEEEEEE10hipError_tPvRmT0_T1_T2_T3_T4_T5_mmT6_P12ihipStream_tbEUlT_E_NS1_11comp_targetILNS1_3genE10ELNS1_11target_archE1200ELNS1_3gpuE4ELNS1_3repE0EEENS1_30default_config_static_selectorELNS0_4arch9wavefront6targetE0EEEvS10_.uses_flat_scratch, 0
	.set _ZN7rocprim17ROCPRIM_400000_NS6detail17trampoline_kernelINS0_14default_configENS1_21merge_config_selectorINS0_5tupleIJiiEEENS0_10empty_typeEEEZNS1_10merge_implIS3_NS0_12zip_iteratorINS5_IJN6thrust23THRUST_200600_302600_NS6detail15normal_iteratorINSC_10device_ptrIKiEEEESI_EEEEESK_NSA_INS5_IJNSE_INSF_IiEEEESM_EEEEEPS7_SP_SP_NSC_11hip_rocprim7__merge17predicate_wrapperIiiNSC_4lessIiEEEEEE10hipError_tPvRmT0_T1_T2_T3_T4_T5_mmT6_P12ihipStream_tbEUlT_E_NS1_11comp_targetILNS1_3genE10ELNS1_11target_archE1200ELNS1_3gpuE4ELNS1_3repE0EEENS1_30default_config_static_selectorELNS0_4arch9wavefront6targetE0EEEvS10_.has_dyn_sized_stack, 0
	.set _ZN7rocprim17ROCPRIM_400000_NS6detail17trampoline_kernelINS0_14default_configENS1_21merge_config_selectorINS0_5tupleIJiiEEENS0_10empty_typeEEEZNS1_10merge_implIS3_NS0_12zip_iteratorINS5_IJN6thrust23THRUST_200600_302600_NS6detail15normal_iteratorINSC_10device_ptrIKiEEEESI_EEEEESK_NSA_INS5_IJNSE_INSF_IiEEEESM_EEEEEPS7_SP_SP_NSC_11hip_rocprim7__merge17predicate_wrapperIiiNSC_4lessIiEEEEEE10hipError_tPvRmT0_T1_T2_T3_T4_T5_mmT6_P12ihipStream_tbEUlT_E_NS1_11comp_targetILNS1_3genE10ELNS1_11target_archE1200ELNS1_3gpuE4ELNS1_3repE0EEENS1_30default_config_static_selectorELNS0_4arch9wavefront6targetE0EEEvS10_.has_recursion, 0
	.set _ZN7rocprim17ROCPRIM_400000_NS6detail17trampoline_kernelINS0_14default_configENS1_21merge_config_selectorINS0_5tupleIJiiEEENS0_10empty_typeEEEZNS1_10merge_implIS3_NS0_12zip_iteratorINS5_IJN6thrust23THRUST_200600_302600_NS6detail15normal_iteratorINSC_10device_ptrIKiEEEESI_EEEEESK_NSA_INS5_IJNSE_INSF_IiEEEESM_EEEEEPS7_SP_SP_NSC_11hip_rocprim7__merge17predicate_wrapperIiiNSC_4lessIiEEEEEE10hipError_tPvRmT0_T1_T2_T3_T4_T5_mmT6_P12ihipStream_tbEUlT_E_NS1_11comp_targetILNS1_3genE10ELNS1_11target_archE1200ELNS1_3gpuE4ELNS1_3repE0EEENS1_30default_config_static_selectorELNS0_4arch9wavefront6targetE0EEEvS10_.has_indirect_call, 0
	.section	.AMDGPU.csdata,"",@progbits
; Kernel info:
; codeLenInByte = 0
; TotalNumSgprs: 0
; NumVgprs: 0
; ScratchSize: 0
; MemoryBound: 0
; FloatMode: 240
; IeeeMode: 1
; LDSByteSize: 0 bytes/workgroup (compile time only)
; SGPRBlocks: 0
; VGPRBlocks: 0
; NumSGPRsForWavesPerEU: 1
; NumVGPRsForWavesPerEU: 1
; NamedBarCnt: 0
; Occupancy: 16
; WaveLimiterHint : 0
; COMPUTE_PGM_RSRC2:SCRATCH_EN: 0
; COMPUTE_PGM_RSRC2:USER_SGPR: 2
; COMPUTE_PGM_RSRC2:TRAP_HANDLER: 0
; COMPUTE_PGM_RSRC2:TGID_X_EN: 1
; COMPUTE_PGM_RSRC2:TGID_Y_EN: 0
; COMPUTE_PGM_RSRC2:TGID_Z_EN: 0
; COMPUTE_PGM_RSRC2:TIDIG_COMP_CNT: 0
	.section	.text._ZN7rocprim17ROCPRIM_400000_NS6detail17trampoline_kernelINS0_14default_configENS1_21merge_config_selectorINS0_5tupleIJiiEEENS0_10empty_typeEEEZNS1_10merge_implIS3_NS0_12zip_iteratorINS5_IJN6thrust23THRUST_200600_302600_NS6detail15normal_iteratorINSC_10device_ptrIKiEEEESI_EEEEESK_NSA_INS5_IJNSE_INSF_IiEEEESM_EEEEEPS7_SP_SP_NSC_11hip_rocprim7__merge17predicate_wrapperIiiNSC_4lessIiEEEEEE10hipError_tPvRmT0_T1_T2_T3_T4_T5_mmT6_P12ihipStream_tbEUlT_E_NS1_11comp_targetILNS1_3genE9ELNS1_11target_archE1100ELNS1_3gpuE3ELNS1_3repE0EEENS1_30default_config_static_selectorELNS0_4arch9wavefront6targetE0EEEvS10_,"axG",@progbits,_ZN7rocprim17ROCPRIM_400000_NS6detail17trampoline_kernelINS0_14default_configENS1_21merge_config_selectorINS0_5tupleIJiiEEENS0_10empty_typeEEEZNS1_10merge_implIS3_NS0_12zip_iteratorINS5_IJN6thrust23THRUST_200600_302600_NS6detail15normal_iteratorINSC_10device_ptrIKiEEEESI_EEEEESK_NSA_INS5_IJNSE_INSF_IiEEEESM_EEEEEPS7_SP_SP_NSC_11hip_rocprim7__merge17predicate_wrapperIiiNSC_4lessIiEEEEEE10hipError_tPvRmT0_T1_T2_T3_T4_T5_mmT6_P12ihipStream_tbEUlT_E_NS1_11comp_targetILNS1_3genE9ELNS1_11target_archE1100ELNS1_3gpuE3ELNS1_3repE0EEENS1_30default_config_static_selectorELNS0_4arch9wavefront6targetE0EEEvS10_,comdat
	.protected	_ZN7rocprim17ROCPRIM_400000_NS6detail17trampoline_kernelINS0_14default_configENS1_21merge_config_selectorINS0_5tupleIJiiEEENS0_10empty_typeEEEZNS1_10merge_implIS3_NS0_12zip_iteratorINS5_IJN6thrust23THRUST_200600_302600_NS6detail15normal_iteratorINSC_10device_ptrIKiEEEESI_EEEEESK_NSA_INS5_IJNSE_INSF_IiEEEESM_EEEEEPS7_SP_SP_NSC_11hip_rocprim7__merge17predicate_wrapperIiiNSC_4lessIiEEEEEE10hipError_tPvRmT0_T1_T2_T3_T4_T5_mmT6_P12ihipStream_tbEUlT_E_NS1_11comp_targetILNS1_3genE9ELNS1_11target_archE1100ELNS1_3gpuE3ELNS1_3repE0EEENS1_30default_config_static_selectorELNS0_4arch9wavefront6targetE0EEEvS10_ ; -- Begin function _ZN7rocprim17ROCPRIM_400000_NS6detail17trampoline_kernelINS0_14default_configENS1_21merge_config_selectorINS0_5tupleIJiiEEENS0_10empty_typeEEEZNS1_10merge_implIS3_NS0_12zip_iteratorINS5_IJN6thrust23THRUST_200600_302600_NS6detail15normal_iteratorINSC_10device_ptrIKiEEEESI_EEEEESK_NSA_INS5_IJNSE_INSF_IiEEEESM_EEEEEPS7_SP_SP_NSC_11hip_rocprim7__merge17predicate_wrapperIiiNSC_4lessIiEEEEEE10hipError_tPvRmT0_T1_T2_T3_T4_T5_mmT6_P12ihipStream_tbEUlT_E_NS1_11comp_targetILNS1_3genE9ELNS1_11target_archE1100ELNS1_3gpuE3ELNS1_3repE0EEENS1_30default_config_static_selectorELNS0_4arch9wavefront6targetE0EEEvS10_
	.globl	_ZN7rocprim17ROCPRIM_400000_NS6detail17trampoline_kernelINS0_14default_configENS1_21merge_config_selectorINS0_5tupleIJiiEEENS0_10empty_typeEEEZNS1_10merge_implIS3_NS0_12zip_iteratorINS5_IJN6thrust23THRUST_200600_302600_NS6detail15normal_iteratorINSC_10device_ptrIKiEEEESI_EEEEESK_NSA_INS5_IJNSE_INSF_IiEEEESM_EEEEEPS7_SP_SP_NSC_11hip_rocprim7__merge17predicate_wrapperIiiNSC_4lessIiEEEEEE10hipError_tPvRmT0_T1_T2_T3_T4_T5_mmT6_P12ihipStream_tbEUlT_E_NS1_11comp_targetILNS1_3genE9ELNS1_11target_archE1100ELNS1_3gpuE3ELNS1_3repE0EEENS1_30default_config_static_selectorELNS0_4arch9wavefront6targetE0EEEvS10_
	.p2align	8
	.type	_ZN7rocprim17ROCPRIM_400000_NS6detail17trampoline_kernelINS0_14default_configENS1_21merge_config_selectorINS0_5tupleIJiiEEENS0_10empty_typeEEEZNS1_10merge_implIS3_NS0_12zip_iteratorINS5_IJN6thrust23THRUST_200600_302600_NS6detail15normal_iteratorINSC_10device_ptrIKiEEEESI_EEEEESK_NSA_INS5_IJNSE_INSF_IiEEEESM_EEEEEPS7_SP_SP_NSC_11hip_rocprim7__merge17predicate_wrapperIiiNSC_4lessIiEEEEEE10hipError_tPvRmT0_T1_T2_T3_T4_T5_mmT6_P12ihipStream_tbEUlT_E_NS1_11comp_targetILNS1_3genE9ELNS1_11target_archE1100ELNS1_3gpuE3ELNS1_3repE0EEENS1_30default_config_static_selectorELNS0_4arch9wavefront6targetE0EEEvS10_,@function
_ZN7rocprim17ROCPRIM_400000_NS6detail17trampoline_kernelINS0_14default_configENS1_21merge_config_selectorINS0_5tupleIJiiEEENS0_10empty_typeEEEZNS1_10merge_implIS3_NS0_12zip_iteratorINS5_IJN6thrust23THRUST_200600_302600_NS6detail15normal_iteratorINSC_10device_ptrIKiEEEESI_EEEEESK_NSA_INS5_IJNSE_INSF_IiEEEESM_EEEEEPS7_SP_SP_NSC_11hip_rocprim7__merge17predicate_wrapperIiiNSC_4lessIiEEEEEE10hipError_tPvRmT0_T1_T2_T3_T4_T5_mmT6_P12ihipStream_tbEUlT_E_NS1_11comp_targetILNS1_3genE9ELNS1_11target_archE1100ELNS1_3gpuE3ELNS1_3repE0EEENS1_30default_config_static_selectorELNS0_4arch9wavefront6targetE0EEEvS10_: ; @_ZN7rocprim17ROCPRIM_400000_NS6detail17trampoline_kernelINS0_14default_configENS1_21merge_config_selectorINS0_5tupleIJiiEEENS0_10empty_typeEEEZNS1_10merge_implIS3_NS0_12zip_iteratorINS5_IJN6thrust23THRUST_200600_302600_NS6detail15normal_iteratorINSC_10device_ptrIKiEEEESI_EEEEESK_NSA_INS5_IJNSE_INSF_IiEEEESM_EEEEEPS7_SP_SP_NSC_11hip_rocprim7__merge17predicate_wrapperIiiNSC_4lessIiEEEEEE10hipError_tPvRmT0_T1_T2_T3_T4_T5_mmT6_P12ihipStream_tbEUlT_E_NS1_11comp_targetILNS1_3genE9ELNS1_11target_archE1100ELNS1_3gpuE3ELNS1_3repE0EEENS1_30default_config_static_selectorELNS0_4arch9wavefront6targetE0EEEvS10_
; %bb.0:
	.section	.rodata,"a",@progbits
	.p2align	6, 0x0
	.amdhsa_kernel _ZN7rocprim17ROCPRIM_400000_NS6detail17trampoline_kernelINS0_14default_configENS1_21merge_config_selectorINS0_5tupleIJiiEEENS0_10empty_typeEEEZNS1_10merge_implIS3_NS0_12zip_iteratorINS5_IJN6thrust23THRUST_200600_302600_NS6detail15normal_iteratorINSC_10device_ptrIKiEEEESI_EEEEESK_NSA_INS5_IJNSE_INSF_IiEEEESM_EEEEEPS7_SP_SP_NSC_11hip_rocprim7__merge17predicate_wrapperIiiNSC_4lessIiEEEEEE10hipError_tPvRmT0_T1_T2_T3_T4_T5_mmT6_P12ihipStream_tbEUlT_E_NS1_11comp_targetILNS1_3genE9ELNS1_11target_archE1100ELNS1_3gpuE3ELNS1_3repE0EEENS1_30default_config_static_selectorELNS0_4arch9wavefront6targetE0EEEvS10_
		.amdhsa_group_segment_fixed_size 0
		.amdhsa_private_segment_fixed_size 0
		.amdhsa_kernarg_size 64
		.amdhsa_user_sgpr_count 2
		.amdhsa_user_sgpr_dispatch_ptr 0
		.amdhsa_user_sgpr_queue_ptr 0
		.amdhsa_user_sgpr_kernarg_segment_ptr 1
		.amdhsa_user_sgpr_dispatch_id 0
		.amdhsa_user_sgpr_kernarg_preload_length 0
		.amdhsa_user_sgpr_kernarg_preload_offset 0
		.amdhsa_user_sgpr_private_segment_size 0
		.amdhsa_wavefront_size32 1
		.amdhsa_uses_dynamic_stack 0
		.amdhsa_enable_private_segment 0
		.amdhsa_system_sgpr_workgroup_id_x 1
		.amdhsa_system_sgpr_workgroup_id_y 0
		.amdhsa_system_sgpr_workgroup_id_z 0
		.amdhsa_system_sgpr_workgroup_info 0
		.amdhsa_system_vgpr_workitem_id 0
		.amdhsa_next_free_vgpr 1
		.amdhsa_next_free_sgpr 1
		.amdhsa_named_barrier_count 0
		.amdhsa_reserve_vcc 0
		.amdhsa_float_round_mode_32 0
		.amdhsa_float_round_mode_16_64 0
		.amdhsa_float_denorm_mode_32 3
		.amdhsa_float_denorm_mode_16_64 3
		.amdhsa_fp16_overflow 0
		.amdhsa_memory_ordered 1
		.amdhsa_forward_progress 1
		.amdhsa_inst_pref_size 0
		.amdhsa_round_robin_scheduling 0
		.amdhsa_exception_fp_ieee_invalid_op 0
		.amdhsa_exception_fp_denorm_src 0
		.amdhsa_exception_fp_ieee_div_zero 0
		.amdhsa_exception_fp_ieee_overflow 0
		.amdhsa_exception_fp_ieee_underflow 0
		.amdhsa_exception_fp_ieee_inexact 0
		.amdhsa_exception_int_div_zero 0
	.end_amdhsa_kernel
	.section	.text._ZN7rocprim17ROCPRIM_400000_NS6detail17trampoline_kernelINS0_14default_configENS1_21merge_config_selectorINS0_5tupleIJiiEEENS0_10empty_typeEEEZNS1_10merge_implIS3_NS0_12zip_iteratorINS5_IJN6thrust23THRUST_200600_302600_NS6detail15normal_iteratorINSC_10device_ptrIKiEEEESI_EEEEESK_NSA_INS5_IJNSE_INSF_IiEEEESM_EEEEEPS7_SP_SP_NSC_11hip_rocprim7__merge17predicate_wrapperIiiNSC_4lessIiEEEEEE10hipError_tPvRmT0_T1_T2_T3_T4_T5_mmT6_P12ihipStream_tbEUlT_E_NS1_11comp_targetILNS1_3genE9ELNS1_11target_archE1100ELNS1_3gpuE3ELNS1_3repE0EEENS1_30default_config_static_selectorELNS0_4arch9wavefront6targetE0EEEvS10_,"axG",@progbits,_ZN7rocprim17ROCPRIM_400000_NS6detail17trampoline_kernelINS0_14default_configENS1_21merge_config_selectorINS0_5tupleIJiiEEENS0_10empty_typeEEEZNS1_10merge_implIS3_NS0_12zip_iteratorINS5_IJN6thrust23THRUST_200600_302600_NS6detail15normal_iteratorINSC_10device_ptrIKiEEEESI_EEEEESK_NSA_INS5_IJNSE_INSF_IiEEEESM_EEEEEPS7_SP_SP_NSC_11hip_rocprim7__merge17predicate_wrapperIiiNSC_4lessIiEEEEEE10hipError_tPvRmT0_T1_T2_T3_T4_T5_mmT6_P12ihipStream_tbEUlT_E_NS1_11comp_targetILNS1_3genE9ELNS1_11target_archE1100ELNS1_3gpuE3ELNS1_3repE0EEENS1_30default_config_static_selectorELNS0_4arch9wavefront6targetE0EEEvS10_,comdat
.Lfunc_end250:
	.size	_ZN7rocprim17ROCPRIM_400000_NS6detail17trampoline_kernelINS0_14default_configENS1_21merge_config_selectorINS0_5tupleIJiiEEENS0_10empty_typeEEEZNS1_10merge_implIS3_NS0_12zip_iteratorINS5_IJN6thrust23THRUST_200600_302600_NS6detail15normal_iteratorINSC_10device_ptrIKiEEEESI_EEEEESK_NSA_INS5_IJNSE_INSF_IiEEEESM_EEEEEPS7_SP_SP_NSC_11hip_rocprim7__merge17predicate_wrapperIiiNSC_4lessIiEEEEEE10hipError_tPvRmT0_T1_T2_T3_T4_T5_mmT6_P12ihipStream_tbEUlT_E_NS1_11comp_targetILNS1_3genE9ELNS1_11target_archE1100ELNS1_3gpuE3ELNS1_3repE0EEENS1_30default_config_static_selectorELNS0_4arch9wavefront6targetE0EEEvS10_, .Lfunc_end250-_ZN7rocprim17ROCPRIM_400000_NS6detail17trampoline_kernelINS0_14default_configENS1_21merge_config_selectorINS0_5tupleIJiiEEENS0_10empty_typeEEEZNS1_10merge_implIS3_NS0_12zip_iteratorINS5_IJN6thrust23THRUST_200600_302600_NS6detail15normal_iteratorINSC_10device_ptrIKiEEEESI_EEEEESK_NSA_INS5_IJNSE_INSF_IiEEEESM_EEEEEPS7_SP_SP_NSC_11hip_rocprim7__merge17predicate_wrapperIiiNSC_4lessIiEEEEEE10hipError_tPvRmT0_T1_T2_T3_T4_T5_mmT6_P12ihipStream_tbEUlT_E_NS1_11comp_targetILNS1_3genE9ELNS1_11target_archE1100ELNS1_3gpuE3ELNS1_3repE0EEENS1_30default_config_static_selectorELNS0_4arch9wavefront6targetE0EEEvS10_
                                        ; -- End function
	.set _ZN7rocprim17ROCPRIM_400000_NS6detail17trampoline_kernelINS0_14default_configENS1_21merge_config_selectorINS0_5tupleIJiiEEENS0_10empty_typeEEEZNS1_10merge_implIS3_NS0_12zip_iteratorINS5_IJN6thrust23THRUST_200600_302600_NS6detail15normal_iteratorINSC_10device_ptrIKiEEEESI_EEEEESK_NSA_INS5_IJNSE_INSF_IiEEEESM_EEEEEPS7_SP_SP_NSC_11hip_rocprim7__merge17predicate_wrapperIiiNSC_4lessIiEEEEEE10hipError_tPvRmT0_T1_T2_T3_T4_T5_mmT6_P12ihipStream_tbEUlT_E_NS1_11comp_targetILNS1_3genE9ELNS1_11target_archE1100ELNS1_3gpuE3ELNS1_3repE0EEENS1_30default_config_static_selectorELNS0_4arch9wavefront6targetE0EEEvS10_.num_vgpr, 0
	.set _ZN7rocprim17ROCPRIM_400000_NS6detail17trampoline_kernelINS0_14default_configENS1_21merge_config_selectorINS0_5tupleIJiiEEENS0_10empty_typeEEEZNS1_10merge_implIS3_NS0_12zip_iteratorINS5_IJN6thrust23THRUST_200600_302600_NS6detail15normal_iteratorINSC_10device_ptrIKiEEEESI_EEEEESK_NSA_INS5_IJNSE_INSF_IiEEEESM_EEEEEPS7_SP_SP_NSC_11hip_rocprim7__merge17predicate_wrapperIiiNSC_4lessIiEEEEEE10hipError_tPvRmT0_T1_T2_T3_T4_T5_mmT6_P12ihipStream_tbEUlT_E_NS1_11comp_targetILNS1_3genE9ELNS1_11target_archE1100ELNS1_3gpuE3ELNS1_3repE0EEENS1_30default_config_static_selectorELNS0_4arch9wavefront6targetE0EEEvS10_.num_agpr, 0
	.set _ZN7rocprim17ROCPRIM_400000_NS6detail17trampoline_kernelINS0_14default_configENS1_21merge_config_selectorINS0_5tupleIJiiEEENS0_10empty_typeEEEZNS1_10merge_implIS3_NS0_12zip_iteratorINS5_IJN6thrust23THRUST_200600_302600_NS6detail15normal_iteratorINSC_10device_ptrIKiEEEESI_EEEEESK_NSA_INS5_IJNSE_INSF_IiEEEESM_EEEEEPS7_SP_SP_NSC_11hip_rocprim7__merge17predicate_wrapperIiiNSC_4lessIiEEEEEE10hipError_tPvRmT0_T1_T2_T3_T4_T5_mmT6_P12ihipStream_tbEUlT_E_NS1_11comp_targetILNS1_3genE9ELNS1_11target_archE1100ELNS1_3gpuE3ELNS1_3repE0EEENS1_30default_config_static_selectorELNS0_4arch9wavefront6targetE0EEEvS10_.numbered_sgpr, 0
	.set _ZN7rocprim17ROCPRIM_400000_NS6detail17trampoline_kernelINS0_14default_configENS1_21merge_config_selectorINS0_5tupleIJiiEEENS0_10empty_typeEEEZNS1_10merge_implIS3_NS0_12zip_iteratorINS5_IJN6thrust23THRUST_200600_302600_NS6detail15normal_iteratorINSC_10device_ptrIKiEEEESI_EEEEESK_NSA_INS5_IJNSE_INSF_IiEEEESM_EEEEEPS7_SP_SP_NSC_11hip_rocprim7__merge17predicate_wrapperIiiNSC_4lessIiEEEEEE10hipError_tPvRmT0_T1_T2_T3_T4_T5_mmT6_P12ihipStream_tbEUlT_E_NS1_11comp_targetILNS1_3genE9ELNS1_11target_archE1100ELNS1_3gpuE3ELNS1_3repE0EEENS1_30default_config_static_selectorELNS0_4arch9wavefront6targetE0EEEvS10_.num_named_barrier, 0
	.set _ZN7rocprim17ROCPRIM_400000_NS6detail17trampoline_kernelINS0_14default_configENS1_21merge_config_selectorINS0_5tupleIJiiEEENS0_10empty_typeEEEZNS1_10merge_implIS3_NS0_12zip_iteratorINS5_IJN6thrust23THRUST_200600_302600_NS6detail15normal_iteratorINSC_10device_ptrIKiEEEESI_EEEEESK_NSA_INS5_IJNSE_INSF_IiEEEESM_EEEEEPS7_SP_SP_NSC_11hip_rocprim7__merge17predicate_wrapperIiiNSC_4lessIiEEEEEE10hipError_tPvRmT0_T1_T2_T3_T4_T5_mmT6_P12ihipStream_tbEUlT_E_NS1_11comp_targetILNS1_3genE9ELNS1_11target_archE1100ELNS1_3gpuE3ELNS1_3repE0EEENS1_30default_config_static_selectorELNS0_4arch9wavefront6targetE0EEEvS10_.private_seg_size, 0
	.set _ZN7rocprim17ROCPRIM_400000_NS6detail17trampoline_kernelINS0_14default_configENS1_21merge_config_selectorINS0_5tupleIJiiEEENS0_10empty_typeEEEZNS1_10merge_implIS3_NS0_12zip_iteratorINS5_IJN6thrust23THRUST_200600_302600_NS6detail15normal_iteratorINSC_10device_ptrIKiEEEESI_EEEEESK_NSA_INS5_IJNSE_INSF_IiEEEESM_EEEEEPS7_SP_SP_NSC_11hip_rocprim7__merge17predicate_wrapperIiiNSC_4lessIiEEEEEE10hipError_tPvRmT0_T1_T2_T3_T4_T5_mmT6_P12ihipStream_tbEUlT_E_NS1_11comp_targetILNS1_3genE9ELNS1_11target_archE1100ELNS1_3gpuE3ELNS1_3repE0EEENS1_30default_config_static_selectorELNS0_4arch9wavefront6targetE0EEEvS10_.uses_vcc, 0
	.set _ZN7rocprim17ROCPRIM_400000_NS6detail17trampoline_kernelINS0_14default_configENS1_21merge_config_selectorINS0_5tupleIJiiEEENS0_10empty_typeEEEZNS1_10merge_implIS3_NS0_12zip_iteratorINS5_IJN6thrust23THRUST_200600_302600_NS6detail15normal_iteratorINSC_10device_ptrIKiEEEESI_EEEEESK_NSA_INS5_IJNSE_INSF_IiEEEESM_EEEEEPS7_SP_SP_NSC_11hip_rocprim7__merge17predicate_wrapperIiiNSC_4lessIiEEEEEE10hipError_tPvRmT0_T1_T2_T3_T4_T5_mmT6_P12ihipStream_tbEUlT_E_NS1_11comp_targetILNS1_3genE9ELNS1_11target_archE1100ELNS1_3gpuE3ELNS1_3repE0EEENS1_30default_config_static_selectorELNS0_4arch9wavefront6targetE0EEEvS10_.uses_flat_scratch, 0
	.set _ZN7rocprim17ROCPRIM_400000_NS6detail17trampoline_kernelINS0_14default_configENS1_21merge_config_selectorINS0_5tupleIJiiEEENS0_10empty_typeEEEZNS1_10merge_implIS3_NS0_12zip_iteratorINS5_IJN6thrust23THRUST_200600_302600_NS6detail15normal_iteratorINSC_10device_ptrIKiEEEESI_EEEEESK_NSA_INS5_IJNSE_INSF_IiEEEESM_EEEEEPS7_SP_SP_NSC_11hip_rocprim7__merge17predicate_wrapperIiiNSC_4lessIiEEEEEE10hipError_tPvRmT0_T1_T2_T3_T4_T5_mmT6_P12ihipStream_tbEUlT_E_NS1_11comp_targetILNS1_3genE9ELNS1_11target_archE1100ELNS1_3gpuE3ELNS1_3repE0EEENS1_30default_config_static_selectorELNS0_4arch9wavefront6targetE0EEEvS10_.has_dyn_sized_stack, 0
	.set _ZN7rocprim17ROCPRIM_400000_NS6detail17trampoline_kernelINS0_14default_configENS1_21merge_config_selectorINS0_5tupleIJiiEEENS0_10empty_typeEEEZNS1_10merge_implIS3_NS0_12zip_iteratorINS5_IJN6thrust23THRUST_200600_302600_NS6detail15normal_iteratorINSC_10device_ptrIKiEEEESI_EEEEESK_NSA_INS5_IJNSE_INSF_IiEEEESM_EEEEEPS7_SP_SP_NSC_11hip_rocprim7__merge17predicate_wrapperIiiNSC_4lessIiEEEEEE10hipError_tPvRmT0_T1_T2_T3_T4_T5_mmT6_P12ihipStream_tbEUlT_E_NS1_11comp_targetILNS1_3genE9ELNS1_11target_archE1100ELNS1_3gpuE3ELNS1_3repE0EEENS1_30default_config_static_selectorELNS0_4arch9wavefront6targetE0EEEvS10_.has_recursion, 0
	.set _ZN7rocprim17ROCPRIM_400000_NS6detail17trampoline_kernelINS0_14default_configENS1_21merge_config_selectorINS0_5tupleIJiiEEENS0_10empty_typeEEEZNS1_10merge_implIS3_NS0_12zip_iteratorINS5_IJN6thrust23THRUST_200600_302600_NS6detail15normal_iteratorINSC_10device_ptrIKiEEEESI_EEEEESK_NSA_INS5_IJNSE_INSF_IiEEEESM_EEEEEPS7_SP_SP_NSC_11hip_rocprim7__merge17predicate_wrapperIiiNSC_4lessIiEEEEEE10hipError_tPvRmT0_T1_T2_T3_T4_T5_mmT6_P12ihipStream_tbEUlT_E_NS1_11comp_targetILNS1_3genE9ELNS1_11target_archE1100ELNS1_3gpuE3ELNS1_3repE0EEENS1_30default_config_static_selectorELNS0_4arch9wavefront6targetE0EEEvS10_.has_indirect_call, 0
	.section	.AMDGPU.csdata,"",@progbits
; Kernel info:
; codeLenInByte = 0
; TotalNumSgprs: 0
; NumVgprs: 0
; ScratchSize: 0
; MemoryBound: 0
; FloatMode: 240
; IeeeMode: 1
; LDSByteSize: 0 bytes/workgroup (compile time only)
; SGPRBlocks: 0
; VGPRBlocks: 0
; NumSGPRsForWavesPerEU: 1
; NumVGPRsForWavesPerEU: 1
; NamedBarCnt: 0
; Occupancy: 16
; WaveLimiterHint : 0
; COMPUTE_PGM_RSRC2:SCRATCH_EN: 0
; COMPUTE_PGM_RSRC2:USER_SGPR: 2
; COMPUTE_PGM_RSRC2:TRAP_HANDLER: 0
; COMPUTE_PGM_RSRC2:TGID_X_EN: 1
; COMPUTE_PGM_RSRC2:TGID_Y_EN: 0
; COMPUTE_PGM_RSRC2:TGID_Z_EN: 0
; COMPUTE_PGM_RSRC2:TIDIG_COMP_CNT: 0
	.section	.text._ZN7rocprim17ROCPRIM_400000_NS6detail17trampoline_kernelINS0_14default_configENS1_21merge_config_selectorINS0_5tupleIJiiEEENS0_10empty_typeEEEZNS1_10merge_implIS3_NS0_12zip_iteratorINS5_IJN6thrust23THRUST_200600_302600_NS6detail15normal_iteratorINSC_10device_ptrIKiEEEESI_EEEEESK_NSA_INS5_IJNSE_INSF_IiEEEESM_EEEEEPS7_SP_SP_NSC_11hip_rocprim7__merge17predicate_wrapperIiiNSC_4lessIiEEEEEE10hipError_tPvRmT0_T1_T2_T3_T4_T5_mmT6_P12ihipStream_tbEUlT_E_NS1_11comp_targetILNS1_3genE8ELNS1_11target_archE1030ELNS1_3gpuE2ELNS1_3repE0EEENS1_30default_config_static_selectorELNS0_4arch9wavefront6targetE0EEEvS10_,"axG",@progbits,_ZN7rocprim17ROCPRIM_400000_NS6detail17trampoline_kernelINS0_14default_configENS1_21merge_config_selectorINS0_5tupleIJiiEEENS0_10empty_typeEEEZNS1_10merge_implIS3_NS0_12zip_iteratorINS5_IJN6thrust23THRUST_200600_302600_NS6detail15normal_iteratorINSC_10device_ptrIKiEEEESI_EEEEESK_NSA_INS5_IJNSE_INSF_IiEEEESM_EEEEEPS7_SP_SP_NSC_11hip_rocprim7__merge17predicate_wrapperIiiNSC_4lessIiEEEEEE10hipError_tPvRmT0_T1_T2_T3_T4_T5_mmT6_P12ihipStream_tbEUlT_E_NS1_11comp_targetILNS1_3genE8ELNS1_11target_archE1030ELNS1_3gpuE2ELNS1_3repE0EEENS1_30default_config_static_selectorELNS0_4arch9wavefront6targetE0EEEvS10_,comdat
	.protected	_ZN7rocprim17ROCPRIM_400000_NS6detail17trampoline_kernelINS0_14default_configENS1_21merge_config_selectorINS0_5tupleIJiiEEENS0_10empty_typeEEEZNS1_10merge_implIS3_NS0_12zip_iteratorINS5_IJN6thrust23THRUST_200600_302600_NS6detail15normal_iteratorINSC_10device_ptrIKiEEEESI_EEEEESK_NSA_INS5_IJNSE_INSF_IiEEEESM_EEEEEPS7_SP_SP_NSC_11hip_rocprim7__merge17predicate_wrapperIiiNSC_4lessIiEEEEEE10hipError_tPvRmT0_T1_T2_T3_T4_T5_mmT6_P12ihipStream_tbEUlT_E_NS1_11comp_targetILNS1_3genE8ELNS1_11target_archE1030ELNS1_3gpuE2ELNS1_3repE0EEENS1_30default_config_static_selectorELNS0_4arch9wavefront6targetE0EEEvS10_ ; -- Begin function _ZN7rocprim17ROCPRIM_400000_NS6detail17trampoline_kernelINS0_14default_configENS1_21merge_config_selectorINS0_5tupleIJiiEEENS0_10empty_typeEEEZNS1_10merge_implIS3_NS0_12zip_iteratorINS5_IJN6thrust23THRUST_200600_302600_NS6detail15normal_iteratorINSC_10device_ptrIKiEEEESI_EEEEESK_NSA_INS5_IJNSE_INSF_IiEEEESM_EEEEEPS7_SP_SP_NSC_11hip_rocprim7__merge17predicate_wrapperIiiNSC_4lessIiEEEEEE10hipError_tPvRmT0_T1_T2_T3_T4_T5_mmT6_P12ihipStream_tbEUlT_E_NS1_11comp_targetILNS1_3genE8ELNS1_11target_archE1030ELNS1_3gpuE2ELNS1_3repE0EEENS1_30default_config_static_selectorELNS0_4arch9wavefront6targetE0EEEvS10_
	.globl	_ZN7rocprim17ROCPRIM_400000_NS6detail17trampoline_kernelINS0_14default_configENS1_21merge_config_selectorINS0_5tupleIJiiEEENS0_10empty_typeEEEZNS1_10merge_implIS3_NS0_12zip_iteratorINS5_IJN6thrust23THRUST_200600_302600_NS6detail15normal_iteratorINSC_10device_ptrIKiEEEESI_EEEEESK_NSA_INS5_IJNSE_INSF_IiEEEESM_EEEEEPS7_SP_SP_NSC_11hip_rocprim7__merge17predicate_wrapperIiiNSC_4lessIiEEEEEE10hipError_tPvRmT0_T1_T2_T3_T4_T5_mmT6_P12ihipStream_tbEUlT_E_NS1_11comp_targetILNS1_3genE8ELNS1_11target_archE1030ELNS1_3gpuE2ELNS1_3repE0EEENS1_30default_config_static_selectorELNS0_4arch9wavefront6targetE0EEEvS10_
	.p2align	8
	.type	_ZN7rocprim17ROCPRIM_400000_NS6detail17trampoline_kernelINS0_14default_configENS1_21merge_config_selectorINS0_5tupleIJiiEEENS0_10empty_typeEEEZNS1_10merge_implIS3_NS0_12zip_iteratorINS5_IJN6thrust23THRUST_200600_302600_NS6detail15normal_iteratorINSC_10device_ptrIKiEEEESI_EEEEESK_NSA_INS5_IJNSE_INSF_IiEEEESM_EEEEEPS7_SP_SP_NSC_11hip_rocprim7__merge17predicate_wrapperIiiNSC_4lessIiEEEEEE10hipError_tPvRmT0_T1_T2_T3_T4_T5_mmT6_P12ihipStream_tbEUlT_E_NS1_11comp_targetILNS1_3genE8ELNS1_11target_archE1030ELNS1_3gpuE2ELNS1_3repE0EEENS1_30default_config_static_selectorELNS0_4arch9wavefront6targetE0EEEvS10_,@function
_ZN7rocprim17ROCPRIM_400000_NS6detail17trampoline_kernelINS0_14default_configENS1_21merge_config_selectorINS0_5tupleIJiiEEENS0_10empty_typeEEEZNS1_10merge_implIS3_NS0_12zip_iteratorINS5_IJN6thrust23THRUST_200600_302600_NS6detail15normal_iteratorINSC_10device_ptrIKiEEEESI_EEEEESK_NSA_INS5_IJNSE_INSF_IiEEEESM_EEEEEPS7_SP_SP_NSC_11hip_rocprim7__merge17predicate_wrapperIiiNSC_4lessIiEEEEEE10hipError_tPvRmT0_T1_T2_T3_T4_T5_mmT6_P12ihipStream_tbEUlT_E_NS1_11comp_targetILNS1_3genE8ELNS1_11target_archE1030ELNS1_3gpuE2ELNS1_3repE0EEENS1_30default_config_static_selectorELNS0_4arch9wavefront6targetE0EEEvS10_: ; @_ZN7rocprim17ROCPRIM_400000_NS6detail17trampoline_kernelINS0_14default_configENS1_21merge_config_selectorINS0_5tupleIJiiEEENS0_10empty_typeEEEZNS1_10merge_implIS3_NS0_12zip_iteratorINS5_IJN6thrust23THRUST_200600_302600_NS6detail15normal_iteratorINSC_10device_ptrIKiEEEESI_EEEEESK_NSA_INS5_IJNSE_INSF_IiEEEESM_EEEEEPS7_SP_SP_NSC_11hip_rocprim7__merge17predicate_wrapperIiiNSC_4lessIiEEEEEE10hipError_tPvRmT0_T1_T2_T3_T4_T5_mmT6_P12ihipStream_tbEUlT_E_NS1_11comp_targetILNS1_3genE8ELNS1_11target_archE1030ELNS1_3gpuE2ELNS1_3repE0EEENS1_30default_config_static_selectorELNS0_4arch9wavefront6targetE0EEEvS10_
; %bb.0:
	.section	.rodata,"a",@progbits
	.p2align	6, 0x0
	.amdhsa_kernel _ZN7rocprim17ROCPRIM_400000_NS6detail17trampoline_kernelINS0_14default_configENS1_21merge_config_selectorINS0_5tupleIJiiEEENS0_10empty_typeEEEZNS1_10merge_implIS3_NS0_12zip_iteratorINS5_IJN6thrust23THRUST_200600_302600_NS6detail15normal_iteratorINSC_10device_ptrIKiEEEESI_EEEEESK_NSA_INS5_IJNSE_INSF_IiEEEESM_EEEEEPS7_SP_SP_NSC_11hip_rocprim7__merge17predicate_wrapperIiiNSC_4lessIiEEEEEE10hipError_tPvRmT0_T1_T2_T3_T4_T5_mmT6_P12ihipStream_tbEUlT_E_NS1_11comp_targetILNS1_3genE8ELNS1_11target_archE1030ELNS1_3gpuE2ELNS1_3repE0EEENS1_30default_config_static_selectorELNS0_4arch9wavefront6targetE0EEEvS10_
		.amdhsa_group_segment_fixed_size 0
		.amdhsa_private_segment_fixed_size 0
		.amdhsa_kernarg_size 64
		.amdhsa_user_sgpr_count 2
		.amdhsa_user_sgpr_dispatch_ptr 0
		.amdhsa_user_sgpr_queue_ptr 0
		.amdhsa_user_sgpr_kernarg_segment_ptr 1
		.amdhsa_user_sgpr_dispatch_id 0
		.amdhsa_user_sgpr_kernarg_preload_length 0
		.amdhsa_user_sgpr_kernarg_preload_offset 0
		.amdhsa_user_sgpr_private_segment_size 0
		.amdhsa_wavefront_size32 1
		.amdhsa_uses_dynamic_stack 0
		.amdhsa_enable_private_segment 0
		.amdhsa_system_sgpr_workgroup_id_x 1
		.amdhsa_system_sgpr_workgroup_id_y 0
		.amdhsa_system_sgpr_workgroup_id_z 0
		.amdhsa_system_sgpr_workgroup_info 0
		.amdhsa_system_vgpr_workitem_id 0
		.amdhsa_next_free_vgpr 1
		.amdhsa_next_free_sgpr 1
		.amdhsa_named_barrier_count 0
		.amdhsa_reserve_vcc 0
		.amdhsa_float_round_mode_32 0
		.amdhsa_float_round_mode_16_64 0
		.amdhsa_float_denorm_mode_32 3
		.amdhsa_float_denorm_mode_16_64 3
		.amdhsa_fp16_overflow 0
		.amdhsa_memory_ordered 1
		.amdhsa_forward_progress 1
		.amdhsa_inst_pref_size 0
		.amdhsa_round_robin_scheduling 0
		.amdhsa_exception_fp_ieee_invalid_op 0
		.amdhsa_exception_fp_denorm_src 0
		.amdhsa_exception_fp_ieee_div_zero 0
		.amdhsa_exception_fp_ieee_overflow 0
		.amdhsa_exception_fp_ieee_underflow 0
		.amdhsa_exception_fp_ieee_inexact 0
		.amdhsa_exception_int_div_zero 0
	.end_amdhsa_kernel
	.section	.text._ZN7rocprim17ROCPRIM_400000_NS6detail17trampoline_kernelINS0_14default_configENS1_21merge_config_selectorINS0_5tupleIJiiEEENS0_10empty_typeEEEZNS1_10merge_implIS3_NS0_12zip_iteratorINS5_IJN6thrust23THRUST_200600_302600_NS6detail15normal_iteratorINSC_10device_ptrIKiEEEESI_EEEEESK_NSA_INS5_IJNSE_INSF_IiEEEESM_EEEEEPS7_SP_SP_NSC_11hip_rocprim7__merge17predicate_wrapperIiiNSC_4lessIiEEEEEE10hipError_tPvRmT0_T1_T2_T3_T4_T5_mmT6_P12ihipStream_tbEUlT_E_NS1_11comp_targetILNS1_3genE8ELNS1_11target_archE1030ELNS1_3gpuE2ELNS1_3repE0EEENS1_30default_config_static_selectorELNS0_4arch9wavefront6targetE0EEEvS10_,"axG",@progbits,_ZN7rocprim17ROCPRIM_400000_NS6detail17trampoline_kernelINS0_14default_configENS1_21merge_config_selectorINS0_5tupleIJiiEEENS0_10empty_typeEEEZNS1_10merge_implIS3_NS0_12zip_iteratorINS5_IJN6thrust23THRUST_200600_302600_NS6detail15normal_iteratorINSC_10device_ptrIKiEEEESI_EEEEESK_NSA_INS5_IJNSE_INSF_IiEEEESM_EEEEEPS7_SP_SP_NSC_11hip_rocprim7__merge17predicate_wrapperIiiNSC_4lessIiEEEEEE10hipError_tPvRmT0_T1_T2_T3_T4_T5_mmT6_P12ihipStream_tbEUlT_E_NS1_11comp_targetILNS1_3genE8ELNS1_11target_archE1030ELNS1_3gpuE2ELNS1_3repE0EEENS1_30default_config_static_selectorELNS0_4arch9wavefront6targetE0EEEvS10_,comdat
.Lfunc_end251:
	.size	_ZN7rocprim17ROCPRIM_400000_NS6detail17trampoline_kernelINS0_14default_configENS1_21merge_config_selectorINS0_5tupleIJiiEEENS0_10empty_typeEEEZNS1_10merge_implIS3_NS0_12zip_iteratorINS5_IJN6thrust23THRUST_200600_302600_NS6detail15normal_iteratorINSC_10device_ptrIKiEEEESI_EEEEESK_NSA_INS5_IJNSE_INSF_IiEEEESM_EEEEEPS7_SP_SP_NSC_11hip_rocprim7__merge17predicate_wrapperIiiNSC_4lessIiEEEEEE10hipError_tPvRmT0_T1_T2_T3_T4_T5_mmT6_P12ihipStream_tbEUlT_E_NS1_11comp_targetILNS1_3genE8ELNS1_11target_archE1030ELNS1_3gpuE2ELNS1_3repE0EEENS1_30default_config_static_selectorELNS0_4arch9wavefront6targetE0EEEvS10_, .Lfunc_end251-_ZN7rocprim17ROCPRIM_400000_NS6detail17trampoline_kernelINS0_14default_configENS1_21merge_config_selectorINS0_5tupleIJiiEEENS0_10empty_typeEEEZNS1_10merge_implIS3_NS0_12zip_iteratorINS5_IJN6thrust23THRUST_200600_302600_NS6detail15normal_iteratorINSC_10device_ptrIKiEEEESI_EEEEESK_NSA_INS5_IJNSE_INSF_IiEEEESM_EEEEEPS7_SP_SP_NSC_11hip_rocprim7__merge17predicate_wrapperIiiNSC_4lessIiEEEEEE10hipError_tPvRmT0_T1_T2_T3_T4_T5_mmT6_P12ihipStream_tbEUlT_E_NS1_11comp_targetILNS1_3genE8ELNS1_11target_archE1030ELNS1_3gpuE2ELNS1_3repE0EEENS1_30default_config_static_selectorELNS0_4arch9wavefront6targetE0EEEvS10_
                                        ; -- End function
	.set _ZN7rocprim17ROCPRIM_400000_NS6detail17trampoline_kernelINS0_14default_configENS1_21merge_config_selectorINS0_5tupleIJiiEEENS0_10empty_typeEEEZNS1_10merge_implIS3_NS0_12zip_iteratorINS5_IJN6thrust23THRUST_200600_302600_NS6detail15normal_iteratorINSC_10device_ptrIKiEEEESI_EEEEESK_NSA_INS5_IJNSE_INSF_IiEEEESM_EEEEEPS7_SP_SP_NSC_11hip_rocprim7__merge17predicate_wrapperIiiNSC_4lessIiEEEEEE10hipError_tPvRmT0_T1_T2_T3_T4_T5_mmT6_P12ihipStream_tbEUlT_E_NS1_11comp_targetILNS1_3genE8ELNS1_11target_archE1030ELNS1_3gpuE2ELNS1_3repE0EEENS1_30default_config_static_selectorELNS0_4arch9wavefront6targetE0EEEvS10_.num_vgpr, 0
	.set _ZN7rocprim17ROCPRIM_400000_NS6detail17trampoline_kernelINS0_14default_configENS1_21merge_config_selectorINS0_5tupleIJiiEEENS0_10empty_typeEEEZNS1_10merge_implIS3_NS0_12zip_iteratorINS5_IJN6thrust23THRUST_200600_302600_NS6detail15normal_iteratorINSC_10device_ptrIKiEEEESI_EEEEESK_NSA_INS5_IJNSE_INSF_IiEEEESM_EEEEEPS7_SP_SP_NSC_11hip_rocprim7__merge17predicate_wrapperIiiNSC_4lessIiEEEEEE10hipError_tPvRmT0_T1_T2_T3_T4_T5_mmT6_P12ihipStream_tbEUlT_E_NS1_11comp_targetILNS1_3genE8ELNS1_11target_archE1030ELNS1_3gpuE2ELNS1_3repE0EEENS1_30default_config_static_selectorELNS0_4arch9wavefront6targetE0EEEvS10_.num_agpr, 0
	.set _ZN7rocprim17ROCPRIM_400000_NS6detail17trampoline_kernelINS0_14default_configENS1_21merge_config_selectorINS0_5tupleIJiiEEENS0_10empty_typeEEEZNS1_10merge_implIS3_NS0_12zip_iteratorINS5_IJN6thrust23THRUST_200600_302600_NS6detail15normal_iteratorINSC_10device_ptrIKiEEEESI_EEEEESK_NSA_INS5_IJNSE_INSF_IiEEEESM_EEEEEPS7_SP_SP_NSC_11hip_rocprim7__merge17predicate_wrapperIiiNSC_4lessIiEEEEEE10hipError_tPvRmT0_T1_T2_T3_T4_T5_mmT6_P12ihipStream_tbEUlT_E_NS1_11comp_targetILNS1_3genE8ELNS1_11target_archE1030ELNS1_3gpuE2ELNS1_3repE0EEENS1_30default_config_static_selectorELNS0_4arch9wavefront6targetE0EEEvS10_.numbered_sgpr, 0
	.set _ZN7rocprim17ROCPRIM_400000_NS6detail17trampoline_kernelINS0_14default_configENS1_21merge_config_selectorINS0_5tupleIJiiEEENS0_10empty_typeEEEZNS1_10merge_implIS3_NS0_12zip_iteratorINS5_IJN6thrust23THRUST_200600_302600_NS6detail15normal_iteratorINSC_10device_ptrIKiEEEESI_EEEEESK_NSA_INS5_IJNSE_INSF_IiEEEESM_EEEEEPS7_SP_SP_NSC_11hip_rocprim7__merge17predicate_wrapperIiiNSC_4lessIiEEEEEE10hipError_tPvRmT0_T1_T2_T3_T4_T5_mmT6_P12ihipStream_tbEUlT_E_NS1_11comp_targetILNS1_3genE8ELNS1_11target_archE1030ELNS1_3gpuE2ELNS1_3repE0EEENS1_30default_config_static_selectorELNS0_4arch9wavefront6targetE0EEEvS10_.num_named_barrier, 0
	.set _ZN7rocprim17ROCPRIM_400000_NS6detail17trampoline_kernelINS0_14default_configENS1_21merge_config_selectorINS0_5tupleIJiiEEENS0_10empty_typeEEEZNS1_10merge_implIS3_NS0_12zip_iteratorINS5_IJN6thrust23THRUST_200600_302600_NS6detail15normal_iteratorINSC_10device_ptrIKiEEEESI_EEEEESK_NSA_INS5_IJNSE_INSF_IiEEEESM_EEEEEPS7_SP_SP_NSC_11hip_rocprim7__merge17predicate_wrapperIiiNSC_4lessIiEEEEEE10hipError_tPvRmT0_T1_T2_T3_T4_T5_mmT6_P12ihipStream_tbEUlT_E_NS1_11comp_targetILNS1_3genE8ELNS1_11target_archE1030ELNS1_3gpuE2ELNS1_3repE0EEENS1_30default_config_static_selectorELNS0_4arch9wavefront6targetE0EEEvS10_.private_seg_size, 0
	.set _ZN7rocprim17ROCPRIM_400000_NS6detail17trampoline_kernelINS0_14default_configENS1_21merge_config_selectorINS0_5tupleIJiiEEENS0_10empty_typeEEEZNS1_10merge_implIS3_NS0_12zip_iteratorINS5_IJN6thrust23THRUST_200600_302600_NS6detail15normal_iteratorINSC_10device_ptrIKiEEEESI_EEEEESK_NSA_INS5_IJNSE_INSF_IiEEEESM_EEEEEPS7_SP_SP_NSC_11hip_rocprim7__merge17predicate_wrapperIiiNSC_4lessIiEEEEEE10hipError_tPvRmT0_T1_T2_T3_T4_T5_mmT6_P12ihipStream_tbEUlT_E_NS1_11comp_targetILNS1_3genE8ELNS1_11target_archE1030ELNS1_3gpuE2ELNS1_3repE0EEENS1_30default_config_static_selectorELNS0_4arch9wavefront6targetE0EEEvS10_.uses_vcc, 0
	.set _ZN7rocprim17ROCPRIM_400000_NS6detail17trampoline_kernelINS0_14default_configENS1_21merge_config_selectorINS0_5tupleIJiiEEENS0_10empty_typeEEEZNS1_10merge_implIS3_NS0_12zip_iteratorINS5_IJN6thrust23THRUST_200600_302600_NS6detail15normal_iteratorINSC_10device_ptrIKiEEEESI_EEEEESK_NSA_INS5_IJNSE_INSF_IiEEEESM_EEEEEPS7_SP_SP_NSC_11hip_rocprim7__merge17predicate_wrapperIiiNSC_4lessIiEEEEEE10hipError_tPvRmT0_T1_T2_T3_T4_T5_mmT6_P12ihipStream_tbEUlT_E_NS1_11comp_targetILNS1_3genE8ELNS1_11target_archE1030ELNS1_3gpuE2ELNS1_3repE0EEENS1_30default_config_static_selectorELNS0_4arch9wavefront6targetE0EEEvS10_.uses_flat_scratch, 0
	.set _ZN7rocprim17ROCPRIM_400000_NS6detail17trampoline_kernelINS0_14default_configENS1_21merge_config_selectorINS0_5tupleIJiiEEENS0_10empty_typeEEEZNS1_10merge_implIS3_NS0_12zip_iteratorINS5_IJN6thrust23THRUST_200600_302600_NS6detail15normal_iteratorINSC_10device_ptrIKiEEEESI_EEEEESK_NSA_INS5_IJNSE_INSF_IiEEEESM_EEEEEPS7_SP_SP_NSC_11hip_rocprim7__merge17predicate_wrapperIiiNSC_4lessIiEEEEEE10hipError_tPvRmT0_T1_T2_T3_T4_T5_mmT6_P12ihipStream_tbEUlT_E_NS1_11comp_targetILNS1_3genE8ELNS1_11target_archE1030ELNS1_3gpuE2ELNS1_3repE0EEENS1_30default_config_static_selectorELNS0_4arch9wavefront6targetE0EEEvS10_.has_dyn_sized_stack, 0
	.set _ZN7rocprim17ROCPRIM_400000_NS6detail17trampoline_kernelINS0_14default_configENS1_21merge_config_selectorINS0_5tupleIJiiEEENS0_10empty_typeEEEZNS1_10merge_implIS3_NS0_12zip_iteratorINS5_IJN6thrust23THRUST_200600_302600_NS6detail15normal_iteratorINSC_10device_ptrIKiEEEESI_EEEEESK_NSA_INS5_IJNSE_INSF_IiEEEESM_EEEEEPS7_SP_SP_NSC_11hip_rocprim7__merge17predicate_wrapperIiiNSC_4lessIiEEEEEE10hipError_tPvRmT0_T1_T2_T3_T4_T5_mmT6_P12ihipStream_tbEUlT_E_NS1_11comp_targetILNS1_3genE8ELNS1_11target_archE1030ELNS1_3gpuE2ELNS1_3repE0EEENS1_30default_config_static_selectorELNS0_4arch9wavefront6targetE0EEEvS10_.has_recursion, 0
	.set _ZN7rocprim17ROCPRIM_400000_NS6detail17trampoline_kernelINS0_14default_configENS1_21merge_config_selectorINS0_5tupleIJiiEEENS0_10empty_typeEEEZNS1_10merge_implIS3_NS0_12zip_iteratorINS5_IJN6thrust23THRUST_200600_302600_NS6detail15normal_iteratorINSC_10device_ptrIKiEEEESI_EEEEESK_NSA_INS5_IJNSE_INSF_IiEEEESM_EEEEEPS7_SP_SP_NSC_11hip_rocprim7__merge17predicate_wrapperIiiNSC_4lessIiEEEEEE10hipError_tPvRmT0_T1_T2_T3_T4_T5_mmT6_P12ihipStream_tbEUlT_E_NS1_11comp_targetILNS1_3genE8ELNS1_11target_archE1030ELNS1_3gpuE2ELNS1_3repE0EEENS1_30default_config_static_selectorELNS0_4arch9wavefront6targetE0EEEvS10_.has_indirect_call, 0
	.section	.AMDGPU.csdata,"",@progbits
; Kernel info:
; codeLenInByte = 0
; TotalNumSgprs: 0
; NumVgprs: 0
; ScratchSize: 0
; MemoryBound: 0
; FloatMode: 240
; IeeeMode: 1
; LDSByteSize: 0 bytes/workgroup (compile time only)
; SGPRBlocks: 0
; VGPRBlocks: 0
; NumSGPRsForWavesPerEU: 1
; NumVGPRsForWavesPerEU: 1
; NamedBarCnt: 0
; Occupancy: 16
; WaveLimiterHint : 0
; COMPUTE_PGM_RSRC2:SCRATCH_EN: 0
; COMPUTE_PGM_RSRC2:USER_SGPR: 2
; COMPUTE_PGM_RSRC2:TRAP_HANDLER: 0
; COMPUTE_PGM_RSRC2:TGID_X_EN: 1
; COMPUTE_PGM_RSRC2:TGID_Y_EN: 0
; COMPUTE_PGM_RSRC2:TGID_Z_EN: 0
; COMPUTE_PGM_RSRC2:TIDIG_COMP_CNT: 0
	.section	.text._ZN7rocprim17ROCPRIM_400000_NS6detail17trampoline_kernelINS0_14default_configENS1_21merge_config_selectorINS0_5tupleIJiiEEENS0_10empty_typeEEEZNS1_10merge_implIS3_NS0_12zip_iteratorINS5_IJN6thrust23THRUST_200600_302600_NS6detail15normal_iteratorINSC_10device_ptrIKiEEEESI_EEEEESK_NSA_INS5_IJNSE_INSF_IiEEEESM_EEEEEPS7_SP_SP_NSC_11hip_rocprim7__merge17predicate_wrapperIiiNSC_4lessIiEEEEEE10hipError_tPvRmT0_T1_T2_T3_T4_T5_mmT6_P12ihipStream_tbEUlT_E0_NS1_11comp_targetILNS1_3genE0ELNS1_11target_archE4294967295ELNS1_3gpuE0ELNS1_3repE0EEENS1_30default_config_static_selectorELNS0_4arch9wavefront6targetE0EEEvS10_,"axG",@progbits,_ZN7rocprim17ROCPRIM_400000_NS6detail17trampoline_kernelINS0_14default_configENS1_21merge_config_selectorINS0_5tupleIJiiEEENS0_10empty_typeEEEZNS1_10merge_implIS3_NS0_12zip_iteratorINS5_IJN6thrust23THRUST_200600_302600_NS6detail15normal_iteratorINSC_10device_ptrIKiEEEESI_EEEEESK_NSA_INS5_IJNSE_INSF_IiEEEESM_EEEEEPS7_SP_SP_NSC_11hip_rocprim7__merge17predicate_wrapperIiiNSC_4lessIiEEEEEE10hipError_tPvRmT0_T1_T2_T3_T4_T5_mmT6_P12ihipStream_tbEUlT_E0_NS1_11comp_targetILNS1_3genE0ELNS1_11target_archE4294967295ELNS1_3gpuE0ELNS1_3repE0EEENS1_30default_config_static_selectorELNS0_4arch9wavefront6targetE0EEEvS10_,comdat
	.protected	_ZN7rocprim17ROCPRIM_400000_NS6detail17trampoline_kernelINS0_14default_configENS1_21merge_config_selectorINS0_5tupleIJiiEEENS0_10empty_typeEEEZNS1_10merge_implIS3_NS0_12zip_iteratorINS5_IJN6thrust23THRUST_200600_302600_NS6detail15normal_iteratorINSC_10device_ptrIKiEEEESI_EEEEESK_NSA_INS5_IJNSE_INSF_IiEEEESM_EEEEEPS7_SP_SP_NSC_11hip_rocprim7__merge17predicate_wrapperIiiNSC_4lessIiEEEEEE10hipError_tPvRmT0_T1_T2_T3_T4_T5_mmT6_P12ihipStream_tbEUlT_E0_NS1_11comp_targetILNS1_3genE0ELNS1_11target_archE4294967295ELNS1_3gpuE0ELNS1_3repE0EEENS1_30default_config_static_selectorELNS0_4arch9wavefront6targetE0EEEvS10_ ; -- Begin function _ZN7rocprim17ROCPRIM_400000_NS6detail17trampoline_kernelINS0_14default_configENS1_21merge_config_selectorINS0_5tupleIJiiEEENS0_10empty_typeEEEZNS1_10merge_implIS3_NS0_12zip_iteratorINS5_IJN6thrust23THRUST_200600_302600_NS6detail15normal_iteratorINSC_10device_ptrIKiEEEESI_EEEEESK_NSA_INS5_IJNSE_INSF_IiEEEESM_EEEEEPS7_SP_SP_NSC_11hip_rocprim7__merge17predicate_wrapperIiiNSC_4lessIiEEEEEE10hipError_tPvRmT0_T1_T2_T3_T4_T5_mmT6_P12ihipStream_tbEUlT_E0_NS1_11comp_targetILNS1_3genE0ELNS1_11target_archE4294967295ELNS1_3gpuE0ELNS1_3repE0EEENS1_30default_config_static_selectorELNS0_4arch9wavefront6targetE0EEEvS10_
	.globl	_ZN7rocprim17ROCPRIM_400000_NS6detail17trampoline_kernelINS0_14default_configENS1_21merge_config_selectorINS0_5tupleIJiiEEENS0_10empty_typeEEEZNS1_10merge_implIS3_NS0_12zip_iteratorINS5_IJN6thrust23THRUST_200600_302600_NS6detail15normal_iteratorINSC_10device_ptrIKiEEEESI_EEEEESK_NSA_INS5_IJNSE_INSF_IiEEEESM_EEEEEPS7_SP_SP_NSC_11hip_rocprim7__merge17predicate_wrapperIiiNSC_4lessIiEEEEEE10hipError_tPvRmT0_T1_T2_T3_T4_T5_mmT6_P12ihipStream_tbEUlT_E0_NS1_11comp_targetILNS1_3genE0ELNS1_11target_archE4294967295ELNS1_3gpuE0ELNS1_3repE0EEENS1_30default_config_static_selectorELNS0_4arch9wavefront6targetE0EEEvS10_
	.p2align	8
	.type	_ZN7rocprim17ROCPRIM_400000_NS6detail17trampoline_kernelINS0_14default_configENS1_21merge_config_selectorINS0_5tupleIJiiEEENS0_10empty_typeEEEZNS1_10merge_implIS3_NS0_12zip_iteratorINS5_IJN6thrust23THRUST_200600_302600_NS6detail15normal_iteratorINSC_10device_ptrIKiEEEESI_EEEEESK_NSA_INS5_IJNSE_INSF_IiEEEESM_EEEEEPS7_SP_SP_NSC_11hip_rocprim7__merge17predicate_wrapperIiiNSC_4lessIiEEEEEE10hipError_tPvRmT0_T1_T2_T3_T4_T5_mmT6_P12ihipStream_tbEUlT_E0_NS1_11comp_targetILNS1_3genE0ELNS1_11target_archE4294967295ELNS1_3gpuE0ELNS1_3repE0EEENS1_30default_config_static_selectorELNS0_4arch9wavefront6targetE0EEEvS10_,@function
_ZN7rocprim17ROCPRIM_400000_NS6detail17trampoline_kernelINS0_14default_configENS1_21merge_config_selectorINS0_5tupleIJiiEEENS0_10empty_typeEEEZNS1_10merge_implIS3_NS0_12zip_iteratorINS5_IJN6thrust23THRUST_200600_302600_NS6detail15normal_iteratorINSC_10device_ptrIKiEEEESI_EEEEESK_NSA_INS5_IJNSE_INSF_IiEEEESM_EEEEEPS7_SP_SP_NSC_11hip_rocprim7__merge17predicate_wrapperIiiNSC_4lessIiEEEEEE10hipError_tPvRmT0_T1_T2_T3_T4_T5_mmT6_P12ihipStream_tbEUlT_E0_NS1_11comp_targetILNS1_3genE0ELNS1_11target_archE4294967295ELNS1_3gpuE0ELNS1_3repE0EEENS1_30default_config_static_selectorELNS0_4arch9wavefront6targetE0EEEvS10_: ; @_ZN7rocprim17ROCPRIM_400000_NS6detail17trampoline_kernelINS0_14default_configENS1_21merge_config_selectorINS0_5tupleIJiiEEENS0_10empty_typeEEEZNS1_10merge_implIS3_NS0_12zip_iteratorINS5_IJN6thrust23THRUST_200600_302600_NS6detail15normal_iteratorINSC_10device_ptrIKiEEEESI_EEEEESK_NSA_INS5_IJNSE_INSF_IiEEEESM_EEEEEPS7_SP_SP_NSC_11hip_rocprim7__merge17predicate_wrapperIiiNSC_4lessIiEEEEEE10hipError_tPvRmT0_T1_T2_T3_T4_T5_mmT6_P12ihipStream_tbEUlT_E0_NS1_11comp_targetILNS1_3genE0ELNS1_11target_archE4294967295ELNS1_3gpuE0ELNS1_3repE0EEENS1_30default_config_static_selectorELNS0_4arch9wavefront6targetE0EEEvS10_
; %bb.0:
	s_clause 0x1
	s_load_b128 s[12:15], s[0:1], 0x58
	s_load_b256 s[4:11], s[0:1], 0x8
	s_bfe_u32 s2, ttmp6, 0x4000c
	s_and_b32 s3, ttmp6, 15
	s_add_co_i32 s2, s2, 1
	s_wait_kmcnt 0x0
	s_getreg_b32 s13, hwreg(HW_REG_IB_STS2, 6, 4)
	s_mul_i32 s2, ttmp9, s2
	s_mov_b32 s19, 0
	s_add_co_i32 s3, s3, s2
	s_cmp_eq_u32 s13, 0
	v_mov_b32_e32 v1, 0
	s_cselect_b32 s2, ttmp9, s3
	s_add_co_i32 s24, s14, s12
	s_add_co_i32 s12, s2, 1
	;; [unrolled: 1-line block ×3, first 2 shown]
	s_delay_alu instid0(SALU_CYCLE_1) | instskip(NEXT) | instid1(SALU_CYCLE_1)
	s_lshr_b32 s3, s3, 8
	s_mul_hi_u32 s3, s3, 0x24924925
	s_delay_alu instid0(SALU_CYCLE_1)
	s_min_u32 s16, s2, s3
	s_min_u32 s3, s12, s3
	s_clause 0x1
	s_load_b32 s18, s[4:5], s16 offset:0x0 scale_offset
	s_load_b32 s17, s[4:5], s3 offset:0x0 scale_offset
	s_load_b128 s[12:15], s[0:1], 0x28
	s_wait_xcnt 0x0
	s_mul_i32 s16, s2, 0x700
	s_mov_b32 s3, s19
	s_add_co_i32 s2, s16, 0x700
	s_delay_alu instid0(SALU_CYCLE_1)
	s_min_u32 s25, s24, s2
	s_wait_kmcnt 0x0
	s_sub_co_i32 s2, s16, s18
	s_lshl_b64 s[22:23], s[18:19], 2
	s_lshl_b64 s[20:21], s[2:3], 2
	s_add_co_i32 s2, s2, s17
	s_sub_co_i32 s18, s17, s18
	s_sub_co_i32 s2, s25, s2
	s_add_nc_u64 s[4:5], s[10:11], s[20:21]
	s_add_nc_u64 s[10:11], s[12:13], s[20:21]
	;; [unrolled: 1-line block ×3, first 2 shown]
	s_mov_b32 s3, exec_lo
	v_cmpx_le_u32_e64 s18, v0
	s_xor_b32 s3, exec_lo, s3
	s_cbranch_execz .LBB252_4
; %bb.1:
	s_mov_b32 s12, exec_lo
	v_cmpx_gt_u64_e64 s[20:21], v[0:1]
	s_cbranch_execz .LBB252_3
; %bb.2:
	v_subrev_nc_u32_e32 v4, s18, v0
	s_clause 0x1
	global_load_b32 v2, v4, s[4:5] scale_offset
	global_load_b32 v3, v4, s[10:11] scale_offset
	s_wait_xcnt 0x0
	v_lshlrev_b32_e32 v4, 3, v0
	s_wait_loadcnt 0x0
	ds_store_b64 v4, v[2:3]
.LBB252_3:
	s_or_b32 exec_lo, exec_lo, s12
.LBB252_4:
	s_or_saveexec_b32 s3, s3
	v_lshlrev_b32_e32 v2, 3, v0
	s_add_nc_u64 s[6:7], s[6:7], s[22:23]
	s_add_nc_u64 s[12:13], s[8:9], s[22:23]
	s_xor_b32 exec_lo, exec_lo, s3
	s_cbranch_execz .LBB252_6
; %bb.5:
	s_clause 0x1
	global_load_b32 v4, v0, s[6:7] scale_offset
	global_load_b32 v5, v0, s[12:13] scale_offset
	s_wait_loadcnt 0x0
	ds_store_b64 v2, v[4:5]
.LBB252_6:
	s_or_b32 exec_lo, exec_lo, s3
	v_or_b32_e32 v14, 0x100, v0
	v_mov_b32_e32 v15, 0
	s_mov_b32 s3, exec_lo
	s_delay_alu instid0(VALU_DEP_2)
	v_cmpx_le_u32_e64 s18, v14
	s_xor_b32 s3, exec_lo, s3
	s_cbranch_execz .LBB252_10
; %bb.7:
	s_mov_b32 s8, exec_lo
	v_cmpx_gt_u64_e64 s[20:21], v[14:15]
	s_cbranch_execz .LBB252_9
; %bb.8:
	v_sub_nc_u64_e64 v[4:5], v[0:1], s[18:19]
	s_delay_alu instid0(VALU_DEP_1) | instskip(NEXT) | instid1(VALU_DEP_1)
	v_lshlrev_b64_e32 v[4:5], 2, v[4:5]
	v_add_nc_u64_e32 v[6:7], s[4:5], v[4:5]
	v_add_nc_u64_e32 v[4:5], s[10:11], v[4:5]
	global_load_b32 v8, v[6:7], off offset:1024
	global_load_b32 v9, v[4:5], off offset:1024
	s_wait_loadcnt 0x0
	ds_store_b64 v2, v[8:9] offset:2048
.LBB252_9:
	s_or_b32 exec_lo, exec_lo, s8
.LBB252_10:
	s_and_not1_saveexec_b32 s3, s3
	s_cbranch_execz .LBB252_12
; %bb.11:
	s_clause 0x1
	global_load_b32 v4, v0, s[6:7] offset:1024 scale_offset
	global_load_b32 v5, v0, s[12:13] offset:1024 scale_offset
	s_wait_loadcnt 0x0
	ds_store_b64 v2, v[4:5] offset:2048
.LBB252_12:
	s_or_b32 exec_lo, exec_lo, s3
	v_or_b32_e32 v16, 0x200, v0
	v_mov_b32_e32 v17, 0
	s_mov_b32 s3, exec_lo
	s_delay_alu instid0(VALU_DEP_2)
	v_cmpx_le_u32_e64 s18, v16
	s_xor_b32 s3, exec_lo, s3
	s_cbranch_execz .LBB252_16
; %bb.13:
	s_mov_b32 s8, exec_lo
	v_cmpx_gt_u64_e64 s[20:21], v[16:17]
	s_cbranch_execz .LBB252_15
; %bb.14:
	v_sub_nc_u64_e64 v[4:5], v[0:1], s[18:19]
	s_delay_alu instid0(VALU_DEP_1) | instskip(NEXT) | instid1(VALU_DEP_1)
	v_lshlrev_b64_e32 v[4:5], 2, v[4:5]
	v_add_nc_u64_e32 v[6:7], s[4:5], v[4:5]
	v_add_nc_u64_e32 v[4:5], s[10:11], v[4:5]
	global_load_b32 v8, v[6:7], off offset:2048
	global_load_b32 v9, v[4:5], off offset:2048
	s_wait_loadcnt 0x0
	ds_store_b64 v2, v[8:9] offset:4096
.LBB252_15:
	s_or_b32 exec_lo, exec_lo, s8
.LBB252_16:
	s_and_not1_saveexec_b32 s3, s3
	s_cbranch_execz .LBB252_18
; %bb.17:
	s_clause 0x1
	global_load_b32 v4, v0, s[6:7] offset:2048 scale_offset
	global_load_b32 v5, v0, s[12:13] offset:2048 scale_offset
	s_wait_loadcnt 0x0
	ds_store_b64 v2, v[4:5] offset:4096
.LBB252_18:
	;; [unrolled: 34-line block ×5, first 2 shown]
	s_or_b32 exec_lo, exec_lo, s3
	v_or_b32_e32 v24, 0x600, v0
	v_mov_b32_e32 v25, 0
	s_mov_b32 s3, exec_lo
	s_delay_alu instid0(VALU_DEP_2)
	v_cmpx_le_u32_e64 s18, v24
	s_xor_b32 s3, exec_lo, s3
	s_cbranch_execz .LBB252_40
; %bb.37:
	s_mov_b32 s8, exec_lo
	v_cmpx_gt_u64_e64 s[20:21], v[24:25]
	s_cbranch_execz .LBB252_39
; %bb.38:
	v_sub_nc_u64_e64 v[4:5], v[0:1], s[18:19]
	s_delay_alu instid0(VALU_DEP_1) | instskip(NEXT) | instid1(VALU_DEP_1)
	v_lshlrev_b64_e32 v[4:5], 2, v[4:5]
	v_add_nc_u64_e32 v[6:7], s[4:5], v[4:5]
	v_add_nc_u64_e32 v[4:5], s[10:11], v[4:5]
	global_load_b32 v8, v[6:7], off offset:6144
	global_load_b32 v9, v[4:5], off offset:6144
	s_wait_loadcnt 0x0
	ds_store_b64 v2, v[8:9] offset:12288
.LBB252_39:
	s_or_b32 exec_lo, exec_lo, s8
                                        ; implicit-def: $vgpr2
.LBB252_40:
	s_or_saveexec_b32 s3, s3
	s_load_b64 s[8:9], s[0:1], 0x38
	s_xor_b32 exec_lo, exec_lo, s3
	s_cbranch_execz .LBB252_42
; %bb.41:
	s_clause 0x1
	global_load_b32 v4, v0, s[6:7] offset:6144 scale_offset
	global_load_b32 v5, v0, s[12:13] offset:6144 scale_offset
	s_wait_loadcnt 0x0
	ds_store_b64 v2, v[4:5] offset:12288
.LBB252_42:
	s_or_b32 exec_lo, exec_lo, s3
	v_mul_u32_u24_e32 v2, 7, v0
	s_wait_xcnt 0x0
	s_mov_b32 s0, exec_lo
	s_wait_dscnt 0x0
	s_barrier_signal -1
	s_barrier_wait -1
	v_sub_nc_u32_e64 v15, v2, s2 clamp
	v_min_u32_e32 v3, s18, v2
	v_lshlrev_b32_e32 v1, 3, v2
	s_delay_alu instid0(VALU_DEP_2)
	v_cmpx_lt_u32_e64 v15, v3
	s_cbranch_execz .LBB252_46
; %bb.43:
	s_delay_alu instid0(VALU_DEP_2)
	v_lshl_add_u32 v4, s18, 3, v1
	s_mov_b32 s1, 0
.LBB252_44:                             ; =>This Inner Loop Header: Depth=1
	v_add_nc_u32_e32 v5, v3, v15
	s_delay_alu instid0(VALU_DEP_1) | instskip(NEXT) | instid1(VALU_DEP_1)
	v_lshrrev_b32_e32 v5, 1, v5
	v_not_b32_e32 v6, v5
	v_dual_lshlrev_b32 v7, 3, v5 :: v_dual_add_nc_u32 v8, 1, v5
	s_delay_alu instid0(VALU_DEP_2)
	v_lshl_add_u32 v6, v6, 3, v4
	ds_load_b32 v7, v7
	ds_load_b32 v6, v6
	s_wait_dscnt 0x0
	v_cmp_lt_i32_e32 vcc_lo, v6, v7
	v_dual_cndmask_b32 v3, v3, v5, vcc_lo :: v_dual_cndmask_b32 v15, v8, v15, vcc_lo
	s_delay_alu instid0(VALU_DEP_1) | instskip(SKIP_1) | instid1(SALU_CYCLE_1)
	v_cmp_ge_u32_e32 vcc_lo, v15, v3
	s_or_b32 s1, vcc_lo, s1
	s_and_not1_b32 exec_lo, exec_lo, s1
	s_cbranch_execnz .LBB252_44
; %bb.45:
	s_or_b32 exec_lo, exec_lo, s1
.LBB252_46:
	s_delay_alu instid0(SALU_CYCLE_1)
	s_or_b32 exec_lo, exec_lo, s0
	v_add_nc_u32_e32 v6, s18, v2
	s_add_co_i32 s10, s2, s18
	v_cmp_ge_u32_e32 vcc_lo, s18, v15
	v_mov_b64_e32 v[2:3], 0
	v_mov_b64_e32 v[4:5], 0
	v_sub_nc_u32_e32 v17, v6, v15
	v_mov_b64_e32 v[6:7], 0
	v_mov_b64_e32 v[8:9], 0
	;; [unrolled: 1-line block ×4, first 2 shown]
	v_cmp_ge_u32_e64 s0, s10, v17
	v_mov_b64_e32 v[26:27], 0
	s_or_b32 s0, vcc_lo, s0
	s_delay_alu instid0(SALU_CYCLE_1)
	s_and_saveexec_b32 s7, s0
	s_cbranch_execz .LBB252_52
; %bb.47:
	v_cmp_gt_u32_e32 vcc_lo, s18, v15
	v_dual_mov_b32 v2, 0 :: v_dual_mov_b32 v4, 0
	v_mov_b32_e32 v5, 0
	s_and_saveexec_b32 s0, vcc_lo
; %bb.48:
	v_lshlrev_b32_e32 v3, 3, v15
	ds_load_b64 v[4:5], v3
; %bb.49:
	s_or_b32 exec_lo, exec_lo, s0
	v_cmp_le_u32_e64 s0, s10, v17
	v_mov_b32_e32 v3, 0
	s_mov_b32 s2, exec_lo
	v_cmpx_gt_u32_e64 s10, v17
; %bb.50:
	v_lshlrev_b32_e32 v2, 3, v17
	ds_load_b64 v[2:3], v2
; %bb.51:
	s_or_b32 exec_lo, exec_lo, s2
	s_wait_dscnt 0x0
	v_cmp_ge_i32_e64 s1, v2, v4
	s_and_b32 s1, vcc_lo, s1
	s_delay_alu instid0(SALU_CYCLE_1) | instskip(SKIP_1) | instid1(VALU_DEP_1)
	s_or_b32 vcc_lo, s0, s1
	v_dual_mov_b32 v19, s18 :: v_dual_cndmask_b32 v6, v17, v15
	v_dual_cndmask_b32 v7, s10, v19 :: v_dual_add_nc_u32 v8, 1, v6
	s_delay_alu instid0(VALU_DEP_1) | instskip(SKIP_1) | instid1(VALU_DEP_2)
	v_add_min_u32_e64 v6, v7, -1, v8
	v_dual_cndmask_b32 v10, v15, v8 :: v_dual_cndmask_b32 v11, v8, v17
	v_lshlrev_b32_e32 v6, 3, v6
	s_delay_alu instid0(VALU_DEP_2) | instskip(NEXT) | instid1(VALU_DEP_3)
	v_cmp_gt_u32_e64 s0, s18, v10
	v_cmp_le_u32_e64 s2, s10, v11
	ds_load_b64 v[6:7], v6
	s_wait_dscnt 0x0
	v_cndmask_b32_e32 v15, v6, v2, vcc_lo
	v_dual_cndmask_b32 v6, v4, v6 :: v_dual_cndmask_b32 v33, v7, v3
	v_dual_cndmask_b32 v2, v2, v4 :: v_dual_cndmask_b32 v7, v5, v7
	v_cndmask_b32_e32 v3, v3, v5, vcc_lo
	s_delay_alu instid0(VALU_DEP_3) | instskip(SKIP_1) | instid1(SALU_CYCLE_1)
	v_cmp_ge_i32_e64 s1, v15, v6
	s_and_b32 s0, s0, s1
	s_or_b32 s0, s2, s0
	s_delay_alu instid0(SALU_CYCLE_1) | instskip(NEXT) | instid1(VALU_DEP_1)
	v_cndmask_b32_e64 v8, v11, v10, s0
	v_dual_cndmask_b32 v9, s10, v19, s0 :: v_dual_add_nc_u32 v12, 1, v8
	v_dual_cndmask_b32 v5, v33, v7, s0 :: v_dual_cndmask_b32 v4, v15, v6, s0
	s_delay_alu instid0(VALU_DEP_2) | instskip(SKIP_1) | instid1(VALU_DEP_2)
	v_add_min_u32_e64 v8, v9, -1, v12
	v_dual_cndmask_b32 v13, v10, v12, s0 :: v_dual_cndmask_b32 v12, v12, v11, s0
	v_lshlrev_b32_e32 v8, 3, v8
	s_delay_alu instid0(VALU_DEP_2) | instskip(NEXT) | instid1(VALU_DEP_3)
	v_cmp_gt_u32_e64 s1, s18, v13
	v_cmp_le_u32_e64 s3, s10, v12
	ds_load_b64 v[8:9], v8
	s_wait_dscnt 0x0
	v_dual_cndmask_b32 v17, v8, v15, s0 :: v_dual_cndmask_b32 v8, v6, v8, s0
	s_delay_alu instid0(VALU_DEP_1) | instskip(SKIP_1) | instid1(SALU_CYCLE_1)
	v_cmp_ge_i32_e64 s2, v17, v8
	s_and_b32 s1, s1, s2
	s_or_b32 s1, s3, s1
	s_delay_alu instid0(SALU_CYCLE_1) | instskip(NEXT) | instid1(VALU_DEP_1)
	v_cndmask_b32_e64 v10, v12, v13, s1
	v_dual_cndmask_b32 v11, s10, v19, s1 :: v_dual_add_nc_u32 v21, 1, v10
	s_delay_alu instid0(VALU_DEP_1) | instskip(NEXT) | instid1(VALU_DEP_1)
	v_add_min_u32_e64 v10, v11, -1, v21
	v_lshlrev_b32_e32 v10, 3, v10
	ds_load_b64 v[10:11], v10
	v_cndmask_b32_e64 v23, v13, v21, s1
	v_cndmask_b32_e64 v21, v21, v12, s1
	s_delay_alu instid0(VALU_DEP_1) | instskip(SKIP_3) | instid1(VALU_DEP_2)
	v_cmp_le_u32_e64 s4, s10, v21
	s_wait_dscnt 0x0
	v_dual_cndmask_b32 v25, v10, v17, s1 :: v_dual_cndmask_b32 v10, v8, v10, s1
	v_cmp_gt_u32_e64 s2, s18, v23
	v_cmp_ge_i32_e64 s3, v25, v10
	s_and_b32 s2, s2, s3
	s_delay_alu instid0(SALU_CYCLE_1) | instskip(NEXT) | instid1(SALU_CYCLE_1)
	s_or_b32 s2, s4, s2
	v_cndmask_b32_e64 v12, v21, v23, s2
	s_delay_alu instid0(VALU_DEP_1) | instskip(NEXT) | instid1(VALU_DEP_1)
	v_dual_cndmask_b32 v13, s10, v19, s2 :: v_dual_add_nc_u32 v26, 1, v12
	v_add_min_u32_e64 v12, v13, -1, v26
	v_dual_cndmask_b32 v21, v26, v21, s2 :: v_dual_cndmask_b32 v23, v23, v26, s2
	s_delay_alu instid0(VALU_DEP_2) | instskip(NEXT) | instid1(VALU_DEP_2)
	v_lshlrev_b32_e32 v12, 3, v12
	v_cmp_le_u32_e64 s5, s10, v21
	s_delay_alu instid0(VALU_DEP_3) | instskip(SKIP_3) | instid1(VALU_DEP_1)
	v_cmp_gt_u32_e64 s3, s18, v23
	ds_load_b64 v[12:13], v12
	s_wait_dscnt 0x0
	v_dual_cndmask_b32 v30, v12, v25, s2 :: v_dual_cndmask_b32 v12, v10, v12, s2
	v_cmp_ge_i32_e64 s4, v30, v12
	s_and_b32 s3, s3, s4
	s_delay_alu instid0(SALU_CYCLE_1) | instskip(NEXT) | instid1(SALU_CYCLE_1)
	s_or_b32 s3, s5, s3
	v_cndmask_b32_e64 v26, v21, v23, s3
	s_delay_alu instid0(VALU_DEP_1) | instskip(NEXT) | instid1(VALU_DEP_1)
	v_dual_cndmask_b32 v27, s10, v19, s3 :: v_dual_add_nc_u32 v28, 1, v26
	v_add_min_u32_e64 v26, v27, -1, v28
	v_dual_cndmask_b32 v23, v23, v28, s3 :: v_dual_cndmask_b32 v21, v28, v21, s3
	s_delay_alu instid0(VALU_DEP_2) | instskip(NEXT) | instid1(VALU_DEP_2)
	v_lshlrev_b32_e32 v26, 3, v26
	v_cmp_gt_u32_e64 s4, s18, v23
	s_delay_alu instid0(VALU_DEP_3) | instskip(SKIP_4) | instid1(VALU_DEP_1)
	v_cmp_le_u32_e64 s6, s10, v21
	ds_load_b64 v[26:27], v26
	s_wait_dscnt 0x0
	v_cndmask_b32_e64 v31, v26, v30, s3
	v_cndmask_b32_e64 v26, v12, v26, s3
	v_cmp_ge_i32_e64 s5, v31, v26
	s_and_b32 s4, s4, s5
	s_delay_alu instid0(SALU_CYCLE_1) | instskip(NEXT) | instid1(SALU_CYCLE_1)
	s_or_b32 s4, s6, s4
	v_cndmask_b32_e64 v28, v21, v23, s4
	s_delay_alu instid0(VALU_DEP_1) | instskip(NEXT) | instid1(VALU_DEP_1)
	v_dual_cndmask_b32 v19, s10, v19, s4 :: v_dual_add_nc_u32 v32, 1, v28
	v_add_min_u32_e64 v19, v19, -1, v32
	s_delay_alu instid0(VALU_DEP_1) | instskip(SKIP_3) | instid1(VALU_DEP_2)
	v_dual_cndmask_b32 v21, v32, v21, s4 :: v_dual_lshlrev_b32 v19, 3, v19
	ds_load_b64 v[28:29], v19
	v_cndmask_b32_e64 v19, v9, v33, s0
	v_cndmask_b32_e64 v9, v7, v9, s0
	v_cndmask_b32_e64 v34, v11, v19, s1
	s_delay_alu instid0(VALU_DEP_2) | instskip(NEXT) | instid1(VALU_DEP_1)
	v_dual_cndmask_b32 v11, v9, v11, s1 :: v_dual_cndmask_b32 v7, v19, v9, s1
	v_dual_cndmask_b32 v15, v13, v34, s2 :: v_dual_cndmask_b32 v13, v11, v13, s2
	;; [unrolled: 1-line block ×4, first 2 shown]
	v_cndmask_b32_e64 v12, v23, v32, s4
	s_delay_alu instid0(VALU_DEP_4)
	v_cndmask_b32_e64 v11, v15, v13, s3
	s_wait_dscnt 0x0
	v_dual_cndmask_b32 v15, v27, v15, s3 :: v_dual_cndmask_b32 v19, v26, v28, s4
	v_cndmask_b32_e64 v17, v28, v31, s4
	v_cndmask_b32_e64 v13, v13, v27, s3
	v_cmp_gt_u32_e32 vcc_lo, s18, v12
	v_cmp_le_u32_e64 s1, s10, v21
	v_cndmask_b32_e64 v12, v31, v26, s4
	v_cmp_ge_i32_e64 s0, v17, v19
	v_cndmask_b32_e64 v23, v29, v15, s4
	v_cndmask_b32_e64 v21, v13, v29, s4
	;; [unrolled: 1-line block ×3, first 2 shown]
	s_and_b32 s0, vcc_lo, s0
	s_delay_alu instid0(SALU_CYCLE_1) | instskip(NEXT) | instid1(VALU_DEP_2)
	s_or_b32 vcc_lo, s1, s0
	v_dual_cndmask_b32 v27, v23, v21 :: v_dual_cndmask_b32 v26, v17, v19
.LBB252_52:
	s_or_b32 exec_lo, exec_lo, s7
	v_mul_i32_i24_e32 v15, 0xffffffd0, v0
	s_mov_b32 s17, 0
	s_sub_co_i32 s4, s24, s16
	s_lshl_b64 s[2:3], s[16:17], 2
	s_cmp_gt_u32 s4, 0x6ff
	v_add_nc_u32_e32 v15, v1, v15
	s_add_nc_u64 s[0:1], s[14:15], s[2:3]
	s_wait_kmcnt 0x0
	s_add_nc_u64 s[2:3], s[8:9], s[2:3]
	s_barrier_signal -1
	s_barrier_wait -1
	ds_store_2addr_b64 v1, v[2:3], v[4:5] offset1:1
	ds_store_2addr_b64 v1, v[6:7], v[8:9] offset0:2 offset1:3
	ds_store_2addr_b64 v1, v[10:11], v[12:13] offset0:4 offset1:5
	ds_store_b64 v1, v[26:27] offset:48
	s_wait_dscnt 0x0
	s_cbranch_scc0 .LBB252_54
; %bb.53:
	s_barrier_signal -1
	s_barrier_wait -1
	ds_load_2addr_stride64_b64 v[6:9], v15 offset1:4
	ds_load_2addr_stride64_b64 v[10:13], v15 offset0:8 offset1:12
	ds_load_2addr_stride64_b64 v[26:29], v15 offset0:16 offset1:20
	ds_load_b64 v[4:5], v15 offset:12288
	s_mov_b32 s17, -1
	s_wait_dscnt 0x3
	s_clause 0x3
	global_store_b32 v0, v6, s[0:1] scale_offset
	global_store_b32 v0, v7, s[2:3] scale_offset
	global_store_b32 v0, v8, s[0:1] offset:1024 scale_offset
	global_store_b32 v0, v9, s[2:3] offset:1024 scale_offset
	s_wait_dscnt 0x2
	s_clause 0x3
	global_store_b32 v0, v10, s[0:1] offset:2048 scale_offset
	global_store_b32 v0, v11, s[2:3] offset:2048 scale_offset
	;; [unrolled: 1-line block ×4, first 2 shown]
	s_wait_dscnt 0x1
	s_clause 0x3
	global_store_b32 v0, v26, s[0:1] offset:4096 scale_offset
	global_store_b32 v0, v27, s[2:3] offset:4096 scale_offset
	;; [unrolled: 1-line block ×4, first 2 shown]
	s_cbranch_execz .LBB252_55
	s_branch .LBB252_63
.LBB252_54:
                                        ; implicit-def: $vgpr4_vgpr5
.LBB252_55:
	s_barrier_signal -1
	s_barrier_wait -1
	s_wait_storecnt_dscnt 0x0
	s_wait_xcnt 0x4
	ds_load_2addr_stride64_b64 v[10:13], v15 offset0:4 offset1:8
	ds_load_2addr_stride64_b64 v[6:9], v15 offset0:12 offset1:16
	;; [unrolled: 1-line block ×3, first 2 shown]
	s_wait_xcnt 0x0
	v_dual_mov_b32 v29, 0 :: v_dual_lshlrev_b32 v28, 2, v0
	s_mov_b32 s5, exec_lo
	s_delay_alu instid0(VALU_DEP_1)
	v_add_nc_u64_e32 v[26:27], s[0:1], v[28:29]
	v_add_nc_u64_e32 v[28:29], s[2:3], v[28:29]
	v_cmpx_gt_u32_e64 s4, v0
	s_cbranch_execnz .LBB252_66
; %bb.56:
	s_or_b32 exec_lo, exec_lo, s5
	s_delay_alu instid0(SALU_CYCLE_1)
	s_mov_b32 s5, exec_lo
	v_cmpx_gt_u32_e64 s4, v14
	s_cbranch_execnz .LBB252_67
.LBB252_57:
	s_or_b32 exec_lo, exec_lo, s5
	s_delay_alu instid0(SALU_CYCLE_1)
	s_mov_b32 s5, exec_lo
	v_cmpx_gt_u32_e64 s4, v16
	s_cbranch_execnz .LBB252_68
.LBB252_58:
	s_or_b32 exec_lo, exec_lo, s5
	s_delay_alu instid0(SALU_CYCLE_1)
	s_mov_b32 s5, exec_lo
	v_cmpx_gt_u32_e64 s4, v18
	s_cbranch_execnz .LBB252_69
.LBB252_59:
	s_or_b32 exec_lo, exec_lo, s5
	s_delay_alu instid0(SALU_CYCLE_1)
	s_mov_b32 s5, exec_lo
	v_cmpx_gt_u32_e64 s4, v20
	s_cbranch_execnz .LBB252_70
.LBB252_60:
	s_or_b32 exec_lo, exec_lo, s5
	s_delay_alu instid0(SALU_CYCLE_1)
	s_mov_b32 s5, exec_lo
	v_cmpx_gt_u32_e64 s4, v22
	s_cbranch_execz .LBB252_62
.LBB252_61:
	s_wait_dscnt 0x0
	global_store_b32 v[26:27], v2, off offset:5120
	global_store_b32 v[28:29], v3, off offset:5120
.LBB252_62:
	s_wait_xcnt 0x0
	s_or_b32 exec_lo, exec_lo, s5
	v_cmp_gt_u32_e64 s17, s4, v24
.LBB252_63:
	s_wait_xcnt 0x0
	s_delay_alu instid0(VALU_DEP_1)
	s_and_saveexec_b32 s4, s17
	s_cbranch_execnz .LBB252_65
; %bb.64:
	s_endpgm
.LBB252_65:
	s_wait_dscnt 0x0
	s_clause 0x1
	global_store_b32 v0, v4, s[0:1] offset:6144 scale_offset
	global_store_b32 v0, v5, s[2:3] offset:6144 scale_offset
	s_endpgm
.LBB252_66:
	ds_load_b64 v[30:31], v15
	s_wait_dscnt 0x0
	global_store_b32 v[26:27], v30, off
	global_store_b32 v[28:29], v31, off
	s_wait_xcnt 0x0
	s_or_b32 exec_lo, exec_lo, s5
	s_delay_alu instid0(SALU_CYCLE_1)
	s_mov_b32 s5, exec_lo
	v_cmpx_gt_u32_e64 s4, v14
	s_cbranch_execz .LBB252_57
.LBB252_67:
	s_wait_dscnt 0x2
	global_store_b32 v[26:27], v10, off offset:1024
	global_store_b32 v[28:29], v11, off offset:1024
	s_wait_xcnt 0x0
	s_or_b32 exec_lo, exec_lo, s5
	s_delay_alu instid0(SALU_CYCLE_1)
	s_mov_b32 s5, exec_lo
	v_cmpx_gt_u32_e64 s4, v16
	s_cbranch_execz .LBB252_58
.LBB252_68:
	s_wait_dscnt 0x2
	global_store_b32 v[26:27], v12, off offset:2048
	global_store_b32 v[28:29], v13, off offset:2048
	s_wait_xcnt 0x0
	s_or_b32 exec_lo, exec_lo, s5
	s_delay_alu instid0(SALU_CYCLE_1)
	s_mov_b32 s5, exec_lo
	v_cmpx_gt_u32_e64 s4, v18
	s_cbranch_execz .LBB252_59
.LBB252_69:
	s_wait_dscnt 0x1
	global_store_b32 v[26:27], v6, off offset:3072
	global_store_b32 v[28:29], v7, off offset:3072
	s_wait_xcnt 0x0
	s_or_b32 exec_lo, exec_lo, s5
	s_delay_alu instid0(SALU_CYCLE_1)
	s_mov_b32 s5, exec_lo
	v_cmpx_gt_u32_e64 s4, v20
	s_cbranch_execz .LBB252_60
.LBB252_70:
	s_wait_dscnt 0x1
	global_store_b32 v[26:27], v8, off offset:4096
	global_store_b32 v[28:29], v9, off offset:4096
	s_wait_xcnt 0x0
	s_or_b32 exec_lo, exec_lo, s5
	s_delay_alu instid0(SALU_CYCLE_1)
	s_mov_b32 s5, exec_lo
	v_cmpx_gt_u32_e64 s4, v22
	s_cbranch_execnz .LBB252_61
	s_branch .LBB252_62
	.section	.rodata,"a",@progbits
	.p2align	6, 0x0
	.amdhsa_kernel _ZN7rocprim17ROCPRIM_400000_NS6detail17trampoline_kernelINS0_14default_configENS1_21merge_config_selectorINS0_5tupleIJiiEEENS0_10empty_typeEEEZNS1_10merge_implIS3_NS0_12zip_iteratorINS5_IJN6thrust23THRUST_200600_302600_NS6detail15normal_iteratorINSC_10device_ptrIKiEEEESI_EEEEESK_NSA_INS5_IJNSE_INSF_IiEEEESM_EEEEEPS7_SP_SP_NSC_11hip_rocprim7__merge17predicate_wrapperIiiNSC_4lessIiEEEEEE10hipError_tPvRmT0_T1_T2_T3_T4_T5_mmT6_P12ihipStream_tbEUlT_E0_NS1_11comp_targetILNS1_3genE0ELNS1_11target_archE4294967295ELNS1_3gpuE0ELNS1_3repE0EEENS1_30default_config_static_selectorELNS0_4arch9wavefront6targetE0EEEvS10_
		.amdhsa_group_segment_fixed_size 14352
		.amdhsa_private_segment_fixed_size 0
		.amdhsa_kernarg_size 112
		.amdhsa_user_sgpr_count 2
		.amdhsa_user_sgpr_dispatch_ptr 0
		.amdhsa_user_sgpr_queue_ptr 0
		.amdhsa_user_sgpr_kernarg_segment_ptr 1
		.amdhsa_user_sgpr_dispatch_id 0
		.amdhsa_user_sgpr_kernarg_preload_length 0
		.amdhsa_user_sgpr_kernarg_preload_offset 0
		.amdhsa_user_sgpr_private_segment_size 0
		.amdhsa_wavefront_size32 1
		.amdhsa_uses_dynamic_stack 0
		.amdhsa_enable_private_segment 0
		.amdhsa_system_sgpr_workgroup_id_x 1
		.amdhsa_system_sgpr_workgroup_id_y 0
		.amdhsa_system_sgpr_workgroup_id_z 0
		.amdhsa_system_sgpr_workgroup_info 0
		.amdhsa_system_vgpr_workitem_id 0
		.amdhsa_next_free_vgpr 35
		.amdhsa_next_free_sgpr 26
		.amdhsa_named_barrier_count 0
		.amdhsa_reserve_vcc 1
		.amdhsa_float_round_mode_32 0
		.amdhsa_float_round_mode_16_64 0
		.amdhsa_float_denorm_mode_32 3
		.amdhsa_float_denorm_mode_16_64 3
		.amdhsa_fp16_overflow 0
		.amdhsa_memory_ordered 1
		.amdhsa_forward_progress 1
		.amdhsa_inst_pref_size 28
		.amdhsa_round_robin_scheduling 0
		.amdhsa_exception_fp_ieee_invalid_op 0
		.amdhsa_exception_fp_denorm_src 0
		.amdhsa_exception_fp_ieee_div_zero 0
		.amdhsa_exception_fp_ieee_overflow 0
		.amdhsa_exception_fp_ieee_underflow 0
		.amdhsa_exception_fp_ieee_inexact 0
		.amdhsa_exception_int_div_zero 0
	.end_amdhsa_kernel
	.section	.text._ZN7rocprim17ROCPRIM_400000_NS6detail17trampoline_kernelINS0_14default_configENS1_21merge_config_selectorINS0_5tupleIJiiEEENS0_10empty_typeEEEZNS1_10merge_implIS3_NS0_12zip_iteratorINS5_IJN6thrust23THRUST_200600_302600_NS6detail15normal_iteratorINSC_10device_ptrIKiEEEESI_EEEEESK_NSA_INS5_IJNSE_INSF_IiEEEESM_EEEEEPS7_SP_SP_NSC_11hip_rocprim7__merge17predicate_wrapperIiiNSC_4lessIiEEEEEE10hipError_tPvRmT0_T1_T2_T3_T4_T5_mmT6_P12ihipStream_tbEUlT_E0_NS1_11comp_targetILNS1_3genE0ELNS1_11target_archE4294967295ELNS1_3gpuE0ELNS1_3repE0EEENS1_30default_config_static_selectorELNS0_4arch9wavefront6targetE0EEEvS10_,"axG",@progbits,_ZN7rocprim17ROCPRIM_400000_NS6detail17trampoline_kernelINS0_14default_configENS1_21merge_config_selectorINS0_5tupleIJiiEEENS0_10empty_typeEEEZNS1_10merge_implIS3_NS0_12zip_iteratorINS5_IJN6thrust23THRUST_200600_302600_NS6detail15normal_iteratorINSC_10device_ptrIKiEEEESI_EEEEESK_NSA_INS5_IJNSE_INSF_IiEEEESM_EEEEEPS7_SP_SP_NSC_11hip_rocprim7__merge17predicate_wrapperIiiNSC_4lessIiEEEEEE10hipError_tPvRmT0_T1_T2_T3_T4_T5_mmT6_P12ihipStream_tbEUlT_E0_NS1_11comp_targetILNS1_3genE0ELNS1_11target_archE4294967295ELNS1_3gpuE0ELNS1_3repE0EEENS1_30default_config_static_selectorELNS0_4arch9wavefront6targetE0EEEvS10_,comdat
.Lfunc_end252:
	.size	_ZN7rocprim17ROCPRIM_400000_NS6detail17trampoline_kernelINS0_14default_configENS1_21merge_config_selectorINS0_5tupleIJiiEEENS0_10empty_typeEEEZNS1_10merge_implIS3_NS0_12zip_iteratorINS5_IJN6thrust23THRUST_200600_302600_NS6detail15normal_iteratorINSC_10device_ptrIKiEEEESI_EEEEESK_NSA_INS5_IJNSE_INSF_IiEEEESM_EEEEEPS7_SP_SP_NSC_11hip_rocprim7__merge17predicate_wrapperIiiNSC_4lessIiEEEEEE10hipError_tPvRmT0_T1_T2_T3_T4_T5_mmT6_P12ihipStream_tbEUlT_E0_NS1_11comp_targetILNS1_3genE0ELNS1_11target_archE4294967295ELNS1_3gpuE0ELNS1_3repE0EEENS1_30default_config_static_selectorELNS0_4arch9wavefront6targetE0EEEvS10_, .Lfunc_end252-_ZN7rocprim17ROCPRIM_400000_NS6detail17trampoline_kernelINS0_14default_configENS1_21merge_config_selectorINS0_5tupleIJiiEEENS0_10empty_typeEEEZNS1_10merge_implIS3_NS0_12zip_iteratorINS5_IJN6thrust23THRUST_200600_302600_NS6detail15normal_iteratorINSC_10device_ptrIKiEEEESI_EEEEESK_NSA_INS5_IJNSE_INSF_IiEEEESM_EEEEEPS7_SP_SP_NSC_11hip_rocprim7__merge17predicate_wrapperIiiNSC_4lessIiEEEEEE10hipError_tPvRmT0_T1_T2_T3_T4_T5_mmT6_P12ihipStream_tbEUlT_E0_NS1_11comp_targetILNS1_3genE0ELNS1_11target_archE4294967295ELNS1_3gpuE0ELNS1_3repE0EEENS1_30default_config_static_selectorELNS0_4arch9wavefront6targetE0EEEvS10_
                                        ; -- End function
	.set _ZN7rocprim17ROCPRIM_400000_NS6detail17trampoline_kernelINS0_14default_configENS1_21merge_config_selectorINS0_5tupleIJiiEEENS0_10empty_typeEEEZNS1_10merge_implIS3_NS0_12zip_iteratorINS5_IJN6thrust23THRUST_200600_302600_NS6detail15normal_iteratorINSC_10device_ptrIKiEEEESI_EEEEESK_NSA_INS5_IJNSE_INSF_IiEEEESM_EEEEEPS7_SP_SP_NSC_11hip_rocprim7__merge17predicate_wrapperIiiNSC_4lessIiEEEEEE10hipError_tPvRmT0_T1_T2_T3_T4_T5_mmT6_P12ihipStream_tbEUlT_E0_NS1_11comp_targetILNS1_3genE0ELNS1_11target_archE4294967295ELNS1_3gpuE0ELNS1_3repE0EEENS1_30default_config_static_selectorELNS0_4arch9wavefront6targetE0EEEvS10_.num_vgpr, 35
	.set _ZN7rocprim17ROCPRIM_400000_NS6detail17trampoline_kernelINS0_14default_configENS1_21merge_config_selectorINS0_5tupleIJiiEEENS0_10empty_typeEEEZNS1_10merge_implIS3_NS0_12zip_iteratorINS5_IJN6thrust23THRUST_200600_302600_NS6detail15normal_iteratorINSC_10device_ptrIKiEEEESI_EEEEESK_NSA_INS5_IJNSE_INSF_IiEEEESM_EEEEEPS7_SP_SP_NSC_11hip_rocprim7__merge17predicate_wrapperIiiNSC_4lessIiEEEEEE10hipError_tPvRmT0_T1_T2_T3_T4_T5_mmT6_P12ihipStream_tbEUlT_E0_NS1_11comp_targetILNS1_3genE0ELNS1_11target_archE4294967295ELNS1_3gpuE0ELNS1_3repE0EEENS1_30default_config_static_selectorELNS0_4arch9wavefront6targetE0EEEvS10_.num_agpr, 0
	.set _ZN7rocprim17ROCPRIM_400000_NS6detail17trampoline_kernelINS0_14default_configENS1_21merge_config_selectorINS0_5tupleIJiiEEENS0_10empty_typeEEEZNS1_10merge_implIS3_NS0_12zip_iteratorINS5_IJN6thrust23THRUST_200600_302600_NS6detail15normal_iteratorINSC_10device_ptrIKiEEEESI_EEEEESK_NSA_INS5_IJNSE_INSF_IiEEEESM_EEEEEPS7_SP_SP_NSC_11hip_rocprim7__merge17predicate_wrapperIiiNSC_4lessIiEEEEEE10hipError_tPvRmT0_T1_T2_T3_T4_T5_mmT6_P12ihipStream_tbEUlT_E0_NS1_11comp_targetILNS1_3genE0ELNS1_11target_archE4294967295ELNS1_3gpuE0ELNS1_3repE0EEENS1_30default_config_static_selectorELNS0_4arch9wavefront6targetE0EEEvS10_.numbered_sgpr, 26
	.set _ZN7rocprim17ROCPRIM_400000_NS6detail17trampoline_kernelINS0_14default_configENS1_21merge_config_selectorINS0_5tupleIJiiEEENS0_10empty_typeEEEZNS1_10merge_implIS3_NS0_12zip_iteratorINS5_IJN6thrust23THRUST_200600_302600_NS6detail15normal_iteratorINSC_10device_ptrIKiEEEESI_EEEEESK_NSA_INS5_IJNSE_INSF_IiEEEESM_EEEEEPS7_SP_SP_NSC_11hip_rocprim7__merge17predicate_wrapperIiiNSC_4lessIiEEEEEE10hipError_tPvRmT0_T1_T2_T3_T4_T5_mmT6_P12ihipStream_tbEUlT_E0_NS1_11comp_targetILNS1_3genE0ELNS1_11target_archE4294967295ELNS1_3gpuE0ELNS1_3repE0EEENS1_30default_config_static_selectorELNS0_4arch9wavefront6targetE0EEEvS10_.num_named_barrier, 0
	.set _ZN7rocprim17ROCPRIM_400000_NS6detail17trampoline_kernelINS0_14default_configENS1_21merge_config_selectorINS0_5tupleIJiiEEENS0_10empty_typeEEEZNS1_10merge_implIS3_NS0_12zip_iteratorINS5_IJN6thrust23THRUST_200600_302600_NS6detail15normal_iteratorINSC_10device_ptrIKiEEEESI_EEEEESK_NSA_INS5_IJNSE_INSF_IiEEEESM_EEEEEPS7_SP_SP_NSC_11hip_rocprim7__merge17predicate_wrapperIiiNSC_4lessIiEEEEEE10hipError_tPvRmT0_T1_T2_T3_T4_T5_mmT6_P12ihipStream_tbEUlT_E0_NS1_11comp_targetILNS1_3genE0ELNS1_11target_archE4294967295ELNS1_3gpuE0ELNS1_3repE0EEENS1_30default_config_static_selectorELNS0_4arch9wavefront6targetE0EEEvS10_.private_seg_size, 0
	.set _ZN7rocprim17ROCPRIM_400000_NS6detail17trampoline_kernelINS0_14default_configENS1_21merge_config_selectorINS0_5tupleIJiiEEENS0_10empty_typeEEEZNS1_10merge_implIS3_NS0_12zip_iteratorINS5_IJN6thrust23THRUST_200600_302600_NS6detail15normal_iteratorINSC_10device_ptrIKiEEEESI_EEEEESK_NSA_INS5_IJNSE_INSF_IiEEEESM_EEEEEPS7_SP_SP_NSC_11hip_rocprim7__merge17predicate_wrapperIiiNSC_4lessIiEEEEEE10hipError_tPvRmT0_T1_T2_T3_T4_T5_mmT6_P12ihipStream_tbEUlT_E0_NS1_11comp_targetILNS1_3genE0ELNS1_11target_archE4294967295ELNS1_3gpuE0ELNS1_3repE0EEENS1_30default_config_static_selectorELNS0_4arch9wavefront6targetE0EEEvS10_.uses_vcc, 1
	.set _ZN7rocprim17ROCPRIM_400000_NS6detail17trampoline_kernelINS0_14default_configENS1_21merge_config_selectorINS0_5tupleIJiiEEENS0_10empty_typeEEEZNS1_10merge_implIS3_NS0_12zip_iteratorINS5_IJN6thrust23THRUST_200600_302600_NS6detail15normal_iteratorINSC_10device_ptrIKiEEEESI_EEEEESK_NSA_INS5_IJNSE_INSF_IiEEEESM_EEEEEPS7_SP_SP_NSC_11hip_rocprim7__merge17predicate_wrapperIiiNSC_4lessIiEEEEEE10hipError_tPvRmT0_T1_T2_T3_T4_T5_mmT6_P12ihipStream_tbEUlT_E0_NS1_11comp_targetILNS1_3genE0ELNS1_11target_archE4294967295ELNS1_3gpuE0ELNS1_3repE0EEENS1_30default_config_static_selectorELNS0_4arch9wavefront6targetE0EEEvS10_.uses_flat_scratch, 0
	.set _ZN7rocprim17ROCPRIM_400000_NS6detail17trampoline_kernelINS0_14default_configENS1_21merge_config_selectorINS0_5tupleIJiiEEENS0_10empty_typeEEEZNS1_10merge_implIS3_NS0_12zip_iteratorINS5_IJN6thrust23THRUST_200600_302600_NS6detail15normal_iteratorINSC_10device_ptrIKiEEEESI_EEEEESK_NSA_INS5_IJNSE_INSF_IiEEEESM_EEEEEPS7_SP_SP_NSC_11hip_rocprim7__merge17predicate_wrapperIiiNSC_4lessIiEEEEEE10hipError_tPvRmT0_T1_T2_T3_T4_T5_mmT6_P12ihipStream_tbEUlT_E0_NS1_11comp_targetILNS1_3genE0ELNS1_11target_archE4294967295ELNS1_3gpuE0ELNS1_3repE0EEENS1_30default_config_static_selectorELNS0_4arch9wavefront6targetE0EEEvS10_.has_dyn_sized_stack, 0
	.set _ZN7rocprim17ROCPRIM_400000_NS6detail17trampoline_kernelINS0_14default_configENS1_21merge_config_selectorINS0_5tupleIJiiEEENS0_10empty_typeEEEZNS1_10merge_implIS3_NS0_12zip_iteratorINS5_IJN6thrust23THRUST_200600_302600_NS6detail15normal_iteratorINSC_10device_ptrIKiEEEESI_EEEEESK_NSA_INS5_IJNSE_INSF_IiEEEESM_EEEEEPS7_SP_SP_NSC_11hip_rocprim7__merge17predicate_wrapperIiiNSC_4lessIiEEEEEE10hipError_tPvRmT0_T1_T2_T3_T4_T5_mmT6_P12ihipStream_tbEUlT_E0_NS1_11comp_targetILNS1_3genE0ELNS1_11target_archE4294967295ELNS1_3gpuE0ELNS1_3repE0EEENS1_30default_config_static_selectorELNS0_4arch9wavefront6targetE0EEEvS10_.has_recursion, 0
	.set _ZN7rocprim17ROCPRIM_400000_NS6detail17trampoline_kernelINS0_14default_configENS1_21merge_config_selectorINS0_5tupleIJiiEEENS0_10empty_typeEEEZNS1_10merge_implIS3_NS0_12zip_iteratorINS5_IJN6thrust23THRUST_200600_302600_NS6detail15normal_iteratorINSC_10device_ptrIKiEEEESI_EEEEESK_NSA_INS5_IJNSE_INSF_IiEEEESM_EEEEEPS7_SP_SP_NSC_11hip_rocprim7__merge17predicate_wrapperIiiNSC_4lessIiEEEEEE10hipError_tPvRmT0_T1_T2_T3_T4_T5_mmT6_P12ihipStream_tbEUlT_E0_NS1_11comp_targetILNS1_3genE0ELNS1_11target_archE4294967295ELNS1_3gpuE0ELNS1_3repE0EEENS1_30default_config_static_selectorELNS0_4arch9wavefront6targetE0EEEvS10_.has_indirect_call, 0
	.section	.AMDGPU.csdata,"",@progbits
; Kernel info:
; codeLenInByte = 3508
; TotalNumSgprs: 28
; NumVgprs: 35
; ScratchSize: 0
; MemoryBound: 0
; FloatMode: 240
; IeeeMode: 1
; LDSByteSize: 14352 bytes/workgroup (compile time only)
; SGPRBlocks: 0
; VGPRBlocks: 2
; NumSGPRsForWavesPerEU: 28
; NumVGPRsForWavesPerEU: 35
; NamedBarCnt: 0
; Occupancy: 16
; WaveLimiterHint : 1
; COMPUTE_PGM_RSRC2:SCRATCH_EN: 0
; COMPUTE_PGM_RSRC2:USER_SGPR: 2
; COMPUTE_PGM_RSRC2:TRAP_HANDLER: 0
; COMPUTE_PGM_RSRC2:TGID_X_EN: 1
; COMPUTE_PGM_RSRC2:TGID_Y_EN: 0
; COMPUTE_PGM_RSRC2:TGID_Z_EN: 0
; COMPUTE_PGM_RSRC2:TIDIG_COMP_CNT: 0
	.section	.text._ZN7rocprim17ROCPRIM_400000_NS6detail17trampoline_kernelINS0_14default_configENS1_21merge_config_selectorINS0_5tupleIJiiEEENS0_10empty_typeEEEZNS1_10merge_implIS3_NS0_12zip_iteratorINS5_IJN6thrust23THRUST_200600_302600_NS6detail15normal_iteratorINSC_10device_ptrIKiEEEESI_EEEEESK_NSA_INS5_IJNSE_INSF_IiEEEESM_EEEEEPS7_SP_SP_NSC_11hip_rocprim7__merge17predicate_wrapperIiiNSC_4lessIiEEEEEE10hipError_tPvRmT0_T1_T2_T3_T4_T5_mmT6_P12ihipStream_tbEUlT_E0_NS1_11comp_targetILNS1_3genE5ELNS1_11target_archE942ELNS1_3gpuE9ELNS1_3repE0EEENS1_30default_config_static_selectorELNS0_4arch9wavefront6targetE0EEEvS10_,"axG",@progbits,_ZN7rocprim17ROCPRIM_400000_NS6detail17trampoline_kernelINS0_14default_configENS1_21merge_config_selectorINS0_5tupleIJiiEEENS0_10empty_typeEEEZNS1_10merge_implIS3_NS0_12zip_iteratorINS5_IJN6thrust23THRUST_200600_302600_NS6detail15normal_iteratorINSC_10device_ptrIKiEEEESI_EEEEESK_NSA_INS5_IJNSE_INSF_IiEEEESM_EEEEEPS7_SP_SP_NSC_11hip_rocprim7__merge17predicate_wrapperIiiNSC_4lessIiEEEEEE10hipError_tPvRmT0_T1_T2_T3_T4_T5_mmT6_P12ihipStream_tbEUlT_E0_NS1_11comp_targetILNS1_3genE5ELNS1_11target_archE942ELNS1_3gpuE9ELNS1_3repE0EEENS1_30default_config_static_selectorELNS0_4arch9wavefront6targetE0EEEvS10_,comdat
	.protected	_ZN7rocprim17ROCPRIM_400000_NS6detail17trampoline_kernelINS0_14default_configENS1_21merge_config_selectorINS0_5tupleIJiiEEENS0_10empty_typeEEEZNS1_10merge_implIS3_NS0_12zip_iteratorINS5_IJN6thrust23THRUST_200600_302600_NS6detail15normal_iteratorINSC_10device_ptrIKiEEEESI_EEEEESK_NSA_INS5_IJNSE_INSF_IiEEEESM_EEEEEPS7_SP_SP_NSC_11hip_rocprim7__merge17predicate_wrapperIiiNSC_4lessIiEEEEEE10hipError_tPvRmT0_T1_T2_T3_T4_T5_mmT6_P12ihipStream_tbEUlT_E0_NS1_11comp_targetILNS1_3genE5ELNS1_11target_archE942ELNS1_3gpuE9ELNS1_3repE0EEENS1_30default_config_static_selectorELNS0_4arch9wavefront6targetE0EEEvS10_ ; -- Begin function _ZN7rocprim17ROCPRIM_400000_NS6detail17trampoline_kernelINS0_14default_configENS1_21merge_config_selectorINS0_5tupleIJiiEEENS0_10empty_typeEEEZNS1_10merge_implIS3_NS0_12zip_iteratorINS5_IJN6thrust23THRUST_200600_302600_NS6detail15normal_iteratorINSC_10device_ptrIKiEEEESI_EEEEESK_NSA_INS5_IJNSE_INSF_IiEEEESM_EEEEEPS7_SP_SP_NSC_11hip_rocprim7__merge17predicate_wrapperIiiNSC_4lessIiEEEEEE10hipError_tPvRmT0_T1_T2_T3_T4_T5_mmT6_P12ihipStream_tbEUlT_E0_NS1_11comp_targetILNS1_3genE5ELNS1_11target_archE942ELNS1_3gpuE9ELNS1_3repE0EEENS1_30default_config_static_selectorELNS0_4arch9wavefront6targetE0EEEvS10_
	.globl	_ZN7rocprim17ROCPRIM_400000_NS6detail17trampoline_kernelINS0_14default_configENS1_21merge_config_selectorINS0_5tupleIJiiEEENS0_10empty_typeEEEZNS1_10merge_implIS3_NS0_12zip_iteratorINS5_IJN6thrust23THRUST_200600_302600_NS6detail15normal_iteratorINSC_10device_ptrIKiEEEESI_EEEEESK_NSA_INS5_IJNSE_INSF_IiEEEESM_EEEEEPS7_SP_SP_NSC_11hip_rocprim7__merge17predicate_wrapperIiiNSC_4lessIiEEEEEE10hipError_tPvRmT0_T1_T2_T3_T4_T5_mmT6_P12ihipStream_tbEUlT_E0_NS1_11comp_targetILNS1_3genE5ELNS1_11target_archE942ELNS1_3gpuE9ELNS1_3repE0EEENS1_30default_config_static_selectorELNS0_4arch9wavefront6targetE0EEEvS10_
	.p2align	8
	.type	_ZN7rocprim17ROCPRIM_400000_NS6detail17trampoline_kernelINS0_14default_configENS1_21merge_config_selectorINS0_5tupleIJiiEEENS0_10empty_typeEEEZNS1_10merge_implIS3_NS0_12zip_iteratorINS5_IJN6thrust23THRUST_200600_302600_NS6detail15normal_iteratorINSC_10device_ptrIKiEEEESI_EEEEESK_NSA_INS5_IJNSE_INSF_IiEEEESM_EEEEEPS7_SP_SP_NSC_11hip_rocprim7__merge17predicate_wrapperIiiNSC_4lessIiEEEEEE10hipError_tPvRmT0_T1_T2_T3_T4_T5_mmT6_P12ihipStream_tbEUlT_E0_NS1_11comp_targetILNS1_3genE5ELNS1_11target_archE942ELNS1_3gpuE9ELNS1_3repE0EEENS1_30default_config_static_selectorELNS0_4arch9wavefront6targetE0EEEvS10_,@function
_ZN7rocprim17ROCPRIM_400000_NS6detail17trampoline_kernelINS0_14default_configENS1_21merge_config_selectorINS0_5tupleIJiiEEENS0_10empty_typeEEEZNS1_10merge_implIS3_NS0_12zip_iteratorINS5_IJN6thrust23THRUST_200600_302600_NS6detail15normal_iteratorINSC_10device_ptrIKiEEEESI_EEEEESK_NSA_INS5_IJNSE_INSF_IiEEEESM_EEEEEPS7_SP_SP_NSC_11hip_rocprim7__merge17predicate_wrapperIiiNSC_4lessIiEEEEEE10hipError_tPvRmT0_T1_T2_T3_T4_T5_mmT6_P12ihipStream_tbEUlT_E0_NS1_11comp_targetILNS1_3genE5ELNS1_11target_archE942ELNS1_3gpuE9ELNS1_3repE0EEENS1_30default_config_static_selectorELNS0_4arch9wavefront6targetE0EEEvS10_: ; @_ZN7rocprim17ROCPRIM_400000_NS6detail17trampoline_kernelINS0_14default_configENS1_21merge_config_selectorINS0_5tupleIJiiEEENS0_10empty_typeEEEZNS1_10merge_implIS3_NS0_12zip_iteratorINS5_IJN6thrust23THRUST_200600_302600_NS6detail15normal_iteratorINSC_10device_ptrIKiEEEESI_EEEEESK_NSA_INS5_IJNSE_INSF_IiEEEESM_EEEEEPS7_SP_SP_NSC_11hip_rocprim7__merge17predicate_wrapperIiiNSC_4lessIiEEEEEE10hipError_tPvRmT0_T1_T2_T3_T4_T5_mmT6_P12ihipStream_tbEUlT_E0_NS1_11comp_targetILNS1_3genE5ELNS1_11target_archE942ELNS1_3gpuE9ELNS1_3repE0EEENS1_30default_config_static_selectorELNS0_4arch9wavefront6targetE0EEEvS10_
; %bb.0:
	.section	.rodata,"a",@progbits
	.p2align	6, 0x0
	.amdhsa_kernel _ZN7rocprim17ROCPRIM_400000_NS6detail17trampoline_kernelINS0_14default_configENS1_21merge_config_selectorINS0_5tupleIJiiEEENS0_10empty_typeEEEZNS1_10merge_implIS3_NS0_12zip_iteratorINS5_IJN6thrust23THRUST_200600_302600_NS6detail15normal_iteratorINSC_10device_ptrIKiEEEESI_EEEEESK_NSA_INS5_IJNSE_INSF_IiEEEESM_EEEEEPS7_SP_SP_NSC_11hip_rocprim7__merge17predicate_wrapperIiiNSC_4lessIiEEEEEE10hipError_tPvRmT0_T1_T2_T3_T4_T5_mmT6_P12ihipStream_tbEUlT_E0_NS1_11comp_targetILNS1_3genE5ELNS1_11target_archE942ELNS1_3gpuE9ELNS1_3repE0EEENS1_30default_config_static_selectorELNS0_4arch9wavefront6targetE0EEEvS10_
		.amdhsa_group_segment_fixed_size 0
		.amdhsa_private_segment_fixed_size 0
		.amdhsa_kernarg_size 112
		.amdhsa_user_sgpr_count 2
		.amdhsa_user_sgpr_dispatch_ptr 0
		.amdhsa_user_sgpr_queue_ptr 0
		.amdhsa_user_sgpr_kernarg_segment_ptr 1
		.amdhsa_user_sgpr_dispatch_id 0
		.amdhsa_user_sgpr_kernarg_preload_length 0
		.amdhsa_user_sgpr_kernarg_preload_offset 0
		.amdhsa_user_sgpr_private_segment_size 0
		.amdhsa_wavefront_size32 1
		.amdhsa_uses_dynamic_stack 0
		.amdhsa_enable_private_segment 0
		.amdhsa_system_sgpr_workgroup_id_x 1
		.amdhsa_system_sgpr_workgroup_id_y 0
		.amdhsa_system_sgpr_workgroup_id_z 0
		.amdhsa_system_sgpr_workgroup_info 0
		.amdhsa_system_vgpr_workitem_id 0
		.amdhsa_next_free_vgpr 1
		.amdhsa_next_free_sgpr 1
		.amdhsa_named_barrier_count 0
		.amdhsa_reserve_vcc 0
		.amdhsa_float_round_mode_32 0
		.amdhsa_float_round_mode_16_64 0
		.amdhsa_float_denorm_mode_32 3
		.amdhsa_float_denorm_mode_16_64 3
		.amdhsa_fp16_overflow 0
		.amdhsa_memory_ordered 1
		.amdhsa_forward_progress 1
		.amdhsa_inst_pref_size 0
		.amdhsa_round_robin_scheduling 0
		.amdhsa_exception_fp_ieee_invalid_op 0
		.amdhsa_exception_fp_denorm_src 0
		.amdhsa_exception_fp_ieee_div_zero 0
		.amdhsa_exception_fp_ieee_overflow 0
		.amdhsa_exception_fp_ieee_underflow 0
		.amdhsa_exception_fp_ieee_inexact 0
		.amdhsa_exception_int_div_zero 0
	.end_amdhsa_kernel
	.section	.text._ZN7rocprim17ROCPRIM_400000_NS6detail17trampoline_kernelINS0_14default_configENS1_21merge_config_selectorINS0_5tupleIJiiEEENS0_10empty_typeEEEZNS1_10merge_implIS3_NS0_12zip_iteratorINS5_IJN6thrust23THRUST_200600_302600_NS6detail15normal_iteratorINSC_10device_ptrIKiEEEESI_EEEEESK_NSA_INS5_IJNSE_INSF_IiEEEESM_EEEEEPS7_SP_SP_NSC_11hip_rocprim7__merge17predicate_wrapperIiiNSC_4lessIiEEEEEE10hipError_tPvRmT0_T1_T2_T3_T4_T5_mmT6_P12ihipStream_tbEUlT_E0_NS1_11comp_targetILNS1_3genE5ELNS1_11target_archE942ELNS1_3gpuE9ELNS1_3repE0EEENS1_30default_config_static_selectorELNS0_4arch9wavefront6targetE0EEEvS10_,"axG",@progbits,_ZN7rocprim17ROCPRIM_400000_NS6detail17trampoline_kernelINS0_14default_configENS1_21merge_config_selectorINS0_5tupleIJiiEEENS0_10empty_typeEEEZNS1_10merge_implIS3_NS0_12zip_iteratorINS5_IJN6thrust23THRUST_200600_302600_NS6detail15normal_iteratorINSC_10device_ptrIKiEEEESI_EEEEESK_NSA_INS5_IJNSE_INSF_IiEEEESM_EEEEEPS7_SP_SP_NSC_11hip_rocprim7__merge17predicate_wrapperIiiNSC_4lessIiEEEEEE10hipError_tPvRmT0_T1_T2_T3_T4_T5_mmT6_P12ihipStream_tbEUlT_E0_NS1_11comp_targetILNS1_3genE5ELNS1_11target_archE942ELNS1_3gpuE9ELNS1_3repE0EEENS1_30default_config_static_selectorELNS0_4arch9wavefront6targetE0EEEvS10_,comdat
.Lfunc_end253:
	.size	_ZN7rocprim17ROCPRIM_400000_NS6detail17trampoline_kernelINS0_14default_configENS1_21merge_config_selectorINS0_5tupleIJiiEEENS0_10empty_typeEEEZNS1_10merge_implIS3_NS0_12zip_iteratorINS5_IJN6thrust23THRUST_200600_302600_NS6detail15normal_iteratorINSC_10device_ptrIKiEEEESI_EEEEESK_NSA_INS5_IJNSE_INSF_IiEEEESM_EEEEEPS7_SP_SP_NSC_11hip_rocprim7__merge17predicate_wrapperIiiNSC_4lessIiEEEEEE10hipError_tPvRmT0_T1_T2_T3_T4_T5_mmT6_P12ihipStream_tbEUlT_E0_NS1_11comp_targetILNS1_3genE5ELNS1_11target_archE942ELNS1_3gpuE9ELNS1_3repE0EEENS1_30default_config_static_selectorELNS0_4arch9wavefront6targetE0EEEvS10_, .Lfunc_end253-_ZN7rocprim17ROCPRIM_400000_NS6detail17trampoline_kernelINS0_14default_configENS1_21merge_config_selectorINS0_5tupleIJiiEEENS0_10empty_typeEEEZNS1_10merge_implIS3_NS0_12zip_iteratorINS5_IJN6thrust23THRUST_200600_302600_NS6detail15normal_iteratorINSC_10device_ptrIKiEEEESI_EEEEESK_NSA_INS5_IJNSE_INSF_IiEEEESM_EEEEEPS7_SP_SP_NSC_11hip_rocprim7__merge17predicate_wrapperIiiNSC_4lessIiEEEEEE10hipError_tPvRmT0_T1_T2_T3_T4_T5_mmT6_P12ihipStream_tbEUlT_E0_NS1_11comp_targetILNS1_3genE5ELNS1_11target_archE942ELNS1_3gpuE9ELNS1_3repE0EEENS1_30default_config_static_selectorELNS0_4arch9wavefront6targetE0EEEvS10_
                                        ; -- End function
	.set _ZN7rocprim17ROCPRIM_400000_NS6detail17trampoline_kernelINS0_14default_configENS1_21merge_config_selectorINS0_5tupleIJiiEEENS0_10empty_typeEEEZNS1_10merge_implIS3_NS0_12zip_iteratorINS5_IJN6thrust23THRUST_200600_302600_NS6detail15normal_iteratorINSC_10device_ptrIKiEEEESI_EEEEESK_NSA_INS5_IJNSE_INSF_IiEEEESM_EEEEEPS7_SP_SP_NSC_11hip_rocprim7__merge17predicate_wrapperIiiNSC_4lessIiEEEEEE10hipError_tPvRmT0_T1_T2_T3_T4_T5_mmT6_P12ihipStream_tbEUlT_E0_NS1_11comp_targetILNS1_3genE5ELNS1_11target_archE942ELNS1_3gpuE9ELNS1_3repE0EEENS1_30default_config_static_selectorELNS0_4arch9wavefront6targetE0EEEvS10_.num_vgpr, 0
	.set _ZN7rocprim17ROCPRIM_400000_NS6detail17trampoline_kernelINS0_14default_configENS1_21merge_config_selectorINS0_5tupleIJiiEEENS0_10empty_typeEEEZNS1_10merge_implIS3_NS0_12zip_iteratorINS5_IJN6thrust23THRUST_200600_302600_NS6detail15normal_iteratorINSC_10device_ptrIKiEEEESI_EEEEESK_NSA_INS5_IJNSE_INSF_IiEEEESM_EEEEEPS7_SP_SP_NSC_11hip_rocprim7__merge17predicate_wrapperIiiNSC_4lessIiEEEEEE10hipError_tPvRmT0_T1_T2_T3_T4_T5_mmT6_P12ihipStream_tbEUlT_E0_NS1_11comp_targetILNS1_3genE5ELNS1_11target_archE942ELNS1_3gpuE9ELNS1_3repE0EEENS1_30default_config_static_selectorELNS0_4arch9wavefront6targetE0EEEvS10_.num_agpr, 0
	.set _ZN7rocprim17ROCPRIM_400000_NS6detail17trampoline_kernelINS0_14default_configENS1_21merge_config_selectorINS0_5tupleIJiiEEENS0_10empty_typeEEEZNS1_10merge_implIS3_NS0_12zip_iteratorINS5_IJN6thrust23THRUST_200600_302600_NS6detail15normal_iteratorINSC_10device_ptrIKiEEEESI_EEEEESK_NSA_INS5_IJNSE_INSF_IiEEEESM_EEEEEPS7_SP_SP_NSC_11hip_rocprim7__merge17predicate_wrapperIiiNSC_4lessIiEEEEEE10hipError_tPvRmT0_T1_T2_T3_T4_T5_mmT6_P12ihipStream_tbEUlT_E0_NS1_11comp_targetILNS1_3genE5ELNS1_11target_archE942ELNS1_3gpuE9ELNS1_3repE0EEENS1_30default_config_static_selectorELNS0_4arch9wavefront6targetE0EEEvS10_.numbered_sgpr, 0
	.set _ZN7rocprim17ROCPRIM_400000_NS6detail17trampoline_kernelINS0_14default_configENS1_21merge_config_selectorINS0_5tupleIJiiEEENS0_10empty_typeEEEZNS1_10merge_implIS3_NS0_12zip_iteratorINS5_IJN6thrust23THRUST_200600_302600_NS6detail15normal_iteratorINSC_10device_ptrIKiEEEESI_EEEEESK_NSA_INS5_IJNSE_INSF_IiEEEESM_EEEEEPS7_SP_SP_NSC_11hip_rocprim7__merge17predicate_wrapperIiiNSC_4lessIiEEEEEE10hipError_tPvRmT0_T1_T2_T3_T4_T5_mmT6_P12ihipStream_tbEUlT_E0_NS1_11comp_targetILNS1_3genE5ELNS1_11target_archE942ELNS1_3gpuE9ELNS1_3repE0EEENS1_30default_config_static_selectorELNS0_4arch9wavefront6targetE0EEEvS10_.num_named_barrier, 0
	.set _ZN7rocprim17ROCPRIM_400000_NS6detail17trampoline_kernelINS0_14default_configENS1_21merge_config_selectorINS0_5tupleIJiiEEENS0_10empty_typeEEEZNS1_10merge_implIS3_NS0_12zip_iteratorINS5_IJN6thrust23THRUST_200600_302600_NS6detail15normal_iteratorINSC_10device_ptrIKiEEEESI_EEEEESK_NSA_INS5_IJNSE_INSF_IiEEEESM_EEEEEPS7_SP_SP_NSC_11hip_rocprim7__merge17predicate_wrapperIiiNSC_4lessIiEEEEEE10hipError_tPvRmT0_T1_T2_T3_T4_T5_mmT6_P12ihipStream_tbEUlT_E0_NS1_11comp_targetILNS1_3genE5ELNS1_11target_archE942ELNS1_3gpuE9ELNS1_3repE0EEENS1_30default_config_static_selectorELNS0_4arch9wavefront6targetE0EEEvS10_.private_seg_size, 0
	.set _ZN7rocprim17ROCPRIM_400000_NS6detail17trampoline_kernelINS0_14default_configENS1_21merge_config_selectorINS0_5tupleIJiiEEENS0_10empty_typeEEEZNS1_10merge_implIS3_NS0_12zip_iteratorINS5_IJN6thrust23THRUST_200600_302600_NS6detail15normal_iteratorINSC_10device_ptrIKiEEEESI_EEEEESK_NSA_INS5_IJNSE_INSF_IiEEEESM_EEEEEPS7_SP_SP_NSC_11hip_rocprim7__merge17predicate_wrapperIiiNSC_4lessIiEEEEEE10hipError_tPvRmT0_T1_T2_T3_T4_T5_mmT6_P12ihipStream_tbEUlT_E0_NS1_11comp_targetILNS1_3genE5ELNS1_11target_archE942ELNS1_3gpuE9ELNS1_3repE0EEENS1_30default_config_static_selectorELNS0_4arch9wavefront6targetE0EEEvS10_.uses_vcc, 0
	.set _ZN7rocprim17ROCPRIM_400000_NS6detail17trampoline_kernelINS0_14default_configENS1_21merge_config_selectorINS0_5tupleIJiiEEENS0_10empty_typeEEEZNS1_10merge_implIS3_NS0_12zip_iteratorINS5_IJN6thrust23THRUST_200600_302600_NS6detail15normal_iteratorINSC_10device_ptrIKiEEEESI_EEEEESK_NSA_INS5_IJNSE_INSF_IiEEEESM_EEEEEPS7_SP_SP_NSC_11hip_rocprim7__merge17predicate_wrapperIiiNSC_4lessIiEEEEEE10hipError_tPvRmT0_T1_T2_T3_T4_T5_mmT6_P12ihipStream_tbEUlT_E0_NS1_11comp_targetILNS1_3genE5ELNS1_11target_archE942ELNS1_3gpuE9ELNS1_3repE0EEENS1_30default_config_static_selectorELNS0_4arch9wavefront6targetE0EEEvS10_.uses_flat_scratch, 0
	.set _ZN7rocprim17ROCPRIM_400000_NS6detail17trampoline_kernelINS0_14default_configENS1_21merge_config_selectorINS0_5tupleIJiiEEENS0_10empty_typeEEEZNS1_10merge_implIS3_NS0_12zip_iteratorINS5_IJN6thrust23THRUST_200600_302600_NS6detail15normal_iteratorINSC_10device_ptrIKiEEEESI_EEEEESK_NSA_INS5_IJNSE_INSF_IiEEEESM_EEEEEPS7_SP_SP_NSC_11hip_rocprim7__merge17predicate_wrapperIiiNSC_4lessIiEEEEEE10hipError_tPvRmT0_T1_T2_T3_T4_T5_mmT6_P12ihipStream_tbEUlT_E0_NS1_11comp_targetILNS1_3genE5ELNS1_11target_archE942ELNS1_3gpuE9ELNS1_3repE0EEENS1_30default_config_static_selectorELNS0_4arch9wavefront6targetE0EEEvS10_.has_dyn_sized_stack, 0
	.set _ZN7rocprim17ROCPRIM_400000_NS6detail17trampoline_kernelINS0_14default_configENS1_21merge_config_selectorINS0_5tupleIJiiEEENS0_10empty_typeEEEZNS1_10merge_implIS3_NS0_12zip_iteratorINS5_IJN6thrust23THRUST_200600_302600_NS6detail15normal_iteratorINSC_10device_ptrIKiEEEESI_EEEEESK_NSA_INS5_IJNSE_INSF_IiEEEESM_EEEEEPS7_SP_SP_NSC_11hip_rocprim7__merge17predicate_wrapperIiiNSC_4lessIiEEEEEE10hipError_tPvRmT0_T1_T2_T3_T4_T5_mmT6_P12ihipStream_tbEUlT_E0_NS1_11comp_targetILNS1_3genE5ELNS1_11target_archE942ELNS1_3gpuE9ELNS1_3repE0EEENS1_30default_config_static_selectorELNS0_4arch9wavefront6targetE0EEEvS10_.has_recursion, 0
	.set _ZN7rocprim17ROCPRIM_400000_NS6detail17trampoline_kernelINS0_14default_configENS1_21merge_config_selectorINS0_5tupleIJiiEEENS0_10empty_typeEEEZNS1_10merge_implIS3_NS0_12zip_iteratorINS5_IJN6thrust23THRUST_200600_302600_NS6detail15normal_iteratorINSC_10device_ptrIKiEEEESI_EEEEESK_NSA_INS5_IJNSE_INSF_IiEEEESM_EEEEEPS7_SP_SP_NSC_11hip_rocprim7__merge17predicate_wrapperIiiNSC_4lessIiEEEEEE10hipError_tPvRmT0_T1_T2_T3_T4_T5_mmT6_P12ihipStream_tbEUlT_E0_NS1_11comp_targetILNS1_3genE5ELNS1_11target_archE942ELNS1_3gpuE9ELNS1_3repE0EEENS1_30default_config_static_selectorELNS0_4arch9wavefront6targetE0EEEvS10_.has_indirect_call, 0
	.section	.AMDGPU.csdata,"",@progbits
; Kernel info:
; codeLenInByte = 0
; TotalNumSgprs: 0
; NumVgprs: 0
; ScratchSize: 0
; MemoryBound: 0
; FloatMode: 240
; IeeeMode: 1
; LDSByteSize: 0 bytes/workgroup (compile time only)
; SGPRBlocks: 0
; VGPRBlocks: 0
; NumSGPRsForWavesPerEU: 1
; NumVGPRsForWavesPerEU: 1
; NamedBarCnt: 0
; Occupancy: 16
; WaveLimiterHint : 0
; COMPUTE_PGM_RSRC2:SCRATCH_EN: 0
; COMPUTE_PGM_RSRC2:USER_SGPR: 2
; COMPUTE_PGM_RSRC2:TRAP_HANDLER: 0
; COMPUTE_PGM_RSRC2:TGID_X_EN: 1
; COMPUTE_PGM_RSRC2:TGID_Y_EN: 0
; COMPUTE_PGM_RSRC2:TGID_Z_EN: 0
; COMPUTE_PGM_RSRC2:TIDIG_COMP_CNT: 0
	.section	.text._ZN7rocprim17ROCPRIM_400000_NS6detail17trampoline_kernelINS0_14default_configENS1_21merge_config_selectorINS0_5tupleIJiiEEENS0_10empty_typeEEEZNS1_10merge_implIS3_NS0_12zip_iteratorINS5_IJN6thrust23THRUST_200600_302600_NS6detail15normal_iteratorINSC_10device_ptrIKiEEEESI_EEEEESK_NSA_INS5_IJNSE_INSF_IiEEEESM_EEEEEPS7_SP_SP_NSC_11hip_rocprim7__merge17predicate_wrapperIiiNSC_4lessIiEEEEEE10hipError_tPvRmT0_T1_T2_T3_T4_T5_mmT6_P12ihipStream_tbEUlT_E0_NS1_11comp_targetILNS1_3genE4ELNS1_11target_archE910ELNS1_3gpuE8ELNS1_3repE0EEENS1_30default_config_static_selectorELNS0_4arch9wavefront6targetE0EEEvS10_,"axG",@progbits,_ZN7rocprim17ROCPRIM_400000_NS6detail17trampoline_kernelINS0_14default_configENS1_21merge_config_selectorINS0_5tupleIJiiEEENS0_10empty_typeEEEZNS1_10merge_implIS3_NS0_12zip_iteratorINS5_IJN6thrust23THRUST_200600_302600_NS6detail15normal_iteratorINSC_10device_ptrIKiEEEESI_EEEEESK_NSA_INS5_IJNSE_INSF_IiEEEESM_EEEEEPS7_SP_SP_NSC_11hip_rocprim7__merge17predicate_wrapperIiiNSC_4lessIiEEEEEE10hipError_tPvRmT0_T1_T2_T3_T4_T5_mmT6_P12ihipStream_tbEUlT_E0_NS1_11comp_targetILNS1_3genE4ELNS1_11target_archE910ELNS1_3gpuE8ELNS1_3repE0EEENS1_30default_config_static_selectorELNS0_4arch9wavefront6targetE0EEEvS10_,comdat
	.protected	_ZN7rocprim17ROCPRIM_400000_NS6detail17trampoline_kernelINS0_14default_configENS1_21merge_config_selectorINS0_5tupleIJiiEEENS0_10empty_typeEEEZNS1_10merge_implIS3_NS0_12zip_iteratorINS5_IJN6thrust23THRUST_200600_302600_NS6detail15normal_iteratorINSC_10device_ptrIKiEEEESI_EEEEESK_NSA_INS5_IJNSE_INSF_IiEEEESM_EEEEEPS7_SP_SP_NSC_11hip_rocprim7__merge17predicate_wrapperIiiNSC_4lessIiEEEEEE10hipError_tPvRmT0_T1_T2_T3_T4_T5_mmT6_P12ihipStream_tbEUlT_E0_NS1_11comp_targetILNS1_3genE4ELNS1_11target_archE910ELNS1_3gpuE8ELNS1_3repE0EEENS1_30default_config_static_selectorELNS0_4arch9wavefront6targetE0EEEvS10_ ; -- Begin function _ZN7rocprim17ROCPRIM_400000_NS6detail17trampoline_kernelINS0_14default_configENS1_21merge_config_selectorINS0_5tupleIJiiEEENS0_10empty_typeEEEZNS1_10merge_implIS3_NS0_12zip_iteratorINS5_IJN6thrust23THRUST_200600_302600_NS6detail15normal_iteratorINSC_10device_ptrIKiEEEESI_EEEEESK_NSA_INS5_IJNSE_INSF_IiEEEESM_EEEEEPS7_SP_SP_NSC_11hip_rocprim7__merge17predicate_wrapperIiiNSC_4lessIiEEEEEE10hipError_tPvRmT0_T1_T2_T3_T4_T5_mmT6_P12ihipStream_tbEUlT_E0_NS1_11comp_targetILNS1_3genE4ELNS1_11target_archE910ELNS1_3gpuE8ELNS1_3repE0EEENS1_30default_config_static_selectorELNS0_4arch9wavefront6targetE0EEEvS10_
	.globl	_ZN7rocprim17ROCPRIM_400000_NS6detail17trampoline_kernelINS0_14default_configENS1_21merge_config_selectorINS0_5tupleIJiiEEENS0_10empty_typeEEEZNS1_10merge_implIS3_NS0_12zip_iteratorINS5_IJN6thrust23THRUST_200600_302600_NS6detail15normal_iteratorINSC_10device_ptrIKiEEEESI_EEEEESK_NSA_INS5_IJNSE_INSF_IiEEEESM_EEEEEPS7_SP_SP_NSC_11hip_rocprim7__merge17predicate_wrapperIiiNSC_4lessIiEEEEEE10hipError_tPvRmT0_T1_T2_T3_T4_T5_mmT6_P12ihipStream_tbEUlT_E0_NS1_11comp_targetILNS1_3genE4ELNS1_11target_archE910ELNS1_3gpuE8ELNS1_3repE0EEENS1_30default_config_static_selectorELNS0_4arch9wavefront6targetE0EEEvS10_
	.p2align	8
	.type	_ZN7rocprim17ROCPRIM_400000_NS6detail17trampoline_kernelINS0_14default_configENS1_21merge_config_selectorINS0_5tupleIJiiEEENS0_10empty_typeEEEZNS1_10merge_implIS3_NS0_12zip_iteratorINS5_IJN6thrust23THRUST_200600_302600_NS6detail15normal_iteratorINSC_10device_ptrIKiEEEESI_EEEEESK_NSA_INS5_IJNSE_INSF_IiEEEESM_EEEEEPS7_SP_SP_NSC_11hip_rocprim7__merge17predicate_wrapperIiiNSC_4lessIiEEEEEE10hipError_tPvRmT0_T1_T2_T3_T4_T5_mmT6_P12ihipStream_tbEUlT_E0_NS1_11comp_targetILNS1_3genE4ELNS1_11target_archE910ELNS1_3gpuE8ELNS1_3repE0EEENS1_30default_config_static_selectorELNS0_4arch9wavefront6targetE0EEEvS10_,@function
_ZN7rocprim17ROCPRIM_400000_NS6detail17trampoline_kernelINS0_14default_configENS1_21merge_config_selectorINS0_5tupleIJiiEEENS0_10empty_typeEEEZNS1_10merge_implIS3_NS0_12zip_iteratorINS5_IJN6thrust23THRUST_200600_302600_NS6detail15normal_iteratorINSC_10device_ptrIKiEEEESI_EEEEESK_NSA_INS5_IJNSE_INSF_IiEEEESM_EEEEEPS7_SP_SP_NSC_11hip_rocprim7__merge17predicate_wrapperIiiNSC_4lessIiEEEEEE10hipError_tPvRmT0_T1_T2_T3_T4_T5_mmT6_P12ihipStream_tbEUlT_E0_NS1_11comp_targetILNS1_3genE4ELNS1_11target_archE910ELNS1_3gpuE8ELNS1_3repE0EEENS1_30default_config_static_selectorELNS0_4arch9wavefront6targetE0EEEvS10_: ; @_ZN7rocprim17ROCPRIM_400000_NS6detail17trampoline_kernelINS0_14default_configENS1_21merge_config_selectorINS0_5tupleIJiiEEENS0_10empty_typeEEEZNS1_10merge_implIS3_NS0_12zip_iteratorINS5_IJN6thrust23THRUST_200600_302600_NS6detail15normal_iteratorINSC_10device_ptrIKiEEEESI_EEEEESK_NSA_INS5_IJNSE_INSF_IiEEEESM_EEEEEPS7_SP_SP_NSC_11hip_rocprim7__merge17predicate_wrapperIiiNSC_4lessIiEEEEEE10hipError_tPvRmT0_T1_T2_T3_T4_T5_mmT6_P12ihipStream_tbEUlT_E0_NS1_11comp_targetILNS1_3genE4ELNS1_11target_archE910ELNS1_3gpuE8ELNS1_3repE0EEENS1_30default_config_static_selectorELNS0_4arch9wavefront6targetE0EEEvS10_
; %bb.0:
	.section	.rodata,"a",@progbits
	.p2align	6, 0x0
	.amdhsa_kernel _ZN7rocprim17ROCPRIM_400000_NS6detail17trampoline_kernelINS0_14default_configENS1_21merge_config_selectorINS0_5tupleIJiiEEENS0_10empty_typeEEEZNS1_10merge_implIS3_NS0_12zip_iteratorINS5_IJN6thrust23THRUST_200600_302600_NS6detail15normal_iteratorINSC_10device_ptrIKiEEEESI_EEEEESK_NSA_INS5_IJNSE_INSF_IiEEEESM_EEEEEPS7_SP_SP_NSC_11hip_rocprim7__merge17predicate_wrapperIiiNSC_4lessIiEEEEEE10hipError_tPvRmT0_T1_T2_T3_T4_T5_mmT6_P12ihipStream_tbEUlT_E0_NS1_11comp_targetILNS1_3genE4ELNS1_11target_archE910ELNS1_3gpuE8ELNS1_3repE0EEENS1_30default_config_static_selectorELNS0_4arch9wavefront6targetE0EEEvS10_
		.amdhsa_group_segment_fixed_size 0
		.amdhsa_private_segment_fixed_size 0
		.amdhsa_kernarg_size 112
		.amdhsa_user_sgpr_count 2
		.amdhsa_user_sgpr_dispatch_ptr 0
		.amdhsa_user_sgpr_queue_ptr 0
		.amdhsa_user_sgpr_kernarg_segment_ptr 1
		.amdhsa_user_sgpr_dispatch_id 0
		.amdhsa_user_sgpr_kernarg_preload_length 0
		.amdhsa_user_sgpr_kernarg_preload_offset 0
		.amdhsa_user_sgpr_private_segment_size 0
		.amdhsa_wavefront_size32 1
		.amdhsa_uses_dynamic_stack 0
		.amdhsa_enable_private_segment 0
		.amdhsa_system_sgpr_workgroup_id_x 1
		.amdhsa_system_sgpr_workgroup_id_y 0
		.amdhsa_system_sgpr_workgroup_id_z 0
		.amdhsa_system_sgpr_workgroup_info 0
		.amdhsa_system_vgpr_workitem_id 0
		.amdhsa_next_free_vgpr 1
		.amdhsa_next_free_sgpr 1
		.amdhsa_named_barrier_count 0
		.amdhsa_reserve_vcc 0
		.amdhsa_float_round_mode_32 0
		.amdhsa_float_round_mode_16_64 0
		.amdhsa_float_denorm_mode_32 3
		.amdhsa_float_denorm_mode_16_64 3
		.amdhsa_fp16_overflow 0
		.amdhsa_memory_ordered 1
		.amdhsa_forward_progress 1
		.amdhsa_inst_pref_size 0
		.amdhsa_round_robin_scheduling 0
		.amdhsa_exception_fp_ieee_invalid_op 0
		.amdhsa_exception_fp_denorm_src 0
		.amdhsa_exception_fp_ieee_div_zero 0
		.amdhsa_exception_fp_ieee_overflow 0
		.amdhsa_exception_fp_ieee_underflow 0
		.amdhsa_exception_fp_ieee_inexact 0
		.amdhsa_exception_int_div_zero 0
	.end_amdhsa_kernel
	.section	.text._ZN7rocprim17ROCPRIM_400000_NS6detail17trampoline_kernelINS0_14default_configENS1_21merge_config_selectorINS0_5tupleIJiiEEENS0_10empty_typeEEEZNS1_10merge_implIS3_NS0_12zip_iteratorINS5_IJN6thrust23THRUST_200600_302600_NS6detail15normal_iteratorINSC_10device_ptrIKiEEEESI_EEEEESK_NSA_INS5_IJNSE_INSF_IiEEEESM_EEEEEPS7_SP_SP_NSC_11hip_rocprim7__merge17predicate_wrapperIiiNSC_4lessIiEEEEEE10hipError_tPvRmT0_T1_T2_T3_T4_T5_mmT6_P12ihipStream_tbEUlT_E0_NS1_11comp_targetILNS1_3genE4ELNS1_11target_archE910ELNS1_3gpuE8ELNS1_3repE0EEENS1_30default_config_static_selectorELNS0_4arch9wavefront6targetE0EEEvS10_,"axG",@progbits,_ZN7rocprim17ROCPRIM_400000_NS6detail17trampoline_kernelINS0_14default_configENS1_21merge_config_selectorINS0_5tupleIJiiEEENS0_10empty_typeEEEZNS1_10merge_implIS3_NS0_12zip_iteratorINS5_IJN6thrust23THRUST_200600_302600_NS6detail15normal_iteratorINSC_10device_ptrIKiEEEESI_EEEEESK_NSA_INS5_IJNSE_INSF_IiEEEESM_EEEEEPS7_SP_SP_NSC_11hip_rocprim7__merge17predicate_wrapperIiiNSC_4lessIiEEEEEE10hipError_tPvRmT0_T1_T2_T3_T4_T5_mmT6_P12ihipStream_tbEUlT_E0_NS1_11comp_targetILNS1_3genE4ELNS1_11target_archE910ELNS1_3gpuE8ELNS1_3repE0EEENS1_30default_config_static_selectorELNS0_4arch9wavefront6targetE0EEEvS10_,comdat
.Lfunc_end254:
	.size	_ZN7rocprim17ROCPRIM_400000_NS6detail17trampoline_kernelINS0_14default_configENS1_21merge_config_selectorINS0_5tupleIJiiEEENS0_10empty_typeEEEZNS1_10merge_implIS3_NS0_12zip_iteratorINS5_IJN6thrust23THRUST_200600_302600_NS6detail15normal_iteratorINSC_10device_ptrIKiEEEESI_EEEEESK_NSA_INS5_IJNSE_INSF_IiEEEESM_EEEEEPS7_SP_SP_NSC_11hip_rocprim7__merge17predicate_wrapperIiiNSC_4lessIiEEEEEE10hipError_tPvRmT0_T1_T2_T3_T4_T5_mmT6_P12ihipStream_tbEUlT_E0_NS1_11comp_targetILNS1_3genE4ELNS1_11target_archE910ELNS1_3gpuE8ELNS1_3repE0EEENS1_30default_config_static_selectorELNS0_4arch9wavefront6targetE0EEEvS10_, .Lfunc_end254-_ZN7rocprim17ROCPRIM_400000_NS6detail17trampoline_kernelINS0_14default_configENS1_21merge_config_selectorINS0_5tupleIJiiEEENS0_10empty_typeEEEZNS1_10merge_implIS3_NS0_12zip_iteratorINS5_IJN6thrust23THRUST_200600_302600_NS6detail15normal_iteratorINSC_10device_ptrIKiEEEESI_EEEEESK_NSA_INS5_IJNSE_INSF_IiEEEESM_EEEEEPS7_SP_SP_NSC_11hip_rocprim7__merge17predicate_wrapperIiiNSC_4lessIiEEEEEE10hipError_tPvRmT0_T1_T2_T3_T4_T5_mmT6_P12ihipStream_tbEUlT_E0_NS1_11comp_targetILNS1_3genE4ELNS1_11target_archE910ELNS1_3gpuE8ELNS1_3repE0EEENS1_30default_config_static_selectorELNS0_4arch9wavefront6targetE0EEEvS10_
                                        ; -- End function
	.set _ZN7rocprim17ROCPRIM_400000_NS6detail17trampoline_kernelINS0_14default_configENS1_21merge_config_selectorINS0_5tupleIJiiEEENS0_10empty_typeEEEZNS1_10merge_implIS3_NS0_12zip_iteratorINS5_IJN6thrust23THRUST_200600_302600_NS6detail15normal_iteratorINSC_10device_ptrIKiEEEESI_EEEEESK_NSA_INS5_IJNSE_INSF_IiEEEESM_EEEEEPS7_SP_SP_NSC_11hip_rocprim7__merge17predicate_wrapperIiiNSC_4lessIiEEEEEE10hipError_tPvRmT0_T1_T2_T3_T4_T5_mmT6_P12ihipStream_tbEUlT_E0_NS1_11comp_targetILNS1_3genE4ELNS1_11target_archE910ELNS1_3gpuE8ELNS1_3repE0EEENS1_30default_config_static_selectorELNS0_4arch9wavefront6targetE0EEEvS10_.num_vgpr, 0
	.set _ZN7rocprim17ROCPRIM_400000_NS6detail17trampoline_kernelINS0_14default_configENS1_21merge_config_selectorINS0_5tupleIJiiEEENS0_10empty_typeEEEZNS1_10merge_implIS3_NS0_12zip_iteratorINS5_IJN6thrust23THRUST_200600_302600_NS6detail15normal_iteratorINSC_10device_ptrIKiEEEESI_EEEEESK_NSA_INS5_IJNSE_INSF_IiEEEESM_EEEEEPS7_SP_SP_NSC_11hip_rocprim7__merge17predicate_wrapperIiiNSC_4lessIiEEEEEE10hipError_tPvRmT0_T1_T2_T3_T4_T5_mmT6_P12ihipStream_tbEUlT_E0_NS1_11comp_targetILNS1_3genE4ELNS1_11target_archE910ELNS1_3gpuE8ELNS1_3repE0EEENS1_30default_config_static_selectorELNS0_4arch9wavefront6targetE0EEEvS10_.num_agpr, 0
	.set _ZN7rocprim17ROCPRIM_400000_NS6detail17trampoline_kernelINS0_14default_configENS1_21merge_config_selectorINS0_5tupleIJiiEEENS0_10empty_typeEEEZNS1_10merge_implIS3_NS0_12zip_iteratorINS5_IJN6thrust23THRUST_200600_302600_NS6detail15normal_iteratorINSC_10device_ptrIKiEEEESI_EEEEESK_NSA_INS5_IJNSE_INSF_IiEEEESM_EEEEEPS7_SP_SP_NSC_11hip_rocprim7__merge17predicate_wrapperIiiNSC_4lessIiEEEEEE10hipError_tPvRmT0_T1_T2_T3_T4_T5_mmT6_P12ihipStream_tbEUlT_E0_NS1_11comp_targetILNS1_3genE4ELNS1_11target_archE910ELNS1_3gpuE8ELNS1_3repE0EEENS1_30default_config_static_selectorELNS0_4arch9wavefront6targetE0EEEvS10_.numbered_sgpr, 0
	.set _ZN7rocprim17ROCPRIM_400000_NS6detail17trampoline_kernelINS0_14default_configENS1_21merge_config_selectorINS0_5tupleIJiiEEENS0_10empty_typeEEEZNS1_10merge_implIS3_NS0_12zip_iteratorINS5_IJN6thrust23THRUST_200600_302600_NS6detail15normal_iteratorINSC_10device_ptrIKiEEEESI_EEEEESK_NSA_INS5_IJNSE_INSF_IiEEEESM_EEEEEPS7_SP_SP_NSC_11hip_rocprim7__merge17predicate_wrapperIiiNSC_4lessIiEEEEEE10hipError_tPvRmT0_T1_T2_T3_T4_T5_mmT6_P12ihipStream_tbEUlT_E0_NS1_11comp_targetILNS1_3genE4ELNS1_11target_archE910ELNS1_3gpuE8ELNS1_3repE0EEENS1_30default_config_static_selectorELNS0_4arch9wavefront6targetE0EEEvS10_.num_named_barrier, 0
	.set _ZN7rocprim17ROCPRIM_400000_NS6detail17trampoline_kernelINS0_14default_configENS1_21merge_config_selectorINS0_5tupleIJiiEEENS0_10empty_typeEEEZNS1_10merge_implIS3_NS0_12zip_iteratorINS5_IJN6thrust23THRUST_200600_302600_NS6detail15normal_iteratorINSC_10device_ptrIKiEEEESI_EEEEESK_NSA_INS5_IJNSE_INSF_IiEEEESM_EEEEEPS7_SP_SP_NSC_11hip_rocprim7__merge17predicate_wrapperIiiNSC_4lessIiEEEEEE10hipError_tPvRmT0_T1_T2_T3_T4_T5_mmT6_P12ihipStream_tbEUlT_E0_NS1_11comp_targetILNS1_3genE4ELNS1_11target_archE910ELNS1_3gpuE8ELNS1_3repE0EEENS1_30default_config_static_selectorELNS0_4arch9wavefront6targetE0EEEvS10_.private_seg_size, 0
	.set _ZN7rocprim17ROCPRIM_400000_NS6detail17trampoline_kernelINS0_14default_configENS1_21merge_config_selectorINS0_5tupleIJiiEEENS0_10empty_typeEEEZNS1_10merge_implIS3_NS0_12zip_iteratorINS5_IJN6thrust23THRUST_200600_302600_NS6detail15normal_iteratorINSC_10device_ptrIKiEEEESI_EEEEESK_NSA_INS5_IJNSE_INSF_IiEEEESM_EEEEEPS7_SP_SP_NSC_11hip_rocprim7__merge17predicate_wrapperIiiNSC_4lessIiEEEEEE10hipError_tPvRmT0_T1_T2_T3_T4_T5_mmT6_P12ihipStream_tbEUlT_E0_NS1_11comp_targetILNS1_3genE4ELNS1_11target_archE910ELNS1_3gpuE8ELNS1_3repE0EEENS1_30default_config_static_selectorELNS0_4arch9wavefront6targetE0EEEvS10_.uses_vcc, 0
	.set _ZN7rocprim17ROCPRIM_400000_NS6detail17trampoline_kernelINS0_14default_configENS1_21merge_config_selectorINS0_5tupleIJiiEEENS0_10empty_typeEEEZNS1_10merge_implIS3_NS0_12zip_iteratorINS5_IJN6thrust23THRUST_200600_302600_NS6detail15normal_iteratorINSC_10device_ptrIKiEEEESI_EEEEESK_NSA_INS5_IJNSE_INSF_IiEEEESM_EEEEEPS7_SP_SP_NSC_11hip_rocprim7__merge17predicate_wrapperIiiNSC_4lessIiEEEEEE10hipError_tPvRmT0_T1_T2_T3_T4_T5_mmT6_P12ihipStream_tbEUlT_E0_NS1_11comp_targetILNS1_3genE4ELNS1_11target_archE910ELNS1_3gpuE8ELNS1_3repE0EEENS1_30default_config_static_selectorELNS0_4arch9wavefront6targetE0EEEvS10_.uses_flat_scratch, 0
	.set _ZN7rocprim17ROCPRIM_400000_NS6detail17trampoline_kernelINS0_14default_configENS1_21merge_config_selectorINS0_5tupleIJiiEEENS0_10empty_typeEEEZNS1_10merge_implIS3_NS0_12zip_iteratorINS5_IJN6thrust23THRUST_200600_302600_NS6detail15normal_iteratorINSC_10device_ptrIKiEEEESI_EEEEESK_NSA_INS5_IJNSE_INSF_IiEEEESM_EEEEEPS7_SP_SP_NSC_11hip_rocprim7__merge17predicate_wrapperIiiNSC_4lessIiEEEEEE10hipError_tPvRmT0_T1_T2_T3_T4_T5_mmT6_P12ihipStream_tbEUlT_E0_NS1_11comp_targetILNS1_3genE4ELNS1_11target_archE910ELNS1_3gpuE8ELNS1_3repE0EEENS1_30default_config_static_selectorELNS0_4arch9wavefront6targetE0EEEvS10_.has_dyn_sized_stack, 0
	.set _ZN7rocprim17ROCPRIM_400000_NS6detail17trampoline_kernelINS0_14default_configENS1_21merge_config_selectorINS0_5tupleIJiiEEENS0_10empty_typeEEEZNS1_10merge_implIS3_NS0_12zip_iteratorINS5_IJN6thrust23THRUST_200600_302600_NS6detail15normal_iteratorINSC_10device_ptrIKiEEEESI_EEEEESK_NSA_INS5_IJNSE_INSF_IiEEEESM_EEEEEPS7_SP_SP_NSC_11hip_rocprim7__merge17predicate_wrapperIiiNSC_4lessIiEEEEEE10hipError_tPvRmT0_T1_T2_T3_T4_T5_mmT6_P12ihipStream_tbEUlT_E0_NS1_11comp_targetILNS1_3genE4ELNS1_11target_archE910ELNS1_3gpuE8ELNS1_3repE0EEENS1_30default_config_static_selectorELNS0_4arch9wavefront6targetE0EEEvS10_.has_recursion, 0
	.set _ZN7rocprim17ROCPRIM_400000_NS6detail17trampoline_kernelINS0_14default_configENS1_21merge_config_selectorINS0_5tupleIJiiEEENS0_10empty_typeEEEZNS1_10merge_implIS3_NS0_12zip_iteratorINS5_IJN6thrust23THRUST_200600_302600_NS6detail15normal_iteratorINSC_10device_ptrIKiEEEESI_EEEEESK_NSA_INS5_IJNSE_INSF_IiEEEESM_EEEEEPS7_SP_SP_NSC_11hip_rocprim7__merge17predicate_wrapperIiiNSC_4lessIiEEEEEE10hipError_tPvRmT0_T1_T2_T3_T4_T5_mmT6_P12ihipStream_tbEUlT_E0_NS1_11comp_targetILNS1_3genE4ELNS1_11target_archE910ELNS1_3gpuE8ELNS1_3repE0EEENS1_30default_config_static_selectorELNS0_4arch9wavefront6targetE0EEEvS10_.has_indirect_call, 0
	.section	.AMDGPU.csdata,"",@progbits
; Kernel info:
; codeLenInByte = 0
; TotalNumSgprs: 0
; NumVgprs: 0
; ScratchSize: 0
; MemoryBound: 0
; FloatMode: 240
; IeeeMode: 1
; LDSByteSize: 0 bytes/workgroup (compile time only)
; SGPRBlocks: 0
; VGPRBlocks: 0
; NumSGPRsForWavesPerEU: 1
; NumVGPRsForWavesPerEU: 1
; NamedBarCnt: 0
; Occupancy: 16
; WaveLimiterHint : 0
; COMPUTE_PGM_RSRC2:SCRATCH_EN: 0
; COMPUTE_PGM_RSRC2:USER_SGPR: 2
; COMPUTE_PGM_RSRC2:TRAP_HANDLER: 0
; COMPUTE_PGM_RSRC2:TGID_X_EN: 1
; COMPUTE_PGM_RSRC2:TGID_Y_EN: 0
; COMPUTE_PGM_RSRC2:TGID_Z_EN: 0
; COMPUTE_PGM_RSRC2:TIDIG_COMP_CNT: 0
	.section	.text._ZN7rocprim17ROCPRIM_400000_NS6detail17trampoline_kernelINS0_14default_configENS1_21merge_config_selectorINS0_5tupleIJiiEEENS0_10empty_typeEEEZNS1_10merge_implIS3_NS0_12zip_iteratorINS5_IJN6thrust23THRUST_200600_302600_NS6detail15normal_iteratorINSC_10device_ptrIKiEEEESI_EEEEESK_NSA_INS5_IJNSE_INSF_IiEEEESM_EEEEEPS7_SP_SP_NSC_11hip_rocprim7__merge17predicate_wrapperIiiNSC_4lessIiEEEEEE10hipError_tPvRmT0_T1_T2_T3_T4_T5_mmT6_P12ihipStream_tbEUlT_E0_NS1_11comp_targetILNS1_3genE3ELNS1_11target_archE908ELNS1_3gpuE7ELNS1_3repE0EEENS1_30default_config_static_selectorELNS0_4arch9wavefront6targetE0EEEvS10_,"axG",@progbits,_ZN7rocprim17ROCPRIM_400000_NS6detail17trampoline_kernelINS0_14default_configENS1_21merge_config_selectorINS0_5tupleIJiiEEENS0_10empty_typeEEEZNS1_10merge_implIS3_NS0_12zip_iteratorINS5_IJN6thrust23THRUST_200600_302600_NS6detail15normal_iteratorINSC_10device_ptrIKiEEEESI_EEEEESK_NSA_INS5_IJNSE_INSF_IiEEEESM_EEEEEPS7_SP_SP_NSC_11hip_rocprim7__merge17predicate_wrapperIiiNSC_4lessIiEEEEEE10hipError_tPvRmT0_T1_T2_T3_T4_T5_mmT6_P12ihipStream_tbEUlT_E0_NS1_11comp_targetILNS1_3genE3ELNS1_11target_archE908ELNS1_3gpuE7ELNS1_3repE0EEENS1_30default_config_static_selectorELNS0_4arch9wavefront6targetE0EEEvS10_,comdat
	.protected	_ZN7rocprim17ROCPRIM_400000_NS6detail17trampoline_kernelINS0_14default_configENS1_21merge_config_selectorINS0_5tupleIJiiEEENS0_10empty_typeEEEZNS1_10merge_implIS3_NS0_12zip_iteratorINS5_IJN6thrust23THRUST_200600_302600_NS6detail15normal_iteratorINSC_10device_ptrIKiEEEESI_EEEEESK_NSA_INS5_IJNSE_INSF_IiEEEESM_EEEEEPS7_SP_SP_NSC_11hip_rocprim7__merge17predicate_wrapperIiiNSC_4lessIiEEEEEE10hipError_tPvRmT0_T1_T2_T3_T4_T5_mmT6_P12ihipStream_tbEUlT_E0_NS1_11comp_targetILNS1_3genE3ELNS1_11target_archE908ELNS1_3gpuE7ELNS1_3repE0EEENS1_30default_config_static_selectorELNS0_4arch9wavefront6targetE0EEEvS10_ ; -- Begin function _ZN7rocprim17ROCPRIM_400000_NS6detail17trampoline_kernelINS0_14default_configENS1_21merge_config_selectorINS0_5tupleIJiiEEENS0_10empty_typeEEEZNS1_10merge_implIS3_NS0_12zip_iteratorINS5_IJN6thrust23THRUST_200600_302600_NS6detail15normal_iteratorINSC_10device_ptrIKiEEEESI_EEEEESK_NSA_INS5_IJNSE_INSF_IiEEEESM_EEEEEPS7_SP_SP_NSC_11hip_rocprim7__merge17predicate_wrapperIiiNSC_4lessIiEEEEEE10hipError_tPvRmT0_T1_T2_T3_T4_T5_mmT6_P12ihipStream_tbEUlT_E0_NS1_11comp_targetILNS1_3genE3ELNS1_11target_archE908ELNS1_3gpuE7ELNS1_3repE0EEENS1_30default_config_static_selectorELNS0_4arch9wavefront6targetE0EEEvS10_
	.globl	_ZN7rocprim17ROCPRIM_400000_NS6detail17trampoline_kernelINS0_14default_configENS1_21merge_config_selectorINS0_5tupleIJiiEEENS0_10empty_typeEEEZNS1_10merge_implIS3_NS0_12zip_iteratorINS5_IJN6thrust23THRUST_200600_302600_NS6detail15normal_iteratorINSC_10device_ptrIKiEEEESI_EEEEESK_NSA_INS5_IJNSE_INSF_IiEEEESM_EEEEEPS7_SP_SP_NSC_11hip_rocprim7__merge17predicate_wrapperIiiNSC_4lessIiEEEEEE10hipError_tPvRmT0_T1_T2_T3_T4_T5_mmT6_P12ihipStream_tbEUlT_E0_NS1_11comp_targetILNS1_3genE3ELNS1_11target_archE908ELNS1_3gpuE7ELNS1_3repE0EEENS1_30default_config_static_selectorELNS0_4arch9wavefront6targetE0EEEvS10_
	.p2align	8
	.type	_ZN7rocprim17ROCPRIM_400000_NS6detail17trampoline_kernelINS0_14default_configENS1_21merge_config_selectorINS0_5tupleIJiiEEENS0_10empty_typeEEEZNS1_10merge_implIS3_NS0_12zip_iteratorINS5_IJN6thrust23THRUST_200600_302600_NS6detail15normal_iteratorINSC_10device_ptrIKiEEEESI_EEEEESK_NSA_INS5_IJNSE_INSF_IiEEEESM_EEEEEPS7_SP_SP_NSC_11hip_rocprim7__merge17predicate_wrapperIiiNSC_4lessIiEEEEEE10hipError_tPvRmT0_T1_T2_T3_T4_T5_mmT6_P12ihipStream_tbEUlT_E0_NS1_11comp_targetILNS1_3genE3ELNS1_11target_archE908ELNS1_3gpuE7ELNS1_3repE0EEENS1_30default_config_static_selectorELNS0_4arch9wavefront6targetE0EEEvS10_,@function
_ZN7rocprim17ROCPRIM_400000_NS6detail17trampoline_kernelINS0_14default_configENS1_21merge_config_selectorINS0_5tupleIJiiEEENS0_10empty_typeEEEZNS1_10merge_implIS3_NS0_12zip_iteratorINS5_IJN6thrust23THRUST_200600_302600_NS6detail15normal_iteratorINSC_10device_ptrIKiEEEESI_EEEEESK_NSA_INS5_IJNSE_INSF_IiEEEESM_EEEEEPS7_SP_SP_NSC_11hip_rocprim7__merge17predicate_wrapperIiiNSC_4lessIiEEEEEE10hipError_tPvRmT0_T1_T2_T3_T4_T5_mmT6_P12ihipStream_tbEUlT_E0_NS1_11comp_targetILNS1_3genE3ELNS1_11target_archE908ELNS1_3gpuE7ELNS1_3repE0EEENS1_30default_config_static_selectorELNS0_4arch9wavefront6targetE0EEEvS10_: ; @_ZN7rocprim17ROCPRIM_400000_NS6detail17trampoline_kernelINS0_14default_configENS1_21merge_config_selectorINS0_5tupleIJiiEEENS0_10empty_typeEEEZNS1_10merge_implIS3_NS0_12zip_iteratorINS5_IJN6thrust23THRUST_200600_302600_NS6detail15normal_iteratorINSC_10device_ptrIKiEEEESI_EEEEESK_NSA_INS5_IJNSE_INSF_IiEEEESM_EEEEEPS7_SP_SP_NSC_11hip_rocprim7__merge17predicate_wrapperIiiNSC_4lessIiEEEEEE10hipError_tPvRmT0_T1_T2_T3_T4_T5_mmT6_P12ihipStream_tbEUlT_E0_NS1_11comp_targetILNS1_3genE3ELNS1_11target_archE908ELNS1_3gpuE7ELNS1_3repE0EEENS1_30default_config_static_selectorELNS0_4arch9wavefront6targetE0EEEvS10_
; %bb.0:
	.section	.rodata,"a",@progbits
	.p2align	6, 0x0
	.amdhsa_kernel _ZN7rocprim17ROCPRIM_400000_NS6detail17trampoline_kernelINS0_14default_configENS1_21merge_config_selectorINS0_5tupleIJiiEEENS0_10empty_typeEEEZNS1_10merge_implIS3_NS0_12zip_iteratorINS5_IJN6thrust23THRUST_200600_302600_NS6detail15normal_iteratorINSC_10device_ptrIKiEEEESI_EEEEESK_NSA_INS5_IJNSE_INSF_IiEEEESM_EEEEEPS7_SP_SP_NSC_11hip_rocprim7__merge17predicate_wrapperIiiNSC_4lessIiEEEEEE10hipError_tPvRmT0_T1_T2_T3_T4_T5_mmT6_P12ihipStream_tbEUlT_E0_NS1_11comp_targetILNS1_3genE3ELNS1_11target_archE908ELNS1_3gpuE7ELNS1_3repE0EEENS1_30default_config_static_selectorELNS0_4arch9wavefront6targetE0EEEvS10_
		.amdhsa_group_segment_fixed_size 0
		.amdhsa_private_segment_fixed_size 0
		.amdhsa_kernarg_size 112
		.amdhsa_user_sgpr_count 2
		.amdhsa_user_sgpr_dispatch_ptr 0
		.amdhsa_user_sgpr_queue_ptr 0
		.amdhsa_user_sgpr_kernarg_segment_ptr 1
		.amdhsa_user_sgpr_dispatch_id 0
		.amdhsa_user_sgpr_kernarg_preload_length 0
		.amdhsa_user_sgpr_kernarg_preload_offset 0
		.amdhsa_user_sgpr_private_segment_size 0
		.amdhsa_wavefront_size32 1
		.amdhsa_uses_dynamic_stack 0
		.amdhsa_enable_private_segment 0
		.amdhsa_system_sgpr_workgroup_id_x 1
		.amdhsa_system_sgpr_workgroup_id_y 0
		.amdhsa_system_sgpr_workgroup_id_z 0
		.amdhsa_system_sgpr_workgroup_info 0
		.amdhsa_system_vgpr_workitem_id 0
		.amdhsa_next_free_vgpr 1
		.amdhsa_next_free_sgpr 1
		.amdhsa_named_barrier_count 0
		.amdhsa_reserve_vcc 0
		.amdhsa_float_round_mode_32 0
		.amdhsa_float_round_mode_16_64 0
		.amdhsa_float_denorm_mode_32 3
		.amdhsa_float_denorm_mode_16_64 3
		.amdhsa_fp16_overflow 0
		.amdhsa_memory_ordered 1
		.amdhsa_forward_progress 1
		.amdhsa_inst_pref_size 0
		.amdhsa_round_robin_scheduling 0
		.amdhsa_exception_fp_ieee_invalid_op 0
		.amdhsa_exception_fp_denorm_src 0
		.amdhsa_exception_fp_ieee_div_zero 0
		.amdhsa_exception_fp_ieee_overflow 0
		.amdhsa_exception_fp_ieee_underflow 0
		.amdhsa_exception_fp_ieee_inexact 0
		.amdhsa_exception_int_div_zero 0
	.end_amdhsa_kernel
	.section	.text._ZN7rocprim17ROCPRIM_400000_NS6detail17trampoline_kernelINS0_14default_configENS1_21merge_config_selectorINS0_5tupleIJiiEEENS0_10empty_typeEEEZNS1_10merge_implIS3_NS0_12zip_iteratorINS5_IJN6thrust23THRUST_200600_302600_NS6detail15normal_iteratorINSC_10device_ptrIKiEEEESI_EEEEESK_NSA_INS5_IJNSE_INSF_IiEEEESM_EEEEEPS7_SP_SP_NSC_11hip_rocprim7__merge17predicate_wrapperIiiNSC_4lessIiEEEEEE10hipError_tPvRmT0_T1_T2_T3_T4_T5_mmT6_P12ihipStream_tbEUlT_E0_NS1_11comp_targetILNS1_3genE3ELNS1_11target_archE908ELNS1_3gpuE7ELNS1_3repE0EEENS1_30default_config_static_selectorELNS0_4arch9wavefront6targetE0EEEvS10_,"axG",@progbits,_ZN7rocprim17ROCPRIM_400000_NS6detail17trampoline_kernelINS0_14default_configENS1_21merge_config_selectorINS0_5tupleIJiiEEENS0_10empty_typeEEEZNS1_10merge_implIS3_NS0_12zip_iteratorINS5_IJN6thrust23THRUST_200600_302600_NS6detail15normal_iteratorINSC_10device_ptrIKiEEEESI_EEEEESK_NSA_INS5_IJNSE_INSF_IiEEEESM_EEEEEPS7_SP_SP_NSC_11hip_rocprim7__merge17predicate_wrapperIiiNSC_4lessIiEEEEEE10hipError_tPvRmT0_T1_T2_T3_T4_T5_mmT6_P12ihipStream_tbEUlT_E0_NS1_11comp_targetILNS1_3genE3ELNS1_11target_archE908ELNS1_3gpuE7ELNS1_3repE0EEENS1_30default_config_static_selectorELNS0_4arch9wavefront6targetE0EEEvS10_,comdat
.Lfunc_end255:
	.size	_ZN7rocprim17ROCPRIM_400000_NS6detail17trampoline_kernelINS0_14default_configENS1_21merge_config_selectorINS0_5tupleIJiiEEENS0_10empty_typeEEEZNS1_10merge_implIS3_NS0_12zip_iteratorINS5_IJN6thrust23THRUST_200600_302600_NS6detail15normal_iteratorINSC_10device_ptrIKiEEEESI_EEEEESK_NSA_INS5_IJNSE_INSF_IiEEEESM_EEEEEPS7_SP_SP_NSC_11hip_rocprim7__merge17predicate_wrapperIiiNSC_4lessIiEEEEEE10hipError_tPvRmT0_T1_T2_T3_T4_T5_mmT6_P12ihipStream_tbEUlT_E0_NS1_11comp_targetILNS1_3genE3ELNS1_11target_archE908ELNS1_3gpuE7ELNS1_3repE0EEENS1_30default_config_static_selectorELNS0_4arch9wavefront6targetE0EEEvS10_, .Lfunc_end255-_ZN7rocprim17ROCPRIM_400000_NS6detail17trampoline_kernelINS0_14default_configENS1_21merge_config_selectorINS0_5tupleIJiiEEENS0_10empty_typeEEEZNS1_10merge_implIS3_NS0_12zip_iteratorINS5_IJN6thrust23THRUST_200600_302600_NS6detail15normal_iteratorINSC_10device_ptrIKiEEEESI_EEEEESK_NSA_INS5_IJNSE_INSF_IiEEEESM_EEEEEPS7_SP_SP_NSC_11hip_rocprim7__merge17predicate_wrapperIiiNSC_4lessIiEEEEEE10hipError_tPvRmT0_T1_T2_T3_T4_T5_mmT6_P12ihipStream_tbEUlT_E0_NS1_11comp_targetILNS1_3genE3ELNS1_11target_archE908ELNS1_3gpuE7ELNS1_3repE0EEENS1_30default_config_static_selectorELNS0_4arch9wavefront6targetE0EEEvS10_
                                        ; -- End function
	.set _ZN7rocprim17ROCPRIM_400000_NS6detail17trampoline_kernelINS0_14default_configENS1_21merge_config_selectorINS0_5tupleIJiiEEENS0_10empty_typeEEEZNS1_10merge_implIS3_NS0_12zip_iteratorINS5_IJN6thrust23THRUST_200600_302600_NS6detail15normal_iteratorINSC_10device_ptrIKiEEEESI_EEEEESK_NSA_INS5_IJNSE_INSF_IiEEEESM_EEEEEPS7_SP_SP_NSC_11hip_rocprim7__merge17predicate_wrapperIiiNSC_4lessIiEEEEEE10hipError_tPvRmT0_T1_T2_T3_T4_T5_mmT6_P12ihipStream_tbEUlT_E0_NS1_11comp_targetILNS1_3genE3ELNS1_11target_archE908ELNS1_3gpuE7ELNS1_3repE0EEENS1_30default_config_static_selectorELNS0_4arch9wavefront6targetE0EEEvS10_.num_vgpr, 0
	.set _ZN7rocprim17ROCPRIM_400000_NS6detail17trampoline_kernelINS0_14default_configENS1_21merge_config_selectorINS0_5tupleIJiiEEENS0_10empty_typeEEEZNS1_10merge_implIS3_NS0_12zip_iteratorINS5_IJN6thrust23THRUST_200600_302600_NS6detail15normal_iteratorINSC_10device_ptrIKiEEEESI_EEEEESK_NSA_INS5_IJNSE_INSF_IiEEEESM_EEEEEPS7_SP_SP_NSC_11hip_rocprim7__merge17predicate_wrapperIiiNSC_4lessIiEEEEEE10hipError_tPvRmT0_T1_T2_T3_T4_T5_mmT6_P12ihipStream_tbEUlT_E0_NS1_11comp_targetILNS1_3genE3ELNS1_11target_archE908ELNS1_3gpuE7ELNS1_3repE0EEENS1_30default_config_static_selectorELNS0_4arch9wavefront6targetE0EEEvS10_.num_agpr, 0
	.set _ZN7rocprim17ROCPRIM_400000_NS6detail17trampoline_kernelINS0_14default_configENS1_21merge_config_selectorINS0_5tupleIJiiEEENS0_10empty_typeEEEZNS1_10merge_implIS3_NS0_12zip_iteratorINS5_IJN6thrust23THRUST_200600_302600_NS6detail15normal_iteratorINSC_10device_ptrIKiEEEESI_EEEEESK_NSA_INS5_IJNSE_INSF_IiEEEESM_EEEEEPS7_SP_SP_NSC_11hip_rocprim7__merge17predicate_wrapperIiiNSC_4lessIiEEEEEE10hipError_tPvRmT0_T1_T2_T3_T4_T5_mmT6_P12ihipStream_tbEUlT_E0_NS1_11comp_targetILNS1_3genE3ELNS1_11target_archE908ELNS1_3gpuE7ELNS1_3repE0EEENS1_30default_config_static_selectorELNS0_4arch9wavefront6targetE0EEEvS10_.numbered_sgpr, 0
	.set _ZN7rocprim17ROCPRIM_400000_NS6detail17trampoline_kernelINS0_14default_configENS1_21merge_config_selectorINS0_5tupleIJiiEEENS0_10empty_typeEEEZNS1_10merge_implIS3_NS0_12zip_iteratorINS5_IJN6thrust23THRUST_200600_302600_NS6detail15normal_iteratorINSC_10device_ptrIKiEEEESI_EEEEESK_NSA_INS5_IJNSE_INSF_IiEEEESM_EEEEEPS7_SP_SP_NSC_11hip_rocprim7__merge17predicate_wrapperIiiNSC_4lessIiEEEEEE10hipError_tPvRmT0_T1_T2_T3_T4_T5_mmT6_P12ihipStream_tbEUlT_E0_NS1_11comp_targetILNS1_3genE3ELNS1_11target_archE908ELNS1_3gpuE7ELNS1_3repE0EEENS1_30default_config_static_selectorELNS0_4arch9wavefront6targetE0EEEvS10_.num_named_barrier, 0
	.set _ZN7rocprim17ROCPRIM_400000_NS6detail17trampoline_kernelINS0_14default_configENS1_21merge_config_selectorINS0_5tupleIJiiEEENS0_10empty_typeEEEZNS1_10merge_implIS3_NS0_12zip_iteratorINS5_IJN6thrust23THRUST_200600_302600_NS6detail15normal_iteratorINSC_10device_ptrIKiEEEESI_EEEEESK_NSA_INS5_IJNSE_INSF_IiEEEESM_EEEEEPS7_SP_SP_NSC_11hip_rocprim7__merge17predicate_wrapperIiiNSC_4lessIiEEEEEE10hipError_tPvRmT0_T1_T2_T3_T4_T5_mmT6_P12ihipStream_tbEUlT_E0_NS1_11comp_targetILNS1_3genE3ELNS1_11target_archE908ELNS1_3gpuE7ELNS1_3repE0EEENS1_30default_config_static_selectorELNS0_4arch9wavefront6targetE0EEEvS10_.private_seg_size, 0
	.set _ZN7rocprim17ROCPRIM_400000_NS6detail17trampoline_kernelINS0_14default_configENS1_21merge_config_selectorINS0_5tupleIJiiEEENS0_10empty_typeEEEZNS1_10merge_implIS3_NS0_12zip_iteratorINS5_IJN6thrust23THRUST_200600_302600_NS6detail15normal_iteratorINSC_10device_ptrIKiEEEESI_EEEEESK_NSA_INS5_IJNSE_INSF_IiEEEESM_EEEEEPS7_SP_SP_NSC_11hip_rocprim7__merge17predicate_wrapperIiiNSC_4lessIiEEEEEE10hipError_tPvRmT0_T1_T2_T3_T4_T5_mmT6_P12ihipStream_tbEUlT_E0_NS1_11comp_targetILNS1_3genE3ELNS1_11target_archE908ELNS1_3gpuE7ELNS1_3repE0EEENS1_30default_config_static_selectorELNS0_4arch9wavefront6targetE0EEEvS10_.uses_vcc, 0
	.set _ZN7rocprim17ROCPRIM_400000_NS6detail17trampoline_kernelINS0_14default_configENS1_21merge_config_selectorINS0_5tupleIJiiEEENS0_10empty_typeEEEZNS1_10merge_implIS3_NS0_12zip_iteratorINS5_IJN6thrust23THRUST_200600_302600_NS6detail15normal_iteratorINSC_10device_ptrIKiEEEESI_EEEEESK_NSA_INS5_IJNSE_INSF_IiEEEESM_EEEEEPS7_SP_SP_NSC_11hip_rocprim7__merge17predicate_wrapperIiiNSC_4lessIiEEEEEE10hipError_tPvRmT0_T1_T2_T3_T4_T5_mmT6_P12ihipStream_tbEUlT_E0_NS1_11comp_targetILNS1_3genE3ELNS1_11target_archE908ELNS1_3gpuE7ELNS1_3repE0EEENS1_30default_config_static_selectorELNS0_4arch9wavefront6targetE0EEEvS10_.uses_flat_scratch, 0
	.set _ZN7rocprim17ROCPRIM_400000_NS6detail17trampoline_kernelINS0_14default_configENS1_21merge_config_selectorINS0_5tupleIJiiEEENS0_10empty_typeEEEZNS1_10merge_implIS3_NS0_12zip_iteratorINS5_IJN6thrust23THRUST_200600_302600_NS6detail15normal_iteratorINSC_10device_ptrIKiEEEESI_EEEEESK_NSA_INS5_IJNSE_INSF_IiEEEESM_EEEEEPS7_SP_SP_NSC_11hip_rocprim7__merge17predicate_wrapperIiiNSC_4lessIiEEEEEE10hipError_tPvRmT0_T1_T2_T3_T4_T5_mmT6_P12ihipStream_tbEUlT_E0_NS1_11comp_targetILNS1_3genE3ELNS1_11target_archE908ELNS1_3gpuE7ELNS1_3repE0EEENS1_30default_config_static_selectorELNS0_4arch9wavefront6targetE0EEEvS10_.has_dyn_sized_stack, 0
	.set _ZN7rocprim17ROCPRIM_400000_NS6detail17trampoline_kernelINS0_14default_configENS1_21merge_config_selectorINS0_5tupleIJiiEEENS0_10empty_typeEEEZNS1_10merge_implIS3_NS0_12zip_iteratorINS5_IJN6thrust23THRUST_200600_302600_NS6detail15normal_iteratorINSC_10device_ptrIKiEEEESI_EEEEESK_NSA_INS5_IJNSE_INSF_IiEEEESM_EEEEEPS7_SP_SP_NSC_11hip_rocprim7__merge17predicate_wrapperIiiNSC_4lessIiEEEEEE10hipError_tPvRmT0_T1_T2_T3_T4_T5_mmT6_P12ihipStream_tbEUlT_E0_NS1_11comp_targetILNS1_3genE3ELNS1_11target_archE908ELNS1_3gpuE7ELNS1_3repE0EEENS1_30default_config_static_selectorELNS0_4arch9wavefront6targetE0EEEvS10_.has_recursion, 0
	.set _ZN7rocprim17ROCPRIM_400000_NS6detail17trampoline_kernelINS0_14default_configENS1_21merge_config_selectorINS0_5tupleIJiiEEENS0_10empty_typeEEEZNS1_10merge_implIS3_NS0_12zip_iteratorINS5_IJN6thrust23THRUST_200600_302600_NS6detail15normal_iteratorINSC_10device_ptrIKiEEEESI_EEEEESK_NSA_INS5_IJNSE_INSF_IiEEEESM_EEEEEPS7_SP_SP_NSC_11hip_rocprim7__merge17predicate_wrapperIiiNSC_4lessIiEEEEEE10hipError_tPvRmT0_T1_T2_T3_T4_T5_mmT6_P12ihipStream_tbEUlT_E0_NS1_11comp_targetILNS1_3genE3ELNS1_11target_archE908ELNS1_3gpuE7ELNS1_3repE0EEENS1_30default_config_static_selectorELNS0_4arch9wavefront6targetE0EEEvS10_.has_indirect_call, 0
	.section	.AMDGPU.csdata,"",@progbits
; Kernel info:
; codeLenInByte = 0
; TotalNumSgprs: 0
; NumVgprs: 0
; ScratchSize: 0
; MemoryBound: 0
; FloatMode: 240
; IeeeMode: 1
; LDSByteSize: 0 bytes/workgroup (compile time only)
; SGPRBlocks: 0
; VGPRBlocks: 0
; NumSGPRsForWavesPerEU: 1
; NumVGPRsForWavesPerEU: 1
; NamedBarCnt: 0
; Occupancy: 16
; WaveLimiterHint : 0
; COMPUTE_PGM_RSRC2:SCRATCH_EN: 0
; COMPUTE_PGM_RSRC2:USER_SGPR: 2
; COMPUTE_PGM_RSRC2:TRAP_HANDLER: 0
; COMPUTE_PGM_RSRC2:TGID_X_EN: 1
; COMPUTE_PGM_RSRC2:TGID_Y_EN: 0
; COMPUTE_PGM_RSRC2:TGID_Z_EN: 0
; COMPUTE_PGM_RSRC2:TIDIG_COMP_CNT: 0
	.section	.text._ZN7rocprim17ROCPRIM_400000_NS6detail17trampoline_kernelINS0_14default_configENS1_21merge_config_selectorINS0_5tupleIJiiEEENS0_10empty_typeEEEZNS1_10merge_implIS3_NS0_12zip_iteratorINS5_IJN6thrust23THRUST_200600_302600_NS6detail15normal_iteratorINSC_10device_ptrIKiEEEESI_EEEEESK_NSA_INS5_IJNSE_INSF_IiEEEESM_EEEEEPS7_SP_SP_NSC_11hip_rocprim7__merge17predicate_wrapperIiiNSC_4lessIiEEEEEE10hipError_tPvRmT0_T1_T2_T3_T4_T5_mmT6_P12ihipStream_tbEUlT_E0_NS1_11comp_targetILNS1_3genE2ELNS1_11target_archE906ELNS1_3gpuE6ELNS1_3repE0EEENS1_30default_config_static_selectorELNS0_4arch9wavefront6targetE0EEEvS10_,"axG",@progbits,_ZN7rocprim17ROCPRIM_400000_NS6detail17trampoline_kernelINS0_14default_configENS1_21merge_config_selectorINS0_5tupleIJiiEEENS0_10empty_typeEEEZNS1_10merge_implIS3_NS0_12zip_iteratorINS5_IJN6thrust23THRUST_200600_302600_NS6detail15normal_iteratorINSC_10device_ptrIKiEEEESI_EEEEESK_NSA_INS5_IJNSE_INSF_IiEEEESM_EEEEEPS7_SP_SP_NSC_11hip_rocprim7__merge17predicate_wrapperIiiNSC_4lessIiEEEEEE10hipError_tPvRmT0_T1_T2_T3_T4_T5_mmT6_P12ihipStream_tbEUlT_E0_NS1_11comp_targetILNS1_3genE2ELNS1_11target_archE906ELNS1_3gpuE6ELNS1_3repE0EEENS1_30default_config_static_selectorELNS0_4arch9wavefront6targetE0EEEvS10_,comdat
	.protected	_ZN7rocprim17ROCPRIM_400000_NS6detail17trampoline_kernelINS0_14default_configENS1_21merge_config_selectorINS0_5tupleIJiiEEENS0_10empty_typeEEEZNS1_10merge_implIS3_NS0_12zip_iteratorINS5_IJN6thrust23THRUST_200600_302600_NS6detail15normal_iteratorINSC_10device_ptrIKiEEEESI_EEEEESK_NSA_INS5_IJNSE_INSF_IiEEEESM_EEEEEPS7_SP_SP_NSC_11hip_rocprim7__merge17predicate_wrapperIiiNSC_4lessIiEEEEEE10hipError_tPvRmT0_T1_T2_T3_T4_T5_mmT6_P12ihipStream_tbEUlT_E0_NS1_11comp_targetILNS1_3genE2ELNS1_11target_archE906ELNS1_3gpuE6ELNS1_3repE0EEENS1_30default_config_static_selectorELNS0_4arch9wavefront6targetE0EEEvS10_ ; -- Begin function _ZN7rocprim17ROCPRIM_400000_NS6detail17trampoline_kernelINS0_14default_configENS1_21merge_config_selectorINS0_5tupleIJiiEEENS0_10empty_typeEEEZNS1_10merge_implIS3_NS0_12zip_iteratorINS5_IJN6thrust23THRUST_200600_302600_NS6detail15normal_iteratorINSC_10device_ptrIKiEEEESI_EEEEESK_NSA_INS5_IJNSE_INSF_IiEEEESM_EEEEEPS7_SP_SP_NSC_11hip_rocprim7__merge17predicate_wrapperIiiNSC_4lessIiEEEEEE10hipError_tPvRmT0_T1_T2_T3_T4_T5_mmT6_P12ihipStream_tbEUlT_E0_NS1_11comp_targetILNS1_3genE2ELNS1_11target_archE906ELNS1_3gpuE6ELNS1_3repE0EEENS1_30default_config_static_selectorELNS0_4arch9wavefront6targetE0EEEvS10_
	.globl	_ZN7rocprim17ROCPRIM_400000_NS6detail17trampoline_kernelINS0_14default_configENS1_21merge_config_selectorINS0_5tupleIJiiEEENS0_10empty_typeEEEZNS1_10merge_implIS3_NS0_12zip_iteratorINS5_IJN6thrust23THRUST_200600_302600_NS6detail15normal_iteratorINSC_10device_ptrIKiEEEESI_EEEEESK_NSA_INS5_IJNSE_INSF_IiEEEESM_EEEEEPS7_SP_SP_NSC_11hip_rocprim7__merge17predicate_wrapperIiiNSC_4lessIiEEEEEE10hipError_tPvRmT0_T1_T2_T3_T4_T5_mmT6_P12ihipStream_tbEUlT_E0_NS1_11comp_targetILNS1_3genE2ELNS1_11target_archE906ELNS1_3gpuE6ELNS1_3repE0EEENS1_30default_config_static_selectorELNS0_4arch9wavefront6targetE0EEEvS10_
	.p2align	8
	.type	_ZN7rocprim17ROCPRIM_400000_NS6detail17trampoline_kernelINS0_14default_configENS1_21merge_config_selectorINS0_5tupleIJiiEEENS0_10empty_typeEEEZNS1_10merge_implIS3_NS0_12zip_iteratorINS5_IJN6thrust23THRUST_200600_302600_NS6detail15normal_iteratorINSC_10device_ptrIKiEEEESI_EEEEESK_NSA_INS5_IJNSE_INSF_IiEEEESM_EEEEEPS7_SP_SP_NSC_11hip_rocprim7__merge17predicate_wrapperIiiNSC_4lessIiEEEEEE10hipError_tPvRmT0_T1_T2_T3_T4_T5_mmT6_P12ihipStream_tbEUlT_E0_NS1_11comp_targetILNS1_3genE2ELNS1_11target_archE906ELNS1_3gpuE6ELNS1_3repE0EEENS1_30default_config_static_selectorELNS0_4arch9wavefront6targetE0EEEvS10_,@function
_ZN7rocprim17ROCPRIM_400000_NS6detail17trampoline_kernelINS0_14default_configENS1_21merge_config_selectorINS0_5tupleIJiiEEENS0_10empty_typeEEEZNS1_10merge_implIS3_NS0_12zip_iteratorINS5_IJN6thrust23THRUST_200600_302600_NS6detail15normal_iteratorINSC_10device_ptrIKiEEEESI_EEEEESK_NSA_INS5_IJNSE_INSF_IiEEEESM_EEEEEPS7_SP_SP_NSC_11hip_rocprim7__merge17predicate_wrapperIiiNSC_4lessIiEEEEEE10hipError_tPvRmT0_T1_T2_T3_T4_T5_mmT6_P12ihipStream_tbEUlT_E0_NS1_11comp_targetILNS1_3genE2ELNS1_11target_archE906ELNS1_3gpuE6ELNS1_3repE0EEENS1_30default_config_static_selectorELNS0_4arch9wavefront6targetE0EEEvS10_: ; @_ZN7rocprim17ROCPRIM_400000_NS6detail17trampoline_kernelINS0_14default_configENS1_21merge_config_selectorINS0_5tupleIJiiEEENS0_10empty_typeEEEZNS1_10merge_implIS3_NS0_12zip_iteratorINS5_IJN6thrust23THRUST_200600_302600_NS6detail15normal_iteratorINSC_10device_ptrIKiEEEESI_EEEEESK_NSA_INS5_IJNSE_INSF_IiEEEESM_EEEEEPS7_SP_SP_NSC_11hip_rocprim7__merge17predicate_wrapperIiiNSC_4lessIiEEEEEE10hipError_tPvRmT0_T1_T2_T3_T4_T5_mmT6_P12ihipStream_tbEUlT_E0_NS1_11comp_targetILNS1_3genE2ELNS1_11target_archE906ELNS1_3gpuE6ELNS1_3repE0EEENS1_30default_config_static_selectorELNS0_4arch9wavefront6targetE0EEEvS10_
; %bb.0:
	.section	.rodata,"a",@progbits
	.p2align	6, 0x0
	.amdhsa_kernel _ZN7rocprim17ROCPRIM_400000_NS6detail17trampoline_kernelINS0_14default_configENS1_21merge_config_selectorINS0_5tupleIJiiEEENS0_10empty_typeEEEZNS1_10merge_implIS3_NS0_12zip_iteratorINS5_IJN6thrust23THRUST_200600_302600_NS6detail15normal_iteratorINSC_10device_ptrIKiEEEESI_EEEEESK_NSA_INS5_IJNSE_INSF_IiEEEESM_EEEEEPS7_SP_SP_NSC_11hip_rocprim7__merge17predicate_wrapperIiiNSC_4lessIiEEEEEE10hipError_tPvRmT0_T1_T2_T3_T4_T5_mmT6_P12ihipStream_tbEUlT_E0_NS1_11comp_targetILNS1_3genE2ELNS1_11target_archE906ELNS1_3gpuE6ELNS1_3repE0EEENS1_30default_config_static_selectorELNS0_4arch9wavefront6targetE0EEEvS10_
		.amdhsa_group_segment_fixed_size 0
		.amdhsa_private_segment_fixed_size 0
		.amdhsa_kernarg_size 112
		.amdhsa_user_sgpr_count 2
		.amdhsa_user_sgpr_dispatch_ptr 0
		.amdhsa_user_sgpr_queue_ptr 0
		.amdhsa_user_sgpr_kernarg_segment_ptr 1
		.amdhsa_user_sgpr_dispatch_id 0
		.amdhsa_user_sgpr_kernarg_preload_length 0
		.amdhsa_user_sgpr_kernarg_preload_offset 0
		.amdhsa_user_sgpr_private_segment_size 0
		.amdhsa_wavefront_size32 1
		.amdhsa_uses_dynamic_stack 0
		.amdhsa_enable_private_segment 0
		.amdhsa_system_sgpr_workgroup_id_x 1
		.amdhsa_system_sgpr_workgroup_id_y 0
		.amdhsa_system_sgpr_workgroup_id_z 0
		.amdhsa_system_sgpr_workgroup_info 0
		.amdhsa_system_vgpr_workitem_id 0
		.amdhsa_next_free_vgpr 1
		.amdhsa_next_free_sgpr 1
		.amdhsa_named_barrier_count 0
		.amdhsa_reserve_vcc 0
		.amdhsa_float_round_mode_32 0
		.amdhsa_float_round_mode_16_64 0
		.amdhsa_float_denorm_mode_32 3
		.amdhsa_float_denorm_mode_16_64 3
		.amdhsa_fp16_overflow 0
		.amdhsa_memory_ordered 1
		.amdhsa_forward_progress 1
		.amdhsa_inst_pref_size 0
		.amdhsa_round_robin_scheduling 0
		.amdhsa_exception_fp_ieee_invalid_op 0
		.amdhsa_exception_fp_denorm_src 0
		.amdhsa_exception_fp_ieee_div_zero 0
		.amdhsa_exception_fp_ieee_overflow 0
		.amdhsa_exception_fp_ieee_underflow 0
		.amdhsa_exception_fp_ieee_inexact 0
		.amdhsa_exception_int_div_zero 0
	.end_amdhsa_kernel
	.section	.text._ZN7rocprim17ROCPRIM_400000_NS6detail17trampoline_kernelINS0_14default_configENS1_21merge_config_selectorINS0_5tupleIJiiEEENS0_10empty_typeEEEZNS1_10merge_implIS3_NS0_12zip_iteratorINS5_IJN6thrust23THRUST_200600_302600_NS6detail15normal_iteratorINSC_10device_ptrIKiEEEESI_EEEEESK_NSA_INS5_IJNSE_INSF_IiEEEESM_EEEEEPS7_SP_SP_NSC_11hip_rocprim7__merge17predicate_wrapperIiiNSC_4lessIiEEEEEE10hipError_tPvRmT0_T1_T2_T3_T4_T5_mmT6_P12ihipStream_tbEUlT_E0_NS1_11comp_targetILNS1_3genE2ELNS1_11target_archE906ELNS1_3gpuE6ELNS1_3repE0EEENS1_30default_config_static_selectorELNS0_4arch9wavefront6targetE0EEEvS10_,"axG",@progbits,_ZN7rocprim17ROCPRIM_400000_NS6detail17trampoline_kernelINS0_14default_configENS1_21merge_config_selectorINS0_5tupleIJiiEEENS0_10empty_typeEEEZNS1_10merge_implIS3_NS0_12zip_iteratorINS5_IJN6thrust23THRUST_200600_302600_NS6detail15normal_iteratorINSC_10device_ptrIKiEEEESI_EEEEESK_NSA_INS5_IJNSE_INSF_IiEEEESM_EEEEEPS7_SP_SP_NSC_11hip_rocprim7__merge17predicate_wrapperIiiNSC_4lessIiEEEEEE10hipError_tPvRmT0_T1_T2_T3_T4_T5_mmT6_P12ihipStream_tbEUlT_E0_NS1_11comp_targetILNS1_3genE2ELNS1_11target_archE906ELNS1_3gpuE6ELNS1_3repE0EEENS1_30default_config_static_selectorELNS0_4arch9wavefront6targetE0EEEvS10_,comdat
.Lfunc_end256:
	.size	_ZN7rocprim17ROCPRIM_400000_NS6detail17trampoline_kernelINS0_14default_configENS1_21merge_config_selectorINS0_5tupleIJiiEEENS0_10empty_typeEEEZNS1_10merge_implIS3_NS0_12zip_iteratorINS5_IJN6thrust23THRUST_200600_302600_NS6detail15normal_iteratorINSC_10device_ptrIKiEEEESI_EEEEESK_NSA_INS5_IJNSE_INSF_IiEEEESM_EEEEEPS7_SP_SP_NSC_11hip_rocprim7__merge17predicate_wrapperIiiNSC_4lessIiEEEEEE10hipError_tPvRmT0_T1_T2_T3_T4_T5_mmT6_P12ihipStream_tbEUlT_E0_NS1_11comp_targetILNS1_3genE2ELNS1_11target_archE906ELNS1_3gpuE6ELNS1_3repE0EEENS1_30default_config_static_selectorELNS0_4arch9wavefront6targetE0EEEvS10_, .Lfunc_end256-_ZN7rocprim17ROCPRIM_400000_NS6detail17trampoline_kernelINS0_14default_configENS1_21merge_config_selectorINS0_5tupleIJiiEEENS0_10empty_typeEEEZNS1_10merge_implIS3_NS0_12zip_iteratorINS5_IJN6thrust23THRUST_200600_302600_NS6detail15normal_iteratorINSC_10device_ptrIKiEEEESI_EEEEESK_NSA_INS5_IJNSE_INSF_IiEEEESM_EEEEEPS7_SP_SP_NSC_11hip_rocprim7__merge17predicate_wrapperIiiNSC_4lessIiEEEEEE10hipError_tPvRmT0_T1_T2_T3_T4_T5_mmT6_P12ihipStream_tbEUlT_E0_NS1_11comp_targetILNS1_3genE2ELNS1_11target_archE906ELNS1_3gpuE6ELNS1_3repE0EEENS1_30default_config_static_selectorELNS0_4arch9wavefront6targetE0EEEvS10_
                                        ; -- End function
	.set _ZN7rocprim17ROCPRIM_400000_NS6detail17trampoline_kernelINS0_14default_configENS1_21merge_config_selectorINS0_5tupleIJiiEEENS0_10empty_typeEEEZNS1_10merge_implIS3_NS0_12zip_iteratorINS5_IJN6thrust23THRUST_200600_302600_NS6detail15normal_iteratorINSC_10device_ptrIKiEEEESI_EEEEESK_NSA_INS5_IJNSE_INSF_IiEEEESM_EEEEEPS7_SP_SP_NSC_11hip_rocprim7__merge17predicate_wrapperIiiNSC_4lessIiEEEEEE10hipError_tPvRmT0_T1_T2_T3_T4_T5_mmT6_P12ihipStream_tbEUlT_E0_NS1_11comp_targetILNS1_3genE2ELNS1_11target_archE906ELNS1_3gpuE6ELNS1_3repE0EEENS1_30default_config_static_selectorELNS0_4arch9wavefront6targetE0EEEvS10_.num_vgpr, 0
	.set _ZN7rocprim17ROCPRIM_400000_NS6detail17trampoline_kernelINS0_14default_configENS1_21merge_config_selectorINS0_5tupleIJiiEEENS0_10empty_typeEEEZNS1_10merge_implIS3_NS0_12zip_iteratorINS5_IJN6thrust23THRUST_200600_302600_NS6detail15normal_iteratorINSC_10device_ptrIKiEEEESI_EEEEESK_NSA_INS5_IJNSE_INSF_IiEEEESM_EEEEEPS7_SP_SP_NSC_11hip_rocprim7__merge17predicate_wrapperIiiNSC_4lessIiEEEEEE10hipError_tPvRmT0_T1_T2_T3_T4_T5_mmT6_P12ihipStream_tbEUlT_E0_NS1_11comp_targetILNS1_3genE2ELNS1_11target_archE906ELNS1_3gpuE6ELNS1_3repE0EEENS1_30default_config_static_selectorELNS0_4arch9wavefront6targetE0EEEvS10_.num_agpr, 0
	.set _ZN7rocprim17ROCPRIM_400000_NS6detail17trampoline_kernelINS0_14default_configENS1_21merge_config_selectorINS0_5tupleIJiiEEENS0_10empty_typeEEEZNS1_10merge_implIS3_NS0_12zip_iteratorINS5_IJN6thrust23THRUST_200600_302600_NS6detail15normal_iteratorINSC_10device_ptrIKiEEEESI_EEEEESK_NSA_INS5_IJNSE_INSF_IiEEEESM_EEEEEPS7_SP_SP_NSC_11hip_rocprim7__merge17predicate_wrapperIiiNSC_4lessIiEEEEEE10hipError_tPvRmT0_T1_T2_T3_T4_T5_mmT6_P12ihipStream_tbEUlT_E0_NS1_11comp_targetILNS1_3genE2ELNS1_11target_archE906ELNS1_3gpuE6ELNS1_3repE0EEENS1_30default_config_static_selectorELNS0_4arch9wavefront6targetE0EEEvS10_.numbered_sgpr, 0
	.set _ZN7rocprim17ROCPRIM_400000_NS6detail17trampoline_kernelINS0_14default_configENS1_21merge_config_selectorINS0_5tupleIJiiEEENS0_10empty_typeEEEZNS1_10merge_implIS3_NS0_12zip_iteratorINS5_IJN6thrust23THRUST_200600_302600_NS6detail15normal_iteratorINSC_10device_ptrIKiEEEESI_EEEEESK_NSA_INS5_IJNSE_INSF_IiEEEESM_EEEEEPS7_SP_SP_NSC_11hip_rocprim7__merge17predicate_wrapperIiiNSC_4lessIiEEEEEE10hipError_tPvRmT0_T1_T2_T3_T4_T5_mmT6_P12ihipStream_tbEUlT_E0_NS1_11comp_targetILNS1_3genE2ELNS1_11target_archE906ELNS1_3gpuE6ELNS1_3repE0EEENS1_30default_config_static_selectorELNS0_4arch9wavefront6targetE0EEEvS10_.num_named_barrier, 0
	.set _ZN7rocprim17ROCPRIM_400000_NS6detail17trampoline_kernelINS0_14default_configENS1_21merge_config_selectorINS0_5tupleIJiiEEENS0_10empty_typeEEEZNS1_10merge_implIS3_NS0_12zip_iteratorINS5_IJN6thrust23THRUST_200600_302600_NS6detail15normal_iteratorINSC_10device_ptrIKiEEEESI_EEEEESK_NSA_INS5_IJNSE_INSF_IiEEEESM_EEEEEPS7_SP_SP_NSC_11hip_rocprim7__merge17predicate_wrapperIiiNSC_4lessIiEEEEEE10hipError_tPvRmT0_T1_T2_T3_T4_T5_mmT6_P12ihipStream_tbEUlT_E0_NS1_11comp_targetILNS1_3genE2ELNS1_11target_archE906ELNS1_3gpuE6ELNS1_3repE0EEENS1_30default_config_static_selectorELNS0_4arch9wavefront6targetE0EEEvS10_.private_seg_size, 0
	.set _ZN7rocprim17ROCPRIM_400000_NS6detail17trampoline_kernelINS0_14default_configENS1_21merge_config_selectorINS0_5tupleIJiiEEENS0_10empty_typeEEEZNS1_10merge_implIS3_NS0_12zip_iteratorINS5_IJN6thrust23THRUST_200600_302600_NS6detail15normal_iteratorINSC_10device_ptrIKiEEEESI_EEEEESK_NSA_INS5_IJNSE_INSF_IiEEEESM_EEEEEPS7_SP_SP_NSC_11hip_rocprim7__merge17predicate_wrapperIiiNSC_4lessIiEEEEEE10hipError_tPvRmT0_T1_T2_T3_T4_T5_mmT6_P12ihipStream_tbEUlT_E0_NS1_11comp_targetILNS1_3genE2ELNS1_11target_archE906ELNS1_3gpuE6ELNS1_3repE0EEENS1_30default_config_static_selectorELNS0_4arch9wavefront6targetE0EEEvS10_.uses_vcc, 0
	.set _ZN7rocprim17ROCPRIM_400000_NS6detail17trampoline_kernelINS0_14default_configENS1_21merge_config_selectorINS0_5tupleIJiiEEENS0_10empty_typeEEEZNS1_10merge_implIS3_NS0_12zip_iteratorINS5_IJN6thrust23THRUST_200600_302600_NS6detail15normal_iteratorINSC_10device_ptrIKiEEEESI_EEEEESK_NSA_INS5_IJNSE_INSF_IiEEEESM_EEEEEPS7_SP_SP_NSC_11hip_rocprim7__merge17predicate_wrapperIiiNSC_4lessIiEEEEEE10hipError_tPvRmT0_T1_T2_T3_T4_T5_mmT6_P12ihipStream_tbEUlT_E0_NS1_11comp_targetILNS1_3genE2ELNS1_11target_archE906ELNS1_3gpuE6ELNS1_3repE0EEENS1_30default_config_static_selectorELNS0_4arch9wavefront6targetE0EEEvS10_.uses_flat_scratch, 0
	.set _ZN7rocprim17ROCPRIM_400000_NS6detail17trampoline_kernelINS0_14default_configENS1_21merge_config_selectorINS0_5tupleIJiiEEENS0_10empty_typeEEEZNS1_10merge_implIS3_NS0_12zip_iteratorINS5_IJN6thrust23THRUST_200600_302600_NS6detail15normal_iteratorINSC_10device_ptrIKiEEEESI_EEEEESK_NSA_INS5_IJNSE_INSF_IiEEEESM_EEEEEPS7_SP_SP_NSC_11hip_rocprim7__merge17predicate_wrapperIiiNSC_4lessIiEEEEEE10hipError_tPvRmT0_T1_T2_T3_T4_T5_mmT6_P12ihipStream_tbEUlT_E0_NS1_11comp_targetILNS1_3genE2ELNS1_11target_archE906ELNS1_3gpuE6ELNS1_3repE0EEENS1_30default_config_static_selectorELNS0_4arch9wavefront6targetE0EEEvS10_.has_dyn_sized_stack, 0
	.set _ZN7rocprim17ROCPRIM_400000_NS6detail17trampoline_kernelINS0_14default_configENS1_21merge_config_selectorINS0_5tupleIJiiEEENS0_10empty_typeEEEZNS1_10merge_implIS3_NS0_12zip_iteratorINS5_IJN6thrust23THRUST_200600_302600_NS6detail15normal_iteratorINSC_10device_ptrIKiEEEESI_EEEEESK_NSA_INS5_IJNSE_INSF_IiEEEESM_EEEEEPS7_SP_SP_NSC_11hip_rocprim7__merge17predicate_wrapperIiiNSC_4lessIiEEEEEE10hipError_tPvRmT0_T1_T2_T3_T4_T5_mmT6_P12ihipStream_tbEUlT_E0_NS1_11comp_targetILNS1_3genE2ELNS1_11target_archE906ELNS1_3gpuE6ELNS1_3repE0EEENS1_30default_config_static_selectorELNS0_4arch9wavefront6targetE0EEEvS10_.has_recursion, 0
	.set _ZN7rocprim17ROCPRIM_400000_NS6detail17trampoline_kernelINS0_14default_configENS1_21merge_config_selectorINS0_5tupleIJiiEEENS0_10empty_typeEEEZNS1_10merge_implIS3_NS0_12zip_iteratorINS5_IJN6thrust23THRUST_200600_302600_NS6detail15normal_iteratorINSC_10device_ptrIKiEEEESI_EEEEESK_NSA_INS5_IJNSE_INSF_IiEEEESM_EEEEEPS7_SP_SP_NSC_11hip_rocprim7__merge17predicate_wrapperIiiNSC_4lessIiEEEEEE10hipError_tPvRmT0_T1_T2_T3_T4_T5_mmT6_P12ihipStream_tbEUlT_E0_NS1_11comp_targetILNS1_3genE2ELNS1_11target_archE906ELNS1_3gpuE6ELNS1_3repE0EEENS1_30default_config_static_selectorELNS0_4arch9wavefront6targetE0EEEvS10_.has_indirect_call, 0
	.section	.AMDGPU.csdata,"",@progbits
; Kernel info:
; codeLenInByte = 0
; TotalNumSgprs: 0
; NumVgprs: 0
; ScratchSize: 0
; MemoryBound: 0
; FloatMode: 240
; IeeeMode: 1
; LDSByteSize: 0 bytes/workgroup (compile time only)
; SGPRBlocks: 0
; VGPRBlocks: 0
; NumSGPRsForWavesPerEU: 1
; NumVGPRsForWavesPerEU: 1
; NamedBarCnt: 0
; Occupancy: 16
; WaveLimiterHint : 0
; COMPUTE_PGM_RSRC2:SCRATCH_EN: 0
; COMPUTE_PGM_RSRC2:USER_SGPR: 2
; COMPUTE_PGM_RSRC2:TRAP_HANDLER: 0
; COMPUTE_PGM_RSRC2:TGID_X_EN: 1
; COMPUTE_PGM_RSRC2:TGID_Y_EN: 0
; COMPUTE_PGM_RSRC2:TGID_Z_EN: 0
; COMPUTE_PGM_RSRC2:TIDIG_COMP_CNT: 0
	.section	.text._ZN7rocprim17ROCPRIM_400000_NS6detail17trampoline_kernelINS0_14default_configENS1_21merge_config_selectorINS0_5tupleIJiiEEENS0_10empty_typeEEEZNS1_10merge_implIS3_NS0_12zip_iteratorINS5_IJN6thrust23THRUST_200600_302600_NS6detail15normal_iteratorINSC_10device_ptrIKiEEEESI_EEEEESK_NSA_INS5_IJNSE_INSF_IiEEEESM_EEEEEPS7_SP_SP_NSC_11hip_rocprim7__merge17predicate_wrapperIiiNSC_4lessIiEEEEEE10hipError_tPvRmT0_T1_T2_T3_T4_T5_mmT6_P12ihipStream_tbEUlT_E0_NS1_11comp_targetILNS1_3genE10ELNS1_11target_archE1201ELNS1_3gpuE5ELNS1_3repE0EEENS1_30default_config_static_selectorELNS0_4arch9wavefront6targetE0EEEvS10_,"axG",@progbits,_ZN7rocprim17ROCPRIM_400000_NS6detail17trampoline_kernelINS0_14default_configENS1_21merge_config_selectorINS0_5tupleIJiiEEENS0_10empty_typeEEEZNS1_10merge_implIS3_NS0_12zip_iteratorINS5_IJN6thrust23THRUST_200600_302600_NS6detail15normal_iteratorINSC_10device_ptrIKiEEEESI_EEEEESK_NSA_INS5_IJNSE_INSF_IiEEEESM_EEEEEPS7_SP_SP_NSC_11hip_rocprim7__merge17predicate_wrapperIiiNSC_4lessIiEEEEEE10hipError_tPvRmT0_T1_T2_T3_T4_T5_mmT6_P12ihipStream_tbEUlT_E0_NS1_11comp_targetILNS1_3genE10ELNS1_11target_archE1201ELNS1_3gpuE5ELNS1_3repE0EEENS1_30default_config_static_selectorELNS0_4arch9wavefront6targetE0EEEvS10_,comdat
	.protected	_ZN7rocprim17ROCPRIM_400000_NS6detail17trampoline_kernelINS0_14default_configENS1_21merge_config_selectorINS0_5tupleIJiiEEENS0_10empty_typeEEEZNS1_10merge_implIS3_NS0_12zip_iteratorINS5_IJN6thrust23THRUST_200600_302600_NS6detail15normal_iteratorINSC_10device_ptrIKiEEEESI_EEEEESK_NSA_INS5_IJNSE_INSF_IiEEEESM_EEEEEPS7_SP_SP_NSC_11hip_rocprim7__merge17predicate_wrapperIiiNSC_4lessIiEEEEEE10hipError_tPvRmT0_T1_T2_T3_T4_T5_mmT6_P12ihipStream_tbEUlT_E0_NS1_11comp_targetILNS1_3genE10ELNS1_11target_archE1201ELNS1_3gpuE5ELNS1_3repE0EEENS1_30default_config_static_selectorELNS0_4arch9wavefront6targetE0EEEvS10_ ; -- Begin function _ZN7rocprim17ROCPRIM_400000_NS6detail17trampoline_kernelINS0_14default_configENS1_21merge_config_selectorINS0_5tupleIJiiEEENS0_10empty_typeEEEZNS1_10merge_implIS3_NS0_12zip_iteratorINS5_IJN6thrust23THRUST_200600_302600_NS6detail15normal_iteratorINSC_10device_ptrIKiEEEESI_EEEEESK_NSA_INS5_IJNSE_INSF_IiEEEESM_EEEEEPS7_SP_SP_NSC_11hip_rocprim7__merge17predicate_wrapperIiiNSC_4lessIiEEEEEE10hipError_tPvRmT0_T1_T2_T3_T4_T5_mmT6_P12ihipStream_tbEUlT_E0_NS1_11comp_targetILNS1_3genE10ELNS1_11target_archE1201ELNS1_3gpuE5ELNS1_3repE0EEENS1_30default_config_static_selectorELNS0_4arch9wavefront6targetE0EEEvS10_
	.globl	_ZN7rocprim17ROCPRIM_400000_NS6detail17trampoline_kernelINS0_14default_configENS1_21merge_config_selectorINS0_5tupleIJiiEEENS0_10empty_typeEEEZNS1_10merge_implIS3_NS0_12zip_iteratorINS5_IJN6thrust23THRUST_200600_302600_NS6detail15normal_iteratorINSC_10device_ptrIKiEEEESI_EEEEESK_NSA_INS5_IJNSE_INSF_IiEEEESM_EEEEEPS7_SP_SP_NSC_11hip_rocprim7__merge17predicate_wrapperIiiNSC_4lessIiEEEEEE10hipError_tPvRmT0_T1_T2_T3_T4_T5_mmT6_P12ihipStream_tbEUlT_E0_NS1_11comp_targetILNS1_3genE10ELNS1_11target_archE1201ELNS1_3gpuE5ELNS1_3repE0EEENS1_30default_config_static_selectorELNS0_4arch9wavefront6targetE0EEEvS10_
	.p2align	8
	.type	_ZN7rocprim17ROCPRIM_400000_NS6detail17trampoline_kernelINS0_14default_configENS1_21merge_config_selectorINS0_5tupleIJiiEEENS0_10empty_typeEEEZNS1_10merge_implIS3_NS0_12zip_iteratorINS5_IJN6thrust23THRUST_200600_302600_NS6detail15normal_iteratorINSC_10device_ptrIKiEEEESI_EEEEESK_NSA_INS5_IJNSE_INSF_IiEEEESM_EEEEEPS7_SP_SP_NSC_11hip_rocprim7__merge17predicate_wrapperIiiNSC_4lessIiEEEEEE10hipError_tPvRmT0_T1_T2_T3_T4_T5_mmT6_P12ihipStream_tbEUlT_E0_NS1_11comp_targetILNS1_3genE10ELNS1_11target_archE1201ELNS1_3gpuE5ELNS1_3repE0EEENS1_30default_config_static_selectorELNS0_4arch9wavefront6targetE0EEEvS10_,@function
_ZN7rocprim17ROCPRIM_400000_NS6detail17trampoline_kernelINS0_14default_configENS1_21merge_config_selectorINS0_5tupleIJiiEEENS0_10empty_typeEEEZNS1_10merge_implIS3_NS0_12zip_iteratorINS5_IJN6thrust23THRUST_200600_302600_NS6detail15normal_iteratorINSC_10device_ptrIKiEEEESI_EEEEESK_NSA_INS5_IJNSE_INSF_IiEEEESM_EEEEEPS7_SP_SP_NSC_11hip_rocprim7__merge17predicate_wrapperIiiNSC_4lessIiEEEEEE10hipError_tPvRmT0_T1_T2_T3_T4_T5_mmT6_P12ihipStream_tbEUlT_E0_NS1_11comp_targetILNS1_3genE10ELNS1_11target_archE1201ELNS1_3gpuE5ELNS1_3repE0EEENS1_30default_config_static_selectorELNS0_4arch9wavefront6targetE0EEEvS10_: ; @_ZN7rocprim17ROCPRIM_400000_NS6detail17trampoline_kernelINS0_14default_configENS1_21merge_config_selectorINS0_5tupleIJiiEEENS0_10empty_typeEEEZNS1_10merge_implIS3_NS0_12zip_iteratorINS5_IJN6thrust23THRUST_200600_302600_NS6detail15normal_iteratorINSC_10device_ptrIKiEEEESI_EEEEESK_NSA_INS5_IJNSE_INSF_IiEEEESM_EEEEEPS7_SP_SP_NSC_11hip_rocprim7__merge17predicate_wrapperIiiNSC_4lessIiEEEEEE10hipError_tPvRmT0_T1_T2_T3_T4_T5_mmT6_P12ihipStream_tbEUlT_E0_NS1_11comp_targetILNS1_3genE10ELNS1_11target_archE1201ELNS1_3gpuE5ELNS1_3repE0EEENS1_30default_config_static_selectorELNS0_4arch9wavefront6targetE0EEEvS10_
; %bb.0:
	.section	.rodata,"a",@progbits
	.p2align	6, 0x0
	.amdhsa_kernel _ZN7rocprim17ROCPRIM_400000_NS6detail17trampoline_kernelINS0_14default_configENS1_21merge_config_selectorINS0_5tupleIJiiEEENS0_10empty_typeEEEZNS1_10merge_implIS3_NS0_12zip_iteratorINS5_IJN6thrust23THRUST_200600_302600_NS6detail15normal_iteratorINSC_10device_ptrIKiEEEESI_EEEEESK_NSA_INS5_IJNSE_INSF_IiEEEESM_EEEEEPS7_SP_SP_NSC_11hip_rocprim7__merge17predicate_wrapperIiiNSC_4lessIiEEEEEE10hipError_tPvRmT0_T1_T2_T3_T4_T5_mmT6_P12ihipStream_tbEUlT_E0_NS1_11comp_targetILNS1_3genE10ELNS1_11target_archE1201ELNS1_3gpuE5ELNS1_3repE0EEENS1_30default_config_static_selectorELNS0_4arch9wavefront6targetE0EEEvS10_
		.amdhsa_group_segment_fixed_size 0
		.amdhsa_private_segment_fixed_size 0
		.amdhsa_kernarg_size 112
		.amdhsa_user_sgpr_count 2
		.amdhsa_user_sgpr_dispatch_ptr 0
		.amdhsa_user_sgpr_queue_ptr 0
		.amdhsa_user_sgpr_kernarg_segment_ptr 1
		.amdhsa_user_sgpr_dispatch_id 0
		.amdhsa_user_sgpr_kernarg_preload_length 0
		.amdhsa_user_sgpr_kernarg_preload_offset 0
		.amdhsa_user_sgpr_private_segment_size 0
		.amdhsa_wavefront_size32 1
		.amdhsa_uses_dynamic_stack 0
		.amdhsa_enable_private_segment 0
		.amdhsa_system_sgpr_workgroup_id_x 1
		.amdhsa_system_sgpr_workgroup_id_y 0
		.amdhsa_system_sgpr_workgroup_id_z 0
		.amdhsa_system_sgpr_workgroup_info 0
		.amdhsa_system_vgpr_workitem_id 0
		.amdhsa_next_free_vgpr 1
		.amdhsa_next_free_sgpr 1
		.amdhsa_named_barrier_count 0
		.amdhsa_reserve_vcc 0
		.amdhsa_float_round_mode_32 0
		.amdhsa_float_round_mode_16_64 0
		.amdhsa_float_denorm_mode_32 3
		.amdhsa_float_denorm_mode_16_64 3
		.amdhsa_fp16_overflow 0
		.amdhsa_memory_ordered 1
		.amdhsa_forward_progress 1
		.amdhsa_inst_pref_size 0
		.amdhsa_round_robin_scheduling 0
		.amdhsa_exception_fp_ieee_invalid_op 0
		.amdhsa_exception_fp_denorm_src 0
		.amdhsa_exception_fp_ieee_div_zero 0
		.amdhsa_exception_fp_ieee_overflow 0
		.amdhsa_exception_fp_ieee_underflow 0
		.amdhsa_exception_fp_ieee_inexact 0
		.amdhsa_exception_int_div_zero 0
	.end_amdhsa_kernel
	.section	.text._ZN7rocprim17ROCPRIM_400000_NS6detail17trampoline_kernelINS0_14default_configENS1_21merge_config_selectorINS0_5tupleIJiiEEENS0_10empty_typeEEEZNS1_10merge_implIS3_NS0_12zip_iteratorINS5_IJN6thrust23THRUST_200600_302600_NS6detail15normal_iteratorINSC_10device_ptrIKiEEEESI_EEEEESK_NSA_INS5_IJNSE_INSF_IiEEEESM_EEEEEPS7_SP_SP_NSC_11hip_rocprim7__merge17predicate_wrapperIiiNSC_4lessIiEEEEEE10hipError_tPvRmT0_T1_T2_T3_T4_T5_mmT6_P12ihipStream_tbEUlT_E0_NS1_11comp_targetILNS1_3genE10ELNS1_11target_archE1201ELNS1_3gpuE5ELNS1_3repE0EEENS1_30default_config_static_selectorELNS0_4arch9wavefront6targetE0EEEvS10_,"axG",@progbits,_ZN7rocprim17ROCPRIM_400000_NS6detail17trampoline_kernelINS0_14default_configENS1_21merge_config_selectorINS0_5tupleIJiiEEENS0_10empty_typeEEEZNS1_10merge_implIS3_NS0_12zip_iteratorINS5_IJN6thrust23THRUST_200600_302600_NS6detail15normal_iteratorINSC_10device_ptrIKiEEEESI_EEEEESK_NSA_INS5_IJNSE_INSF_IiEEEESM_EEEEEPS7_SP_SP_NSC_11hip_rocprim7__merge17predicate_wrapperIiiNSC_4lessIiEEEEEE10hipError_tPvRmT0_T1_T2_T3_T4_T5_mmT6_P12ihipStream_tbEUlT_E0_NS1_11comp_targetILNS1_3genE10ELNS1_11target_archE1201ELNS1_3gpuE5ELNS1_3repE0EEENS1_30default_config_static_selectorELNS0_4arch9wavefront6targetE0EEEvS10_,comdat
.Lfunc_end257:
	.size	_ZN7rocprim17ROCPRIM_400000_NS6detail17trampoline_kernelINS0_14default_configENS1_21merge_config_selectorINS0_5tupleIJiiEEENS0_10empty_typeEEEZNS1_10merge_implIS3_NS0_12zip_iteratorINS5_IJN6thrust23THRUST_200600_302600_NS6detail15normal_iteratorINSC_10device_ptrIKiEEEESI_EEEEESK_NSA_INS5_IJNSE_INSF_IiEEEESM_EEEEEPS7_SP_SP_NSC_11hip_rocprim7__merge17predicate_wrapperIiiNSC_4lessIiEEEEEE10hipError_tPvRmT0_T1_T2_T3_T4_T5_mmT6_P12ihipStream_tbEUlT_E0_NS1_11comp_targetILNS1_3genE10ELNS1_11target_archE1201ELNS1_3gpuE5ELNS1_3repE0EEENS1_30default_config_static_selectorELNS0_4arch9wavefront6targetE0EEEvS10_, .Lfunc_end257-_ZN7rocprim17ROCPRIM_400000_NS6detail17trampoline_kernelINS0_14default_configENS1_21merge_config_selectorINS0_5tupleIJiiEEENS0_10empty_typeEEEZNS1_10merge_implIS3_NS0_12zip_iteratorINS5_IJN6thrust23THRUST_200600_302600_NS6detail15normal_iteratorINSC_10device_ptrIKiEEEESI_EEEEESK_NSA_INS5_IJNSE_INSF_IiEEEESM_EEEEEPS7_SP_SP_NSC_11hip_rocprim7__merge17predicate_wrapperIiiNSC_4lessIiEEEEEE10hipError_tPvRmT0_T1_T2_T3_T4_T5_mmT6_P12ihipStream_tbEUlT_E0_NS1_11comp_targetILNS1_3genE10ELNS1_11target_archE1201ELNS1_3gpuE5ELNS1_3repE0EEENS1_30default_config_static_selectorELNS0_4arch9wavefront6targetE0EEEvS10_
                                        ; -- End function
	.set _ZN7rocprim17ROCPRIM_400000_NS6detail17trampoline_kernelINS0_14default_configENS1_21merge_config_selectorINS0_5tupleIJiiEEENS0_10empty_typeEEEZNS1_10merge_implIS3_NS0_12zip_iteratorINS5_IJN6thrust23THRUST_200600_302600_NS6detail15normal_iteratorINSC_10device_ptrIKiEEEESI_EEEEESK_NSA_INS5_IJNSE_INSF_IiEEEESM_EEEEEPS7_SP_SP_NSC_11hip_rocprim7__merge17predicate_wrapperIiiNSC_4lessIiEEEEEE10hipError_tPvRmT0_T1_T2_T3_T4_T5_mmT6_P12ihipStream_tbEUlT_E0_NS1_11comp_targetILNS1_3genE10ELNS1_11target_archE1201ELNS1_3gpuE5ELNS1_3repE0EEENS1_30default_config_static_selectorELNS0_4arch9wavefront6targetE0EEEvS10_.num_vgpr, 0
	.set _ZN7rocprim17ROCPRIM_400000_NS6detail17trampoline_kernelINS0_14default_configENS1_21merge_config_selectorINS0_5tupleIJiiEEENS0_10empty_typeEEEZNS1_10merge_implIS3_NS0_12zip_iteratorINS5_IJN6thrust23THRUST_200600_302600_NS6detail15normal_iteratorINSC_10device_ptrIKiEEEESI_EEEEESK_NSA_INS5_IJNSE_INSF_IiEEEESM_EEEEEPS7_SP_SP_NSC_11hip_rocprim7__merge17predicate_wrapperIiiNSC_4lessIiEEEEEE10hipError_tPvRmT0_T1_T2_T3_T4_T5_mmT6_P12ihipStream_tbEUlT_E0_NS1_11comp_targetILNS1_3genE10ELNS1_11target_archE1201ELNS1_3gpuE5ELNS1_3repE0EEENS1_30default_config_static_selectorELNS0_4arch9wavefront6targetE0EEEvS10_.num_agpr, 0
	.set _ZN7rocprim17ROCPRIM_400000_NS6detail17trampoline_kernelINS0_14default_configENS1_21merge_config_selectorINS0_5tupleIJiiEEENS0_10empty_typeEEEZNS1_10merge_implIS3_NS0_12zip_iteratorINS5_IJN6thrust23THRUST_200600_302600_NS6detail15normal_iteratorINSC_10device_ptrIKiEEEESI_EEEEESK_NSA_INS5_IJNSE_INSF_IiEEEESM_EEEEEPS7_SP_SP_NSC_11hip_rocprim7__merge17predicate_wrapperIiiNSC_4lessIiEEEEEE10hipError_tPvRmT0_T1_T2_T3_T4_T5_mmT6_P12ihipStream_tbEUlT_E0_NS1_11comp_targetILNS1_3genE10ELNS1_11target_archE1201ELNS1_3gpuE5ELNS1_3repE0EEENS1_30default_config_static_selectorELNS0_4arch9wavefront6targetE0EEEvS10_.numbered_sgpr, 0
	.set _ZN7rocprim17ROCPRIM_400000_NS6detail17trampoline_kernelINS0_14default_configENS1_21merge_config_selectorINS0_5tupleIJiiEEENS0_10empty_typeEEEZNS1_10merge_implIS3_NS0_12zip_iteratorINS5_IJN6thrust23THRUST_200600_302600_NS6detail15normal_iteratorINSC_10device_ptrIKiEEEESI_EEEEESK_NSA_INS5_IJNSE_INSF_IiEEEESM_EEEEEPS7_SP_SP_NSC_11hip_rocprim7__merge17predicate_wrapperIiiNSC_4lessIiEEEEEE10hipError_tPvRmT0_T1_T2_T3_T4_T5_mmT6_P12ihipStream_tbEUlT_E0_NS1_11comp_targetILNS1_3genE10ELNS1_11target_archE1201ELNS1_3gpuE5ELNS1_3repE0EEENS1_30default_config_static_selectorELNS0_4arch9wavefront6targetE0EEEvS10_.num_named_barrier, 0
	.set _ZN7rocprim17ROCPRIM_400000_NS6detail17trampoline_kernelINS0_14default_configENS1_21merge_config_selectorINS0_5tupleIJiiEEENS0_10empty_typeEEEZNS1_10merge_implIS3_NS0_12zip_iteratorINS5_IJN6thrust23THRUST_200600_302600_NS6detail15normal_iteratorINSC_10device_ptrIKiEEEESI_EEEEESK_NSA_INS5_IJNSE_INSF_IiEEEESM_EEEEEPS7_SP_SP_NSC_11hip_rocprim7__merge17predicate_wrapperIiiNSC_4lessIiEEEEEE10hipError_tPvRmT0_T1_T2_T3_T4_T5_mmT6_P12ihipStream_tbEUlT_E0_NS1_11comp_targetILNS1_3genE10ELNS1_11target_archE1201ELNS1_3gpuE5ELNS1_3repE0EEENS1_30default_config_static_selectorELNS0_4arch9wavefront6targetE0EEEvS10_.private_seg_size, 0
	.set _ZN7rocprim17ROCPRIM_400000_NS6detail17trampoline_kernelINS0_14default_configENS1_21merge_config_selectorINS0_5tupleIJiiEEENS0_10empty_typeEEEZNS1_10merge_implIS3_NS0_12zip_iteratorINS5_IJN6thrust23THRUST_200600_302600_NS6detail15normal_iteratorINSC_10device_ptrIKiEEEESI_EEEEESK_NSA_INS5_IJNSE_INSF_IiEEEESM_EEEEEPS7_SP_SP_NSC_11hip_rocprim7__merge17predicate_wrapperIiiNSC_4lessIiEEEEEE10hipError_tPvRmT0_T1_T2_T3_T4_T5_mmT6_P12ihipStream_tbEUlT_E0_NS1_11comp_targetILNS1_3genE10ELNS1_11target_archE1201ELNS1_3gpuE5ELNS1_3repE0EEENS1_30default_config_static_selectorELNS0_4arch9wavefront6targetE0EEEvS10_.uses_vcc, 0
	.set _ZN7rocprim17ROCPRIM_400000_NS6detail17trampoline_kernelINS0_14default_configENS1_21merge_config_selectorINS0_5tupleIJiiEEENS0_10empty_typeEEEZNS1_10merge_implIS3_NS0_12zip_iteratorINS5_IJN6thrust23THRUST_200600_302600_NS6detail15normal_iteratorINSC_10device_ptrIKiEEEESI_EEEEESK_NSA_INS5_IJNSE_INSF_IiEEEESM_EEEEEPS7_SP_SP_NSC_11hip_rocprim7__merge17predicate_wrapperIiiNSC_4lessIiEEEEEE10hipError_tPvRmT0_T1_T2_T3_T4_T5_mmT6_P12ihipStream_tbEUlT_E0_NS1_11comp_targetILNS1_3genE10ELNS1_11target_archE1201ELNS1_3gpuE5ELNS1_3repE0EEENS1_30default_config_static_selectorELNS0_4arch9wavefront6targetE0EEEvS10_.uses_flat_scratch, 0
	.set _ZN7rocprim17ROCPRIM_400000_NS6detail17trampoline_kernelINS0_14default_configENS1_21merge_config_selectorINS0_5tupleIJiiEEENS0_10empty_typeEEEZNS1_10merge_implIS3_NS0_12zip_iteratorINS5_IJN6thrust23THRUST_200600_302600_NS6detail15normal_iteratorINSC_10device_ptrIKiEEEESI_EEEEESK_NSA_INS5_IJNSE_INSF_IiEEEESM_EEEEEPS7_SP_SP_NSC_11hip_rocprim7__merge17predicate_wrapperIiiNSC_4lessIiEEEEEE10hipError_tPvRmT0_T1_T2_T3_T4_T5_mmT6_P12ihipStream_tbEUlT_E0_NS1_11comp_targetILNS1_3genE10ELNS1_11target_archE1201ELNS1_3gpuE5ELNS1_3repE0EEENS1_30default_config_static_selectorELNS0_4arch9wavefront6targetE0EEEvS10_.has_dyn_sized_stack, 0
	.set _ZN7rocprim17ROCPRIM_400000_NS6detail17trampoline_kernelINS0_14default_configENS1_21merge_config_selectorINS0_5tupleIJiiEEENS0_10empty_typeEEEZNS1_10merge_implIS3_NS0_12zip_iteratorINS5_IJN6thrust23THRUST_200600_302600_NS6detail15normal_iteratorINSC_10device_ptrIKiEEEESI_EEEEESK_NSA_INS5_IJNSE_INSF_IiEEEESM_EEEEEPS7_SP_SP_NSC_11hip_rocprim7__merge17predicate_wrapperIiiNSC_4lessIiEEEEEE10hipError_tPvRmT0_T1_T2_T3_T4_T5_mmT6_P12ihipStream_tbEUlT_E0_NS1_11comp_targetILNS1_3genE10ELNS1_11target_archE1201ELNS1_3gpuE5ELNS1_3repE0EEENS1_30default_config_static_selectorELNS0_4arch9wavefront6targetE0EEEvS10_.has_recursion, 0
	.set _ZN7rocprim17ROCPRIM_400000_NS6detail17trampoline_kernelINS0_14default_configENS1_21merge_config_selectorINS0_5tupleIJiiEEENS0_10empty_typeEEEZNS1_10merge_implIS3_NS0_12zip_iteratorINS5_IJN6thrust23THRUST_200600_302600_NS6detail15normal_iteratorINSC_10device_ptrIKiEEEESI_EEEEESK_NSA_INS5_IJNSE_INSF_IiEEEESM_EEEEEPS7_SP_SP_NSC_11hip_rocprim7__merge17predicate_wrapperIiiNSC_4lessIiEEEEEE10hipError_tPvRmT0_T1_T2_T3_T4_T5_mmT6_P12ihipStream_tbEUlT_E0_NS1_11comp_targetILNS1_3genE10ELNS1_11target_archE1201ELNS1_3gpuE5ELNS1_3repE0EEENS1_30default_config_static_selectorELNS0_4arch9wavefront6targetE0EEEvS10_.has_indirect_call, 0
	.section	.AMDGPU.csdata,"",@progbits
; Kernel info:
; codeLenInByte = 0
; TotalNumSgprs: 0
; NumVgprs: 0
; ScratchSize: 0
; MemoryBound: 0
; FloatMode: 240
; IeeeMode: 1
; LDSByteSize: 0 bytes/workgroup (compile time only)
; SGPRBlocks: 0
; VGPRBlocks: 0
; NumSGPRsForWavesPerEU: 1
; NumVGPRsForWavesPerEU: 1
; NamedBarCnt: 0
; Occupancy: 16
; WaveLimiterHint : 0
; COMPUTE_PGM_RSRC2:SCRATCH_EN: 0
; COMPUTE_PGM_RSRC2:USER_SGPR: 2
; COMPUTE_PGM_RSRC2:TRAP_HANDLER: 0
; COMPUTE_PGM_RSRC2:TGID_X_EN: 1
; COMPUTE_PGM_RSRC2:TGID_Y_EN: 0
; COMPUTE_PGM_RSRC2:TGID_Z_EN: 0
; COMPUTE_PGM_RSRC2:TIDIG_COMP_CNT: 0
	.section	.text._ZN7rocprim17ROCPRIM_400000_NS6detail17trampoline_kernelINS0_14default_configENS1_21merge_config_selectorINS0_5tupleIJiiEEENS0_10empty_typeEEEZNS1_10merge_implIS3_NS0_12zip_iteratorINS5_IJN6thrust23THRUST_200600_302600_NS6detail15normal_iteratorINSC_10device_ptrIKiEEEESI_EEEEESK_NSA_INS5_IJNSE_INSF_IiEEEESM_EEEEEPS7_SP_SP_NSC_11hip_rocprim7__merge17predicate_wrapperIiiNSC_4lessIiEEEEEE10hipError_tPvRmT0_T1_T2_T3_T4_T5_mmT6_P12ihipStream_tbEUlT_E0_NS1_11comp_targetILNS1_3genE10ELNS1_11target_archE1200ELNS1_3gpuE4ELNS1_3repE0EEENS1_30default_config_static_selectorELNS0_4arch9wavefront6targetE0EEEvS10_,"axG",@progbits,_ZN7rocprim17ROCPRIM_400000_NS6detail17trampoline_kernelINS0_14default_configENS1_21merge_config_selectorINS0_5tupleIJiiEEENS0_10empty_typeEEEZNS1_10merge_implIS3_NS0_12zip_iteratorINS5_IJN6thrust23THRUST_200600_302600_NS6detail15normal_iteratorINSC_10device_ptrIKiEEEESI_EEEEESK_NSA_INS5_IJNSE_INSF_IiEEEESM_EEEEEPS7_SP_SP_NSC_11hip_rocprim7__merge17predicate_wrapperIiiNSC_4lessIiEEEEEE10hipError_tPvRmT0_T1_T2_T3_T4_T5_mmT6_P12ihipStream_tbEUlT_E0_NS1_11comp_targetILNS1_3genE10ELNS1_11target_archE1200ELNS1_3gpuE4ELNS1_3repE0EEENS1_30default_config_static_selectorELNS0_4arch9wavefront6targetE0EEEvS10_,comdat
	.protected	_ZN7rocprim17ROCPRIM_400000_NS6detail17trampoline_kernelINS0_14default_configENS1_21merge_config_selectorINS0_5tupleIJiiEEENS0_10empty_typeEEEZNS1_10merge_implIS3_NS0_12zip_iteratorINS5_IJN6thrust23THRUST_200600_302600_NS6detail15normal_iteratorINSC_10device_ptrIKiEEEESI_EEEEESK_NSA_INS5_IJNSE_INSF_IiEEEESM_EEEEEPS7_SP_SP_NSC_11hip_rocprim7__merge17predicate_wrapperIiiNSC_4lessIiEEEEEE10hipError_tPvRmT0_T1_T2_T3_T4_T5_mmT6_P12ihipStream_tbEUlT_E0_NS1_11comp_targetILNS1_3genE10ELNS1_11target_archE1200ELNS1_3gpuE4ELNS1_3repE0EEENS1_30default_config_static_selectorELNS0_4arch9wavefront6targetE0EEEvS10_ ; -- Begin function _ZN7rocprim17ROCPRIM_400000_NS6detail17trampoline_kernelINS0_14default_configENS1_21merge_config_selectorINS0_5tupleIJiiEEENS0_10empty_typeEEEZNS1_10merge_implIS3_NS0_12zip_iteratorINS5_IJN6thrust23THRUST_200600_302600_NS6detail15normal_iteratorINSC_10device_ptrIKiEEEESI_EEEEESK_NSA_INS5_IJNSE_INSF_IiEEEESM_EEEEEPS7_SP_SP_NSC_11hip_rocprim7__merge17predicate_wrapperIiiNSC_4lessIiEEEEEE10hipError_tPvRmT0_T1_T2_T3_T4_T5_mmT6_P12ihipStream_tbEUlT_E0_NS1_11comp_targetILNS1_3genE10ELNS1_11target_archE1200ELNS1_3gpuE4ELNS1_3repE0EEENS1_30default_config_static_selectorELNS0_4arch9wavefront6targetE0EEEvS10_
	.globl	_ZN7rocprim17ROCPRIM_400000_NS6detail17trampoline_kernelINS0_14default_configENS1_21merge_config_selectorINS0_5tupleIJiiEEENS0_10empty_typeEEEZNS1_10merge_implIS3_NS0_12zip_iteratorINS5_IJN6thrust23THRUST_200600_302600_NS6detail15normal_iteratorINSC_10device_ptrIKiEEEESI_EEEEESK_NSA_INS5_IJNSE_INSF_IiEEEESM_EEEEEPS7_SP_SP_NSC_11hip_rocprim7__merge17predicate_wrapperIiiNSC_4lessIiEEEEEE10hipError_tPvRmT0_T1_T2_T3_T4_T5_mmT6_P12ihipStream_tbEUlT_E0_NS1_11comp_targetILNS1_3genE10ELNS1_11target_archE1200ELNS1_3gpuE4ELNS1_3repE0EEENS1_30default_config_static_selectorELNS0_4arch9wavefront6targetE0EEEvS10_
	.p2align	8
	.type	_ZN7rocprim17ROCPRIM_400000_NS6detail17trampoline_kernelINS0_14default_configENS1_21merge_config_selectorINS0_5tupleIJiiEEENS0_10empty_typeEEEZNS1_10merge_implIS3_NS0_12zip_iteratorINS5_IJN6thrust23THRUST_200600_302600_NS6detail15normal_iteratorINSC_10device_ptrIKiEEEESI_EEEEESK_NSA_INS5_IJNSE_INSF_IiEEEESM_EEEEEPS7_SP_SP_NSC_11hip_rocprim7__merge17predicate_wrapperIiiNSC_4lessIiEEEEEE10hipError_tPvRmT0_T1_T2_T3_T4_T5_mmT6_P12ihipStream_tbEUlT_E0_NS1_11comp_targetILNS1_3genE10ELNS1_11target_archE1200ELNS1_3gpuE4ELNS1_3repE0EEENS1_30default_config_static_selectorELNS0_4arch9wavefront6targetE0EEEvS10_,@function
_ZN7rocprim17ROCPRIM_400000_NS6detail17trampoline_kernelINS0_14default_configENS1_21merge_config_selectorINS0_5tupleIJiiEEENS0_10empty_typeEEEZNS1_10merge_implIS3_NS0_12zip_iteratorINS5_IJN6thrust23THRUST_200600_302600_NS6detail15normal_iteratorINSC_10device_ptrIKiEEEESI_EEEEESK_NSA_INS5_IJNSE_INSF_IiEEEESM_EEEEEPS7_SP_SP_NSC_11hip_rocprim7__merge17predicate_wrapperIiiNSC_4lessIiEEEEEE10hipError_tPvRmT0_T1_T2_T3_T4_T5_mmT6_P12ihipStream_tbEUlT_E0_NS1_11comp_targetILNS1_3genE10ELNS1_11target_archE1200ELNS1_3gpuE4ELNS1_3repE0EEENS1_30default_config_static_selectorELNS0_4arch9wavefront6targetE0EEEvS10_: ; @_ZN7rocprim17ROCPRIM_400000_NS6detail17trampoline_kernelINS0_14default_configENS1_21merge_config_selectorINS0_5tupleIJiiEEENS0_10empty_typeEEEZNS1_10merge_implIS3_NS0_12zip_iteratorINS5_IJN6thrust23THRUST_200600_302600_NS6detail15normal_iteratorINSC_10device_ptrIKiEEEESI_EEEEESK_NSA_INS5_IJNSE_INSF_IiEEEESM_EEEEEPS7_SP_SP_NSC_11hip_rocprim7__merge17predicate_wrapperIiiNSC_4lessIiEEEEEE10hipError_tPvRmT0_T1_T2_T3_T4_T5_mmT6_P12ihipStream_tbEUlT_E0_NS1_11comp_targetILNS1_3genE10ELNS1_11target_archE1200ELNS1_3gpuE4ELNS1_3repE0EEENS1_30default_config_static_selectorELNS0_4arch9wavefront6targetE0EEEvS10_
; %bb.0:
	.section	.rodata,"a",@progbits
	.p2align	6, 0x0
	.amdhsa_kernel _ZN7rocprim17ROCPRIM_400000_NS6detail17trampoline_kernelINS0_14default_configENS1_21merge_config_selectorINS0_5tupleIJiiEEENS0_10empty_typeEEEZNS1_10merge_implIS3_NS0_12zip_iteratorINS5_IJN6thrust23THRUST_200600_302600_NS6detail15normal_iteratorINSC_10device_ptrIKiEEEESI_EEEEESK_NSA_INS5_IJNSE_INSF_IiEEEESM_EEEEEPS7_SP_SP_NSC_11hip_rocprim7__merge17predicate_wrapperIiiNSC_4lessIiEEEEEE10hipError_tPvRmT0_T1_T2_T3_T4_T5_mmT6_P12ihipStream_tbEUlT_E0_NS1_11comp_targetILNS1_3genE10ELNS1_11target_archE1200ELNS1_3gpuE4ELNS1_3repE0EEENS1_30default_config_static_selectorELNS0_4arch9wavefront6targetE0EEEvS10_
		.amdhsa_group_segment_fixed_size 0
		.amdhsa_private_segment_fixed_size 0
		.amdhsa_kernarg_size 112
		.amdhsa_user_sgpr_count 2
		.amdhsa_user_sgpr_dispatch_ptr 0
		.amdhsa_user_sgpr_queue_ptr 0
		.amdhsa_user_sgpr_kernarg_segment_ptr 1
		.amdhsa_user_sgpr_dispatch_id 0
		.amdhsa_user_sgpr_kernarg_preload_length 0
		.amdhsa_user_sgpr_kernarg_preload_offset 0
		.amdhsa_user_sgpr_private_segment_size 0
		.amdhsa_wavefront_size32 1
		.amdhsa_uses_dynamic_stack 0
		.amdhsa_enable_private_segment 0
		.amdhsa_system_sgpr_workgroup_id_x 1
		.amdhsa_system_sgpr_workgroup_id_y 0
		.amdhsa_system_sgpr_workgroup_id_z 0
		.amdhsa_system_sgpr_workgroup_info 0
		.amdhsa_system_vgpr_workitem_id 0
		.amdhsa_next_free_vgpr 1
		.amdhsa_next_free_sgpr 1
		.amdhsa_named_barrier_count 0
		.amdhsa_reserve_vcc 0
		.amdhsa_float_round_mode_32 0
		.amdhsa_float_round_mode_16_64 0
		.amdhsa_float_denorm_mode_32 3
		.amdhsa_float_denorm_mode_16_64 3
		.amdhsa_fp16_overflow 0
		.amdhsa_memory_ordered 1
		.amdhsa_forward_progress 1
		.amdhsa_inst_pref_size 0
		.amdhsa_round_robin_scheduling 0
		.amdhsa_exception_fp_ieee_invalid_op 0
		.amdhsa_exception_fp_denorm_src 0
		.amdhsa_exception_fp_ieee_div_zero 0
		.amdhsa_exception_fp_ieee_overflow 0
		.amdhsa_exception_fp_ieee_underflow 0
		.amdhsa_exception_fp_ieee_inexact 0
		.amdhsa_exception_int_div_zero 0
	.end_amdhsa_kernel
	.section	.text._ZN7rocprim17ROCPRIM_400000_NS6detail17trampoline_kernelINS0_14default_configENS1_21merge_config_selectorINS0_5tupleIJiiEEENS0_10empty_typeEEEZNS1_10merge_implIS3_NS0_12zip_iteratorINS5_IJN6thrust23THRUST_200600_302600_NS6detail15normal_iteratorINSC_10device_ptrIKiEEEESI_EEEEESK_NSA_INS5_IJNSE_INSF_IiEEEESM_EEEEEPS7_SP_SP_NSC_11hip_rocprim7__merge17predicate_wrapperIiiNSC_4lessIiEEEEEE10hipError_tPvRmT0_T1_T2_T3_T4_T5_mmT6_P12ihipStream_tbEUlT_E0_NS1_11comp_targetILNS1_3genE10ELNS1_11target_archE1200ELNS1_3gpuE4ELNS1_3repE0EEENS1_30default_config_static_selectorELNS0_4arch9wavefront6targetE0EEEvS10_,"axG",@progbits,_ZN7rocprim17ROCPRIM_400000_NS6detail17trampoline_kernelINS0_14default_configENS1_21merge_config_selectorINS0_5tupleIJiiEEENS0_10empty_typeEEEZNS1_10merge_implIS3_NS0_12zip_iteratorINS5_IJN6thrust23THRUST_200600_302600_NS6detail15normal_iteratorINSC_10device_ptrIKiEEEESI_EEEEESK_NSA_INS5_IJNSE_INSF_IiEEEESM_EEEEEPS7_SP_SP_NSC_11hip_rocprim7__merge17predicate_wrapperIiiNSC_4lessIiEEEEEE10hipError_tPvRmT0_T1_T2_T3_T4_T5_mmT6_P12ihipStream_tbEUlT_E0_NS1_11comp_targetILNS1_3genE10ELNS1_11target_archE1200ELNS1_3gpuE4ELNS1_3repE0EEENS1_30default_config_static_selectorELNS0_4arch9wavefront6targetE0EEEvS10_,comdat
.Lfunc_end258:
	.size	_ZN7rocprim17ROCPRIM_400000_NS6detail17trampoline_kernelINS0_14default_configENS1_21merge_config_selectorINS0_5tupleIJiiEEENS0_10empty_typeEEEZNS1_10merge_implIS3_NS0_12zip_iteratorINS5_IJN6thrust23THRUST_200600_302600_NS6detail15normal_iteratorINSC_10device_ptrIKiEEEESI_EEEEESK_NSA_INS5_IJNSE_INSF_IiEEEESM_EEEEEPS7_SP_SP_NSC_11hip_rocprim7__merge17predicate_wrapperIiiNSC_4lessIiEEEEEE10hipError_tPvRmT0_T1_T2_T3_T4_T5_mmT6_P12ihipStream_tbEUlT_E0_NS1_11comp_targetILNS1_3genE10ELNS1_11target_archE1200ELNS1_3gpuE4ELNS1_3repE0EEENS1_30default_config_static_selectorELNS0_4arch9wavefront6targetE0EEEvS10_, .Lfunc_end258-_ZN7rocprim17ROCPRIM_400000_NS6detail17trampoline_kernelINS0_14default_configENS1_21merge_config_selectorINS0_5tupleIJiiEEENS0_10empty_typeEEEZNS1_10merge_implIS3_NS0_12zip_iteratorINS5_IJN6thrust23THRUST_200600_302600_NS6detail15normal_iteratorINSC_10device_ptrIKiEEEESI_EEEEESK_NSA_INS5_IJNSE_INSF_IiEEEESM_EEEEEPS7_SP_SP_NSC_11hip_rocprim7__merge17predicate_wrapperIiiNSC_4lessIiEEEEEE10hipError_tPvRmT0_T1_T2_T3_T4_T5_mmT6_P12ihipStream_tbEUlT_E0_NS1_11comp_targetILNS1_3genE10ELNS1_11target_archE1200ELNS1_3gpuE4ELNS1_3repE0EEENS1_30default_config_static_selectorELNS0_4arch9wavefront6targetE0EEEvS10_
                                        ; -- End function
	.set _ZN7rocprim17ROCPRIM_400000_NS6detail17trampoline_kernelINS0_14default_configENS1_21merge_config_selectorINS0_5tupleIJiiEEENS0_10empty_typeEEEZNS1_10merge_implIS3_NS0_12zip_iteratorINS5_IJN6thrust23THRUST_200600_302600_NS6detail15normal_iteratorINSC_10device_ptrIKiEEEESI_EEEEESK_NSA_INS5_IJNSE_INSF_IiEEEESM_EEEEEPS7_SP_SP_NSC_11hip_rocprim7__merge17predicate_wrapperIiiNSC_4lessIiEEEEEE10hipError_tPvRmT0_T1_T2_T3_T4_T5_mmT6_P12ihipStream_tbEUlT_E0_NS1_11comp_targetILNS1_3genE10ELNS1_11target_archE1200ELNS1_3gpuE4ELNS1_3repE0EEENS1_30default_config_static_selectorELNS0_4arch9wavefront6targetE0EEEvS10_.num_vgpr, 0
	.set _ZN7rocprim17ROCPRIM_400000_NS6detail17trampoline_kernelINS0_14default_configENS1_21merge_config_selectorINS0_5tupleIJiiEEENS0_10empty_typeEEEZNS1_10merge_implIS3_NS0_12zip_iteratorINS5_IJN6thrust23THRUST_200600_302600_NS6detail15normal_iteratorINSC_10device_ptrIKiEEEESI_EEEEESK_NSA_INS5_IJNSE_INSF_IiEEEESM_EEEEEPS7_SP_SP_NSC_11hip_rocprim7__merge17predicate_wrapperIiiNSC_4lessIiEEEEEE10hipError_tPvRmT0_T1_T2_T3_T4_T5_mmT6_P12ihipStream_tbEUlT_E0_NS1_11comp_targetILNS1_3genE10ELNS1_11target_archE1200ELNS1_3gpuE4ELNS1_3repE0EEENS1_30default_config_static_selectorELNS0_4arch9wavefront6targetE0EEEvS10_.num_agpr, 0
	.set _ZN7rocprim17ROCPRIM_400000_NS6detail17trampoline_kernelINS0_14default_configENS1_21merge_config_selectorINS0_5tupleIJiiEEENS0_10empty_typeEEEZNS1_10merge_implIS3_NS0_12zip_iteratorINS5_IJN6thrust23THRUST_200600_302600_NS6detail15normal_iteratorINSC_10device_ptrIKiEEEESI_EEEEESK_NSA_INS5_IJNSE_INSF_IiEEEESM_EEEEEPS7_SP_SP_NSC_11hip_rocprim7__merge17predicate_wrapperIiiNSC_4lessIiEEEEEE10hipError_tPvRmT0_T1_T2_T3_T4_T5_mmT6_P12ihipStream_tbEUlT_E0_NS1_11comp_targetILNS1_3genE10ELNS1_11target_archE1200ELNS1_3gpuE4ELNS1_3repE0EEENS1_30default_config_static_selectorELNS0_4arch9wavefront6targetE0EEEvS10_.numbered_sgpr, 0
	.set _ZN7rocprim17ROCPRIM_400000_NS6detail17trampoline_kernelINS0_14default_configENS1_21merge_config_selectorINS0_5tupleIJiiEEENS0_10empty_typeEEEZNS1_10merge_implIS3_NS0_12zip_iteratorINS5_IJN6thrust23THRUST_200600_302600_NS6detail15normal_iteratorINSC_10device_ptrIKiEEEESI_EEEEESK_NSA_INS5_IJNSE_INSF_IiEEEESM_EEEEEPS7_SP_SP_NSC_11hip_rocprim7__merge17predicate_wrapperIiiNSC_4lessIiEEEEEE10hipError_tPvRmT0_T1_T2_T3_T4_T5_mmT6_P12ihipStream_tbEUlT_E0_NS1_11comp_targetILNS1_3genE10ELNS1_11target_archE1200ELNS1_3gpuE4ELNS1_3repE0EEENS1_30default_config_static_selectorELNS0_4arch9wavefront6targetE0EEEvS10_.num_named_barrier, 0
	.set _ZN7rocprim17ROCPRIM_400000_NS6detail17trampoline_kernelINS0_14default_configENS1_21merge_config_selectorINS0_5tupleIJiiEEENS0_10empty_typeEEEZNS1_10merge_implIS3_NS0_12zip_iteratorINS5_IJN6thrust23THRUST_200600_302600_NS6detail15normal_iteratorINSC_10device_ptrIKiEEEESI_EEEEESK_NSA_INS5_IJNSE_INSF_IiEEEESM_EEEEEPS7_SP_SP_NSC_11hip_rocprim7__merge17predicate_wrapperIiiNSC_4lessIiEEEEEE10hipError_tPvRmT0_T1_T2_T3_T4_T5_mmT6_P12ihipStream_tbEUlT_E0_NS1_11comp_targetILNS1_3genE10ELNS1_11target_archE1200ELNS1_3gpuE4ELNS1_3repE0EEENS1_30default_config_static_selectorELNS0_4arch9wavefront6targetE0EEEvS10_.private_seg_size, 0
	.set _ZN7rocprim17ROCPRIM_400000_NS6detail17trampoline_kernelINS0_14default_configENS1_21merge_config_selectorINS0_5tupleIJiiEEENS0_10empty_typeEEEZNS1_10merge_implIS3_NS0_12zip_iteratorINS5_IJN6thrust23THRUST_200600_302600_NS6detail15normal_iteratorINSC_10device_ptrIKiEEEESI_EEEEESK_NSA_INS5_IJNSE_INSF_IiEEEESM_EEEEEPS7_SP_SP_NSC_11hip_rocprim7__merge17predicate_wrapperIiiNSC_4lessIiEEEEEE10hipError_tPvRmT0_T1_T2_T3_T4_T5_mmT6_P12ihipStream_tbEUlT_E0_NS1_11comp_targetILNS1_3genE10ELNS1_11target_archE1200ELNS1_3gpuE4ELNS1_3repE0EEENS1_30default_config_static_selectorELNS0_4arch9wavefront6targetE0EEEvS10_.uses_vcc, 0
	.set _ZN7rocprim17ROCPRIM_400000_NS6detail17trampoline_kernelINS0_14default_configENS1_21merge_config_selectorINS0_5tupleIJiiEEENS0_10empty_typeEEEZNS1_10merge_implIS3_NS0_12zip_iteratorINS5_IJN6thrust23THRUST_200600_302600_NS6detail15normal_iteratorINSC_10device_ptrIKiEEEESI_EEEEESK_NSA_INS5_IJNSE_INSF_IiEEEESM_EEEEEPS7_SP_SP_NSC_11hip_rocprim7__merge17predicate_wrapperIiiNSC_4lessIiEEEEEE10hipError_tPvRmT0_T1_T2_T3_T4_T5_mmT6_P12ihipStream_tbEUlT_E0_NS1_11comp_targetILNS1_3genE10ELNS1_11target_archE1200ELNS1_3gpuE4ELNS1_3repE0EEENS1_30default_config_static_selectorELNS0_4arch9wavefront6targetE0EEEvS10_.uses_flat_scratch, 0
	.set _ZN7rocprim17ROCPRIM_400000_NS6detail17trampoline_kernelINS0_14default_configENS1_21merge_config_selectorINS0_5tupleIJiiEEENS0_10empty_typeEEEZNS1_10merge_implIS3_NS0_12zip_iteratorINS5_IJN6thrust23THRUST_200600_302600_NS6detail15normal_iteratorINSC_10device_ptrIKiEEEESI_EEEEESK_NSA_INS5_IJNSE_INSF_IiEEEESM_EEEEEPS7_SP_SP_NSC_11hip_rocprim7__merge17predicate_wrapperIiiNSC_4lessIiEEEEEE10hipError_tPvRmT0_T1_T2_T3_T4_T5_mmT6_P12ihipStream_tbEUlT_E0_NS1_11comp_targetILNS1_3genE10ELNS1_11target_archE1200ELNS1_3gpuE4ELNS1_3repE0EEENS1_30default_config_static_selectorELNS0_4arch9wavefront6targetE0EEEvS10_.has_dyn_sized_stack, 0
	.set _ZN7rocprim17ROCPRIM_400000_NS6detail17trampoline_kernelINS0_14default_configENS1_21merge_config_selectorINS0_5tupleIJiiEEENS0_10empty_typeEEEZNS1_10merge_implIS3_NS0_12zip_iteratorINS5_IJN6thrust23THRUST_200600_302600_NS6detail15normal_iteratorINSC_10device_ptrIKiEEEESI_EEEEESK_NSA_INS5_IJNSE_INSF_IiEEEESM_EEEEEPS7_SP_SP_NSC_11hip_rocprim7__merge17predicate_wrapperIiiNSC_4lessIiEEEEEE10hipError_tPvRmT0_T1_T2_T3_T4_T5_mmT6_P12ihipStream_tbEUlT_E0_NS1_11comp_targetILNS1_3genE10ELNS1_11target_archE1200ELNS1_3gpuE4ELNS1_3repE0EEENS1_30default_config_static_selectorELNS0_4arch9wavefront6targetE0EEEvS10_.has_recursion, 0
	.set _ZN7rocprim17ROCPRIM_400000_NS6detail17trampoline_kernelINS0_14default_configENS1_21merge_config_selectorINS0_5tupleIJiiEEENS0_10empty_typeEEEZNS1_10merge_implIS3_NS0_12zip_iteratorINS5_IJN6thrust23THRUST_200600_302600_NS6detail15normal_iteratorINSC_10device_ptrIKiEEEESI_EEEEESK_NSA_INS5_IJNSE_INSF_IiEEEESM_EEEEEPS7_SP_SP_NSC_11hip_rocprim7__merge17predicate_wrapperIiiNSC_4lessIiEEEEEE10hipError_tPvRmT0_T1_T2_T3_T4_T5_mmT6_P12ihipStream_tbEUlT_E0_NS1_11comp_targetILNS1_3genE10ELNS1_11target_archE1200ELNS1_3gpuE4ELNS1_3repE0EEENS1_30default_config_static_selectorELNS0_4arch9wavefront6targetE0EEEvS10_.has_indirect_call, 0
	.section	.AMDGPU.csdata,"",@progbits
; Kernel info:
; codeLenInByte = 0
; TotalNumSgprs: 0
; NumVgprs: 0
; ScratchSize: 0
; MemoryBound: 0
; FloatMode: 240
; IeeeMode: 1
; LDSByteSize: 0 bytes/workgroup (compile time only)
; SGPRBlocks: 0
; VGPRBlocks: 0
; NumSGPRsForWavesPerEU: 1
; NumVGPRsForWavesPerEU: 1
; NamedBarCnt: 0
; Occupancy: 16
; WaveLimiterHint : 0
; COMPUTE_PGM_RSRC2:SCRATCH_EN: 0
; COMPUTE_PGM_RSRC2:USER_SGPR: 2
; COMPUTE_PGM_RSRC2:TRAP_HANDLER: 0
; COMPUTE_PGM_RSRC2:TGID_X_EN: 1
; COMPUTE_PGM_RSRC2:TGID_Y_EN: 0
; COMPUTE_PGM_RSRC2:TGID_Z_EN: 0
; COMPUTE_PGM_RSRC2:TIDIG_COMP_CNT: 0
	.section	.text._ZN7rocprim17ROCPRIM_400000_NS6detail17trampoline_kernelINS0_14default_configENS1_21merge_config_selectorINS0_5tupleIJiiEEENS0_10empty_typeEEEZNS1_10merge_implIS3_NS0_12zip_iteratorINS5_IJN6thrust23THRUST_200600_302600_NS6detail15normal_iteratorINSC_10device_ptrIKiEEEESI_EEEEESK_NSA_INS5_IJNSE_INSF_IiEEEESM_EEEEEPS7_SP_SP_NSC_11hip_rocprim7__merge17predicate_wrapperIiiNSC_4lessIiEEEEEE10hipError_tPvRmT0_T1_T2_T3_T4_T5_mmT6_P12ihipStream_tbEUlT_E0_NS1_11comp_targetILNS1_3genE9ELNS1_11target_archE1100ELNS1_3gpuE3ELNS1_3repE0EEENS1_30default_config_static_selectorELNS0_4arch9wavefront6targetE0EEEvS10_,"axG",@progbits,_ZN7rocprim17ROCPRIM_400000_NS6detail17trampoline_kernelINS0_14default_configENS1_21merge_config_selectorINS0_5tupleIJiiEEENS0_10empty_typeEEEZNS1_10merge_implIS3_NS0_12zip_iteratorINS5_IJN6thrust23THRUST_200600_302600_NS6detail15normal_iteratorINSC_10device_ptrIKiEEEESI_EEEEESK_NSA_INS5_IJNSE_INSF_IiEEEESM_EEEEEPS7_SP_SP_NSC_11hip_rocprim7__merge17predicate_wrapperIiiNSC_4lessIiEEEEEE10hipError_tPvRmT0_T1_T2_T3_T4_T5_mmT6_P12ihipStream_tbEUlT_E0_NS1_11comp_targetILNS1_3genE9ELNS1_11target_archE1100ELNS1_3gpuE3ELNS1_3repE0EEENS1_30default_config_static_selectorELNS0_4arch9wavefront6targetE0EEEvS10_,comdat
	.protected	_ZN7rocprim17ROCPRIM_400000_NS6detail17trampoline_kernelINS0_14default_configENS1_21merge_config_selectorINS0_5tupleIJiiEEENS0_10empty_typeEEEZNS1_10merge_implIS3_NS0_12zip_iteratorINS5_IJN6thrust23THRUST_200600_302600_NS6detail15normal_iteratorINSC_10device_ptrIKiEEEESI_EEEEESK_NSA_INS5_IJNSE_INSF_IiEEEESM_EEEEEPS7_SP_SP_NSC_11hip_rocprim7__merge17predicate_wrapperIiiNSC_4lessIiEEEEEE10hipError_tPvRmT0_T1_T2_T3_T4_T5_mmT6_P12ihipStream_tbEUlT_E0_NS1_11comp_targetILNS1_3genE9ELNS1_11target_archE1100ELNS1_3gpuE3ELNS1_3repE0EEENS1_30default_config_static_selectorELNS0_4arch9wavefront6targetE0EEEvS10_ ; -- Begin function _ZN7rocprim17ROCPRIM_400000_NS6detail17trampoline_kernelINS0_14default_configENS1_21merge_config_selectorINS0_5tupleIJiiEEENS0_10empty_typeEEEZNS1_10merge_implIS3_NS0_12zip_iteratorINS5_IJN6thrust23THRUST_200600_302600_NS6detail15normal_iteratorINSC_10device_ptrIKiEEEESI_EEEEESK_NSA_INS5_IJNSE_INSF_IiEEEESM_EEEEEPS7_SP_SP_NSC_11hip_rocprim7__merge17predicate_wrapperIiiNSC_4lessIiEEEEEE10hipError_tPvRmT0_T1_T2_T3_T4_T5_mmT6_P12ihipStream_tbEUlT_E0_NS1_11comp_targetILNS1_3genE9ELNS1_11target_archE1100ELNS1_3gpuE3ELNS1_3repE0EEENS1_30default_config_static_selectorELNS0_4arch9wavefront6targetE0EEEvS10_
	.globl	_ZN7rocprim17ROCPRIM_400000_NS6detail17trampoline_kernelINS0_14default_configENS1_21merge_config_selectorINS0_5tupleIJiiEEENS0_10empty_typeEEEZNS1_10merge_implIS3_NS0_12zip_iteratorINS5_IJN6thrust23THRUST_200600_302600_NS6detail15normal_iteratorINSC_10device_ptrIKiEEEESI_EEEEESK_NSA_INS5_IJNSE_INSF_IiEEEESM_EEEEEPS7_SP_SP_NSC_11hip_rocprim7__merge17predicate_wrapperIiiNSC_4lessIiEEEEEE10hipError_tPvRmT0_T1_T2_T3_T4_T5_mmT6_P12ihipStream_tbEUlT_E0_NS1_11comp_targetILNS1_3genE9ELNS1_11target_archE1100ELNS1_3gpuE3ELNS1_3repE0EEENS1_30default_config_static_selectorELNS0_4arch9wavefront6targetE0EEEvS10_
	.p2align	8
	.type	_ZN7rocprim17ROCPRIM_400000_NS6detail17trampoline_kernelINS0_14default_configENS1_21merge_config_selectorINS0_5tupleIJiiEEENS0_10empty_typeEEEZNS1_10merge_implIS3_NS0_12zip_iteratorINS5_IJN6thrust23THRUST_200600_302600_NS6detail15normal_iteratorINSC_10device_ptrIKiEEEESI_EEEEESK_NSA_INS5_IJNSE_INSF_IiEEEESM_EEEEEPS7_SP_SP_NSC_11hip_rocprim7__merge17predicate_wrapperIiiNSC_4lessIiEEEEEE10hipError_tPvRmT0_T1_T2_T3_T4_T5_mmT6_P12ihipStream_tbEUlT_E0_NS1_11comp_targetILNS1_3genE9ELNS1_11target_archE1100ELNS1_3gpuE3ELNS1_3repE0EEENS1_30default_config_static_selectorELNS0_4arch9wavefront6targetE0EEEvS10_,@function
_ZN7rocprim17ROCPRIM_400000_NS6detail17trampoline_kernelINS0_14default_configENS1_21merge_config_selectorINS0_5tupleIJiiEEENS0_10empty_typeEEEZNS1_10merge_implIS3_NS0_12zip_iteratorINS5_IJN6thrust23THRUST_200600_302600_NS6detail15normal_iteratorINSC_10device_ptrIKiEEEESI_EEEEESK_NSA_INS5_IJNSE_INSF_IiEEEESM_EEEEEPS7_SP_SP_NSC_11hip_rocprim7__merge17predicate_wrapperIiiNSC_4lessIiEEEEEE10hipError_tPvRmT0_T1_T2_T3_T4_T5_mmT6_P12ihipStream_tbEUlT_E0_NS1_11comp_targetILNS1_3genE9ELNS1_11target_archE1100ELNS1_3gpuE3ELNS1_3repE0EEENS1_30default_config_static_selectorELNS0_4arch9wavefront6targetE0EEEvS10_: ; @_ZN7rocprim17ROCPRIM_400000_NS6detail17trampoline_kernelINS0_14default_configENS1_21merge_config_selectorINS0_5tupleIJiiEEENS0_10empty_typeEEEZNS1_10merge_implIS3_NS0_12zip_iteratorINS5_IJN6thrust23THRUST_200600_302600_NS6detail15normal_iteratorINSC_10device_ptrIKiEEEESI_EEEEESK_NSA_INS5_IJNSE_INSF_IiEEEESM_EEEEEPS7_SP_SP_NSC_11hip_rocprim7__merge17predicate_wrapperIiiNSC_4lessIiEEEEEE10hipError_tPvRmT0_T1_T2_T3_T4_T5_mmT6_P12ihipStream_tbEUlT_E0_NS1_11comp_targetILNS1_3genE9ELNS1_11target_archE1100ELNS1_3gpuE3ELNS1_3repE0EEENS1_30default_config_static_selectorELNS0_4arch9wavefront6targetE0EEEvS10_
; %bb.0:
	.section	.rodata,"a",@progbits
	.p2align	6, 0x0
	.amdhsa_kernel _ZN7rocprim17ROCPRIM_400000_NS6detail17trampoline_kernelINS0_14default_configENS1_21merge_config_selectorINS0_5tupleIJiiEEENS0_10empty_typeEEEZNS1_10merge_implIS3_NS0_12zip_iteratorINS5_IJN6thrust23THRUST_200600_302600_NS6detail15normal_iteratorINSC_10device_ptrIKiEEEESI_EEEEESK_NSA_INS5_IJNSE_INSF_IiEEEESM_EEEEEPS7_SP_SP_NSC_11hip_rocprim7__merge17predicate_wrapperIiiNSC_4lessIiEEEEEE10hipError_tPvRmT0_T1_T2_T3_T4_T5_mmT6_P12ihipStream_tbEUlT_E0_NS1_11comp_targetILNS1_3genE9ELNS1_11target_archE1100ELNS1_3gpuE3ELNS1_3repE0EEENS1_30default_config_static_selectorELNS0_4arch9wavefront6targetE0EEEvS10_
		.amdhsa_group_segment_fixed_size 0
		.amdhsa_private_segment_fixed_size 0
		.amdhsa_kernarg_size 112
		.amdhsa_user_sgpr_count 2
		.amdhsa_user_sgpr_dispatch_ptr 0
		.amdhsa_user_sgpr_queue_ptr 0
		.amdhsa_user_sgpr_kernarg_segment_ptr 1
		.amdhsa_user_sgpr_dispatch_id 0
		.amdhsa_user_sgpr_kernarg_preload_length 0
		.amdhsa_user_sgpr_kernarg_preload_offset 0
		.amdhsa_user_sgpr_private_segment_size 0
		.amdhsa_wavefront_size32 1
		.amdhsa_uses_dynamic_stack 0
		.amdhsa_enable_private_segment 0
		.amdhsa_system_sgpr_workgroup_id_x 1
		.amdhsa_system_sgpr_workgroup_id_y 0
		.amdhsa_system_sgpr_workgroup_id_z 0
		.amdhsa_system_sgpr_workgroup_info 0
		.amdhsa_system_vgpr_workitem_id 0
		.amdhsa_next_free_vgpr 1
		.amdhsa_next_free_sgpr 1
		.amdhsa_named_barrier_count 0
		.amdhsa_reserve_vcc 0
		.amdhsa_float_round_mode_32 0
		.amdhsa_float_round_mode_16_64 0
		.amdhsa_float_denorm_mode_32 3
		.amdhsa_float_denorm_mode_16_64 3
		.amdhsa_fp16_overflow 0
		.amdhsa_memory_ordered 1
		.amdhsa_forward_progress 1
		.amdhsa_inst_pref_size 0
		.amdhsa_round_robin_scheduling 0
		.amdhsa_exception_fp_ieee_invalid_op 0
		.amdhsa_exception_fp_denorm_src 0
		.amdhsa_exception_fp_ieee_div_zero 0
		.amdhsa_exception_fp_ieee_overflow 0
		.amdhsa_exception_fp_ieee_underflow 0
		.amdhsa_exception_fp_ieee_inexact 0
		.amdhsa_exception_int_div_zero 0
	.end_amdhsa_kernel
	.section	.text._ZN7rocprim17ROCPRIM_400000_NS6detail17trampoline_kernelINS0_14default_configENS1_21merge_config_selectorINS0_5tupleIJiiEEENS0_10empty_typeEEEZNS1_10merge_implIS3_NS0_12zip_iteratorINS5_IJN6thrust23THRUST_200600_302600_NS6detail15normal_iteratorINSC_10device_ptrIKiEEEESI_EEEEESK_NSA_INS5_IJNSE_INSF_IiEEEESM_EEEEEPS7_SP_SP_NSC_11hip_rocprim7__merge17predicate_wrapperIiiNSC_4lessIiEEEEEE10hipError_tPvRmT0_T1_T2_T3_T4_T5_mmT6_P12ihipStream_tbEUlT_E0_NS1_11comp_targetILNS1_3genE9ELNS1_11target_archE1100ELNS1_3gpuE3ELNS1_3repE0EEENS1_30default_config_static_selectorELNS0_4arch9wavefront6targetE0EEEvS10_,"axG",@progbits,_ZN7rocprim17ROCPRIM_400000_NS6detail17trampoline_kernelINS0_14default_configENS1_21merge_config_selectorINS0_5tupleIJiiEEENS0_10empty_typeEEEZNS1_10merge_implIS3_NS0_12zip_iteratorINS5_IJN6thrust23THRUST_200600_302600_NS6detail15normal_iteratorINSC_10device_ptrIKiEEEESI_EEEEESK_NSA_INS5_IJNSE_INSF_IiEEEESM_EEEEEPS7_SP_SP_NSC_11hip_rocprim7__merge17predicate_wrapperIiiNSC_4lessIiEEEEEE10hipError_tPvRmT0_T1_T2_T3_T4_T5_mmT6_P12ihipStream_tbEUlT_E0_NS1_11comp_targetILNS1_3genE9ELNS1_11target_archE1100ELNS1_3gpuE3ELNS1_3repE0EEENS1_30default_config_static_selectorELNS0_4arch9wavefront6targetE0EEEvS10_,comdat
.Lfunc_end259:
	.size	_ZN7rocprim17ROCPRIM_400000_NS6detail17trampoline_kernelINS0_14default_configENS1_21merge_config_selectorINS0_5tupleIJiiEEENS0_10empty_typeEEEZNS1_10merge_implIS3_NS0_12zip_iteratorINS5_IJN6thrust23THRUST_200600_302600_NS6detail15normal_iteratorINSC_10device_ptrIKiEEEESI_EEEEESK_NSA_INS5_IJNSE_INSF_IiEEEESM_EEEEEPS7_SP_SP_NSC_11hip_rocprim7__merge17predicate_wrapperIiiNSC_4lessIiEEEEEE10hipError_tPvRmT0_T1_T2_T3_T4_T5_mmT6_P12ihipStream_tbEUlT_E0_NS1_11comp_targetILNS1_3genE9ELNS1_11target_archE1100ELNS1_3gpuE3ELNS1_3repE0EEENS1_30default_config_static_selectorELNS0_4arch9wavefront6targetE0EEEvS10_, .Lfunc_end259-_ZN7rocprim17ROCPRIM_400000_NS6detail17trampoline_kernelINS0_14default_configENS1_21merge_config_selectorINS0_5tupleIJiiEEENS0_10empty_typeEEEZNS1_10merge_implIS3_NS0_12zip_iteratorINS5_IJN6thrust23THRUST_200600_302600_NS6detail15normal_iteratorINSC_10device_ptrIKiEEEESI_EEEEESK_NSA_INS5_IJNSE_INSF_IiEEEESM_EEEEEPS7_SP_SP_NSC_11hip_rocprim7__merge17predicate_wrapperIiiNSC_4lessIiEEEEEE10hipError_tPvRmT0_T1_T2_T3_T4_T5_mmT6_P12ihipStream_tbEUlT_E0_NS1_11comp_targetILNS1_3genE9ELNS1_11target_archE1100ELNS1_3gpuE3ELNS1_3repE0EEENS1_30default_config_static_selectorELNS0_4arch9wavefront6targetE0EEEvS10_
                                        ; -- End function
	.set _ZN7rocprim17ROCPRIM_400000_NS6detail17trampoline_kernelINS0_14default_configENS1_21merge_config_selectorINS0_5tupleIJiiEEENS0_10empty_typeEEEZNS1_10merge_implIS3_NS0_12zip_iteratorINS5_IJN6thrust23THRUST_200600_302600_NS6detail15normal_iteratorINSC_10device_ptrIKiEEEESI_EEEEESK_NSA_INS5_IJNSE_INSF_IiEEEESM_EEEEEPS7_SP_SP_NSC_11hip_rocprim7__merge17predicate_wrapperIiiNSC_4lessIiEEEEEE10hipError_tPvRmT0_T1_T2_T3_T4_T5_mmT6_P12ihipStream_tbEUlT_E0_NS1_11comp_targetILNS1_3genE9ELNS1_11target_archE1100ELNS1_3gpuE3ELNS1_3repE0EEENS1_30default_config_static_selectorELNS0_4arch9wavefront6targetE0EEEvS10_.num_vgpr, 0
	.set _ZN7rocprim17ROCPRIM_400000_NS6detail17trampoline_kernelINS0_14default_configENS1_21merge_config_selectorINS0_5tupleIJiiEEENS0_10empty_typeEEEZNS1_10merge_implIS3_NS0_12zip_iteratorINS5_IJN6thrust23THRUST_200600_302600_NS6detail15normal_iteratorINSC_10device_ptrIKiEEEESI_EEEEESK_NSA_INS5_IJNSE_INSF_IiEEEESM_EEEEEPS7_SP_SP_NSC_11hip_rocprim7__merge17predicate_wrapperIiiNSC_4lessIiEEEEEE10hipError_tPvRmT0_T1_T2_T3_T4_T5_mmT6_P12ihipStream_tbEUlT_E0_NS1_11comp_targetILNS1_3genE9ELNS1_11target_archE1100ELNS1_3gpuE3ELNS1_3repE0EEENS1_30default_config_static_selectorELNS0_4arch9wavefront6targetE0EEEvS10_.num_agpr, 0
	.set _ZN7rocprim17ROCPRIM_400000_NS6detail17trampoline_kernelINS0_14default_configENS1_21merge_config_selectorINS0_5tupleIJiiEEENS0_10empty_typeEEEZNS1_10merge_implIS3_NS0_12zip_iteratorINS5_IJN6thrust23THRUST_200600_302600_NS6detail15normal_iteratorINSC_10device_ptrIKiEEEESI_EEEEESK_NSA_INS5_IJNSE_INSF_IiEEEESM_EEEEEPS7_SP_SP_NSC_11hip_rocprim7__merge17predicate_wrapperIiiNSC_4lessIiEEEEEE10hipError_tPvRmT0_T1_T2_T3_T4_T5_mmT6_P12ihipStream_tbEUlT_E0_NS1_11comp_targetILNS1_3genE9ELNS1_11target_archE1100ELNS1_3gpuE3ELNS1_3repE0EEENS1_30default_config_static_selectorELNS0_4arch9wavefront6targetE0EEEvS10_.numbered_sgpr, 0
	.set _ZN7rocprim17ROCPRIM_400000_NS6detail17trampoline_kernelINS0_14default_configENS1_21merge_config_selectorINS0_5tupleIJiiEEENS0_10empty_typeEEEZNS1_10merge_implIS3_NS0_12zip_iteratorINS5_IJN6thrust23THRUST_200600_302600_NS6detail15normal_iteratorINSC_10device_ptrIKiEEEESI_EEEEESK_NSA_INS5_IJNSE_INSF_IiEEEESM_EEEEEPS7_SP_SP_NSC_11hip_rocprim7__merge17predicate_wrapperIiiNSC_4lessIiEEEEEE10hipError_tPvRmT0_T1_T2_T3_T4_T5_mmT6_P12ihipStream_tbEUlT_E0_NS1_11comp_targetILNS1_3genE9ELNS1_11target_archE1100ELNS1_3gpuE3ELNS1_3repE0EEENS1_30default_config_static_selectorELNS0_4arch9wavefront6targetE0EEEvS10_.num_named_barrier, 0
	.set _ZN7rocprim17ROCPRIM_400000_NS6detail17trampoline_kernelINS0_14default_configENS1_21merge_config_selectorINS0_5tupleIJiiEEENS0_10empty_typeEEEZNS1_10merge_implIS3_NS0_12zip_iteratorINS5_IJN6thrust23THRUST_200600_302600_NS6detail15normal_iteratorINSC_10device_ptrIKiEEEESI_EEEEESK_NSA_INS5_IJNSE_INSF_IiEEEESM_EEEEEPS7_SP_SP_NSC_11hip_rocprim7__merge17predicate_wrapperIiiNSC_4lessIiEEEEEE10hipError_tPvRmT0_T1_T2_T3_T4_T5_mmT6_P12ihipStream_tbEUlT_E0_NS1_11comp_targetILNS1_3genE9ELNS1_11target_archE1100ELNS1_3gpuE3ELNS1_3repE0EEENS1_30default_config_static_selectorELNS0_4arch9wavefront6targetE0EEEvS10_.private_seg_size, 0
	.set _ZN7rocprim17ROCPRIM_400000_NS6detail17trampoline_kernelINS0_14default_configENS1_21merge_config_selectorINS0_5tupleIJiiEEENS0_10empty_typeEEEZNS1_10merge_implIS3_NS0_12zip_iteratorINS5_IJN6thrust23THRUST_200600_302600_NS6detail15normal_iteratorINSC_10device_ptrIKiEEEESI_EEEEESK_NSA_INS5_IJNSE_INSF_IiEEEESM_EEEEEPS7_SP_SP_NSC_11hip_rocprim7__merge17predicate_wrapperIiiNSC_4lessIiEEEEEE10hipError_tPvRmT0_T1_T2_T3_T4_T5_mmT6_P12ihipStream_tbEUlT_E0_NS1_11comp_targetILNS1_3genE9ELNS1_11target_archE1100ELNS1_3gpuE3ELNS1_3repE0EEENS1_30default_config_static_selectorELNS0_4arch9wavefront6targetE0EEEvS10_.uses_vcc, 0
	.set _ZN7rocprim17ROCPRIM_400000_NS6detail17trampoline_kernelINS0_14default_configENS1_21merge_config_selectorINS0_5tupleIJiiEEENS0_10empty_typeEEEZNS1_10merge_implIS3_NS0_12zip_iteratorINS5_IJN6thrust23THRUST_200600_302600_NS6detail15normal_iteratorINSC_10device_ptrIKiEEEESI_EEEEESK_NSA_INS5_IJNSE_INSF_IiEEEESM_EEEEEPS7_SP_SP_NSC_11hip_rocprim7__merge17predicate_wrapperIiiNSC_4lessIiEEEEEE10hipError_tPvRmT0_T1_T2_T3_T4_T5_mmT6_P12ihipStream_tbEUlT_E0_NS1_11comp_targetILNS1_3genE9ELNS1_11target_archE1100ELNS1_3gpuE3ELNS1_3repE0EEENS1_30default_config_static_selectorELNS0_4arch9wavefront6targetE0EEEvS10_.uses_flat_scratch, 0
	.set _ZN7rocprim17ROCPRIM_400000_NS6detail17trampoline_kernelINS0_14default_configENS1_21merge_config_selectorINS0_5tupleIJiiEEENS0_10empty_typeEEEZNS1_10merge_implIS3_NS0_12zip_iteratorINS5_IJN6thrust23THRUST_200600_302600_NS6detail15normal_iteratorINSC_10device_ptrIKiEEEESI_EEEEESK_NSA_INS5_IJNSE_INSF_IiEEEESM_EEEEEPS7_SP_SP_NSC_11hip_rocprim7__merge17predicate_wrapperIiiNSC_4lessIiEEEEEE10hipError_tPvRmT0_T1_T2_T3_T4_T5_mmT6_P12ihipStream_tbEUlT_E0_NS1_11comp_targetILNS1_3genE9ELNS1_11target_archE1100ELNS1_3gpuE3ELNS1_3repE0EEENS1_30default_config_static_selectorELNS0_4arch9wavefront6targetE0EEEvS10_.has_dyn_sized_stack, 0
	.set _ZN7rocprim17ROCPRIM_400000_NS6detail17trampoline_kernelINS0_14default_configENS1_21merge_config_selectorINS0_5tupleIJiiEEENS0_10empty_typeEEEZNS1_10merge_implIS3_NS0_12zip_iteratorINS5_IJN6thrust23THRUST_200600_302600_NS6detail15normal_iteratorINSC_10device_ptrIKiEEEESI_EEEEESK_NSA_INS5_IJNSE_INSF_IiEEEESM_EEEEEPS7_SP_SP_NSC_11hip_rocprim7__merge17predicate_wrapperIiiNSC_4lessIiEEEEEE10hipError_tPvRmT0_T1_T2_T3_T4_T5_mmT6_P12ihipStream_tbEUlT_E0_NS1_11comp_targetILNS1_3genE9ELNS1_11target_archE1100ELNS1_3gpuE3ELNS1_3repE0EEENS1_30default_config_static_selectorELNS0_4arch9wavefront6targetE0EEEvS10_.has_recursion, 0
	.set _ZN7rocprim17ROCPRIM_400000_NS6detail17trampoline_kernelINS0_14default_configENS1_21merge_config_selectorINS0_5tupleIJiiEEENS0_10empty_typeEEEZNS1_10merge_implIS3_NS0_12zip_iteratorINS5_IJN6thrust23THRUST_200600_302600_NS6detail15normal_iteratorINSC_10device_ptrIKiEEEESI_EEEEESK_NSA_INS5_IJNSE_INSF_IiEEEESM_EEEEEPS7_SP_SP_NSC_11hip_rocprim7__merge17predicate_wrapperIiiNSC_4lessIiEEEEEE10hipError_tPvRmT0_T1_T2_T3_T4_T5_mmT6_P12ihipStream_tbEUlT_E0_NS1_11comp_targetILNS1_3genE9ELNS1_11target_archE1100ELNS1_3gpuE3ELNS1_3repE0EEENS1_30default_config_static_selectorELNS0_4arch9wavefront6targetE0EEEvS10_.has_indirect_call, 0
	.section	.AMDGPU.csdata,"",@progbits
; Kernel info:
; codeLenInByte = 0
; TotalNumSgprs: 0
; NumVgprs: 0
; ScratchSize: 0
; MemoryBound: 0
; FloatMode: 240
; IeeeMode: 1
; LDSByteSize: 0 bytes/workgroup (compile time only)
; SGPRBlocks: 0
; VGPRBlocks: 0
; NumSGPRsForWavesPerEU: 1
; NumVGPRsForWavesPerEU: 1
; NamedBarCnt: 0
; Occupancy: 16
; WaveLimiterHint : 0
; COMPUTE_PGM_RSRC2:SCRATCH_EN: 0
; COMPUTE_PGM_RSRC2:USER_SGPR: 2
; COMPUTE_PGM_RSRC2:TRAP_HANDLER: 0
; COMPUTE_PGM_RSRC2:TGID_X_EN: 1
; COMPUTE_PGM_RSRC2:TGID_Y_EN: 0
; COMPUTE_PGM_RSRC2:TGID_Z_EN: 0
; COMPUTE_PGM_RSRC2:TIDIG_COMP_CNT: 0
	.section	.text._ZN7rocprim17ROCPRIM_400000_NS6detail17trampoline_kernelINS0_14default_configENS1_21merge_config_selectorINS0_5tupleIJiiEEENS0_10empty_typeEEEZNS1_10merge_implIS3_NS0_12zip_iteratorINS5_IJN6thrust23THRUST_200600_302600_NS6detail15normal_iteratorINSC_10device_ptrIKiEEEESI_EEEEESK_NSA_INS5_IJNSE_INSF_IiEEEESM_EEEEEPS7_SP_SP_NSC_11hip_rocprim7__merge17predicate_wrapperIiiNSC_4lessIiEEEEEE10hipError_tPvRmT0_T1_T2_T3_T4_T5_mmT6_P12ihipStream_tbEUlT_E0_NS1_11comp_targetILNS1_3genE8ELNS1_11target_archE1030ELNS1_3gpuE2ELNS1_3repE0EEENS1_30default_config_static_selectorELNS0_4arch9wavefront6targetE0EEEvS10_,"axG",@progbits,_ZN7rocprim17ROCPRIM_400000_NS6detail17trampoline_kernelINS0_14default_configENS1_21merge_config_selectorINS0_5tupleIJiiEEENS0_10empty_typeEEEZNS1_10merge_implIS3_NS0_12zip_iteratorINS5_IJN6thrust23THRUST_200600_302600_NS6detail15normal_iteratorINSC_10device_ptrIKiEEEESI_EEEEESK_NSA_INS5_IJNSE_INSF_IiEEEESM_EEEEEPS7_SP_SP_NSC_11hip_rocprim7__merge17predicate_wrapperIiiNSC_4lessIiEEEEEE10hipError_tPvRmT0_T1_T2_T3_T4_T5_mmT6_P12ihipStream_tbEUlT_E0_NS1_11comp_targetILNS1_3genE8ELNS1_11target_archE1030ELNS1_3gpuE2ELNS1_3repE0EEENS1_30default_config_static_selectorELNS0_4arch9wavefront6targetE0EEEvS10_,comdat
	.protected	_ZN7rocprim17ROCPRIM_400000_NS6detail17trampoline_kernelINS0_14default_configENS1_21merge_config_selectorINS0_5tupleIJiiEEENS0_10empty_typeEEEZNS1_10merge_implIS3_NS0_12zip_iteratorINS5_IJN6thrust23THRUST_200600_302600_NS6detail15normal_iteratorINSC_10device_ptrIKiEEEESI_EEEEESK_NSA_INS5_IJNSE_INSF_IiEEEESM_EEEEEPS7_SP_SP_NSC_11hip_rocprim7__merge17predicate_wrapperIiiNSC_4lessIiEEEEEE10hipError_tPvRmT0_T1_T2_T3_T4_T5_mmT6_P12ihipStream_tbEUlT_E0_NS1_11comp_targetILNS1_3genE8ELNS1_11target_archE1030ELNS1_3gpuE2ELNS1_3repE0EEENS1_30default_config_static_selectorELNS0_4arch9wavefront6targetE0EEEvS10_ ; -- Begin function _ZN7rocprim17ROCPRIM_400000_NS6detail17trampoline_kernelINS0_14default_configENS1_21merge_config_selectorINS0_5tupleIJiiEEENS0_10empty_typeEEEZNS1_10merge_implIS3_NS0_12zip_iteratorINS5_IJN6thrust23THRUST_200600_302600_NS6detail15normal_iteratorINSC_10device_ptrIKiEEEESI_EEEEESK_NSA_INS5_IJNSE_INSF_IiEEEESM_EEEEEPS7_SP_SP_NSC_11hip_rocprim7__merge17predicate_wrapperIiiNSC_4lessIiEEEEEE10hipError_tPvRmT0_T1_T2_T3_T4_T5_mmT6_P12ihipStream_tbEUlT_E0_NS1_11comp_targetILNS1_3genE8ELNS1_11target_archE1030ELNS1_3gpuE2ELNS1_3repE0EEENS1_30default_config_static_selectorELNS0_4arch9wavefront6targetE0EEEvS10_
	.globl	_ZN7rocprim17ROCPRIM_400000_NS6detail17trampoline_kernelINS0_14default_configENS1_21merge_config_selectorINS0_5tupleIJiiEEENS0_10empty_typeEEEZNS1_10merge_implIS3_NS0_12zip_iteratorINS5_IJN6thrust23THRUST_200600_302600_NS6detail15normal_iteratorINSC_10device_ptrIKiEEEESI_EEEEESK_NSA_INS5_IJNSE_INSF_IiEEEESM_EEEEEPS7_SP_SP_NSC_11hip_rocprim7__merge17predicate_wrapperIiiNSC_4lessIiEEEEEE10hipError_tPvRmT0_T1_T2_T3_T4_T5_mmT6_P12ihipStream_tbEUlT_E0_NS1_11comp_targetILNS1_3genE8ELNS1_11target_archE1030ELNS1_3gpuE2ELNS1_3repE0EEENS1_30default_config_static_selectorELNS0_4arch9wavefront6targetE0EEEvS10_
	.p2align	8
	.type	_ZN7rocprim17ROCPRIM_400000_NS6detail17trampoline_kernelINS0_14default_configENS1_21merge_config_selectorINS0_5tupleIJiiEEENS0_10empty_typeEEEZNS1_10merge_implIS3_NS0_12zip_iteratorINS5_IJN6thrust23THRUST_200600_302600_NS6detail15normal_iteratorINSC_10device_ptrIKiEEEESI_EEEEESK_NSA_INS5_IJNSE_INSF_IiEEEESM_EEEEEPS7_SP_SP_NSC_11hip_rocprim7__merge17predicate_wrapperIiiNSC_4lessIiEEEEEE10hipError_tPvRmT0_T1_T2_T3_T4_T5_mmT6_P12ihipStream_tbEUlT_E0_NS1_11comp_targetILNS1_3genE8ELNS1_11target_archE1030ELNS1_3gpuE2ELNS1_3repE0EEENS1_30default_config_static_selectorELNS0_4arch9wavefront6targetE0EEEvS10_,@function
_ZN7rocprim17ROCPRIM_400000_NS6detail17trampoline_kernelINS0_14default_configENS1_21merge_config_selectorINS0_5tupleIJiiEEENS0_10empty_typeEEEZNS1_10merge_implIS3_NS0_12zip_iteratorINS5_IJN6thrust23THRUST_200600_302600_NS6detail15normal_iteratorINSC_10device_ptrIKiEEEESI_EEEEESK_NSA_INS5_IJNSE_INSF_IiEEEESM_EEEEEPS7_SP_SP_NSC_11hip_rocprim7__merge17predicate_wrapperIiiNSC_4lessIiEEEEEE10hipError_tPvRmT0_T1_T2_T3_T4_T5_mmT6_P12ihipStream_tbEUlT_E0_NS1_11comp_targetILNS1_3genE8ELNS1_11target_archE1030ELNS1_3gpuE2ELNS1_3repE0EEENS1_30default_config_static_selectorELNS0_4arch9wavefront6targetE0EEEvS10_: ; @_ZN7rocprim17ROCPRIM_400000_NS6detail17trampoline_kernelINS0_14default_configENS1_21merge_config_selectorINS0_5tupleIJiiEEENS0_10empty_typeEEEZNS1_10merge_implIS3_NS0_12zip_iteratorINS5_IJN6thrust23THRUST_200600_302600_NS6detail15normal_iteratorINSC_10device_ptrIKiEEEESI_EEEEESK_NSA_INS5_IJNSE_INSF_IiEEEESM_EEEEEPS7_SP_SP_NSC_11hip_rocprim7__merge17predicate_wrapperIiiNSC_4lessIiEEEEEE10hipError_tPvRmT0_T1_T2_T3_T4_T5_mmT6_P12ihipStream_tbEUlT_E0_NS1_11comp_targetILNS1_3genE8ELNS1_11target_archE1030ELNS1_3gpuE2ELNS1_3repE0EEENS1_30default_config_static_selectorELNS0_4arch9wavefront6targetE0EEEvS10_
; %bb.0:
	.section	.rodata,"a",@progbits
	.p2align	6, 0x0
	.amdhsa_kernel _ZN7rocprim17ROCPRIM_400000_NS6detail17trampoline_kernelINS0_14default_configENS1_21merge_config_selectorINS0_5tupleIJiiEEENS0_10empty_typeEEEZNS1_10merge_implIS3_NS0_12zip_iteratorINS5_IJN6thrust23THRUST_200600_302600_NS6detail15normal_iteratorINSC_10device_ptrIKiEEEESI_EEEEESK_NSA_INS5_IJNSE_INSF_IiEEEESM_EEEEEPS7_SP_SP_NSC_11hip_rocprim7__merge17predicate_wrapperIiiNSC_4lessIiEEEEEE10hipError_tPvRmT0_T1_T2_T3_T4_T5_mmT6_P12ihipStream_tbEUlT_E0_NS1_11comp_targetILNS1_3genE8ELNS1_11target_archE1030ELNS1_3gpuE2ELNS1_3repE0EEENS1_30default_config_static_selectorELNS0_4arch9wavefront6targetE0EEEvS10_
		.amdhsa_group_segment_fixed_size 0
		.amdhsa_private_segment_fixed_size 0
		.amdhsa_kernarg_size 112
		.amdhsa_user_sgpr_count 2
		.amdhsa_user_sgpr_dispatch_ptr 0
		.amdhsa_user_sgpr_queue_ptr 0
		.amdhsa_user_sgpr_kernarg_segment_ptr 1
		.amdhsa_user_sgpr_dispatch_id 0
		.amdhsa_user_sgpr_kernarg_preload_length 0
		.amdhsa_user_sgpr_kernarg_preload_offset 0
		.amdhsa_user_sgpr_private_segment_size 0
		.amdhsa_wavefront_size32 1
		.amdhsa_uses_dynamic_stack 0
		.amdhsa_enable_private_segment 0
		.amdhsa_system_sgpr_workgroup_id_x 1
		.amdhsa_system_sgpr_workgroup_id_y 0
		.amdhsa_system_sgpr_workgroup_id_z 0
		.amdhsa_system_sgpr_workgroup_info 0
		.amdhsa_system_vgpr_workitem_id 0
		.amdhsa_next_free_vgpr 1
		.amdhsa_next_free_sgpr 1
		.amdhsa_named_barrier_count 0
		.amdhsa_reserve_vcc 0
		.amdhsa_float_round_mode_32 0
		.amdhsa_float_round_mode_16_64 0
		.amdhsa_float_denorm_mode_32 3
		.amdhsa_float_denorm_mode_16_64 3
		.amdhsa_fp16_overflow 0
		.amdhsa_memory_ordered 1
		.amdhsa_forward_progress 1
		.amdhsa_inst_pref_size 0
		.amdhsa_round_robin_scheduling 0
		.amdhsa_exception_fp_ieee_invalid_op 0
		.amdhsa_exception_fp_denorm_src 0
		.amdhsa_exception_fp_ieee_div_zero 0
		.amdhsa_exception_fp_ieee_overflow 0
		.amdhsa_exception_fp_ieee_underflow 0
		.amdhsa_exception_fp_ieee_inexact 0
		.amdhsa_exception_int_div_zero 0
	.end_amdhsa_kernel
	.section	.text._ZN7rocprim17ROCPRIM_400000_NS6detail17trampoline_kernelINS0_14default_configENS1_21merge_config_selectorINS0_5tupleIJiiEEENS0_10empty_typeEEEZNS1_10merge_implIS3_NS0_12zip_iteratorINS5_IJN6thrust23THRUST_200600_302600_NS6detail15normal_iteratorINSC_10device_ptrIKiEEEESI_EEEEESK_NSA_INS5_IJNSE_INSF_IiEEEESM_EEEEEPS7_SP_SP_NSC_11hip_rocprim7__merge17predicate_wrapperIiiNSC_4lessIiEEEEEE10hipError_tPvRmT0_T1_T2_T3_T4_T5_mmT6_P12ihipStream_tbEUlT_E0_NS1_11comp_targetILNS1_3genE8ELNS1_11target_archE1030ELNS1_3gpuE2ELNS1_3repE0EEENS1_30default_config_static_selectorELNS0_4arch9wavefront6targetE0EEEvS10_,"axG",@progbits,_ZN7rocprim17ROCPRIM_400000_NS6detail17trampoline_kernelINS0_14default_configENS1_21merge_config_selectorINS0_5tupleIJiiEEENS0_10empty_typeEEEZNS1_10merge_implIS3_NS0_12zip_iteratorINS5_IJN6thrust23THRUST_200600_302600_NS6detail15normal_iteratorINSC_10device_ptrIKiEEEESI_EEEEESK_NSA_INS5_IJNSE_INSF_IiEEEESM_EEEEEPS7_SP_SP_NSC_11hip_rocprim7__merge17predicate_wrapperIiiNSC_4lessIiEEEEEE10hipError_tPvRmT0_T1_T2_T3_T4_T5_mmT6_P12ihipStream_tbEUlT_E0_NS1_11comp_targetILNS1_3genE8ELNS1_11target_archE1030ELNS1_3gpuE2ELNS1_3repE0EEENS1_30default_config_static_selectorELNS0_4arch9wavefront6targetE0EEEvS10_,comdat
.Lfunc_end260:
	.size	_ZN7rocprim17ROCPRIM_400000_NS6detail17trampoline_kernelINS0_14default_configENS1_21merge_config_selectorINS0_5tupleIJiiEEENS0_10empty_typeEEEZNS1_10merge_implIS3_NS0_12zip_iteratorINS5_IJN6thrust23THRUST_200600_302600_NS6detail15normal_iteratorINSC_10device_ptrIKiEEEESI_EEEEESK_NSA_INS5_IJNSE_INSF_IiEEEESM_EEEEEPS7_SP_SP_NSC_11hip_rocprim7__merge17predicate_wrapperIiiNSC_4lessIiEEEEEE10hipError_tPvRmT0_T1_T2_T3_T4_T5_mmT6_P12ihipStream_tbEUlT_E0_NS1_11comp_targetILNS1_3genE8ELNS1_11target_archE1030ELNS1_3gpuE2ELNS1_3repE0EEENS1_30default_config_static_selectorELNS0_4arch9wavefront6targetE0EEEvS10_, .Lfunc_end260-_ZN7rocprim17ROCPRIM_400000_NS6detail17trampoline_kernelINS0_14default_configENS1_21merge_config_selectorINS0_5tupleIJiiEEENS0_10empty_typeEEEZNS1_10merge_implIS3_NS0_12zip_iteratorINS5_IJN6thrust23THRUST_200600_302600_NS6detail15normal_iteratorINSC_10device_ptrIKiEEEESI_EEEEESK_NSA_INS5_IJNSE_INSF_IiEEEESM_EEEEEPS7_SP_SP_NSC_11hip_rocprim7__merge17predicate_wrapperIiiNSC_4lessIiEEEEEE10hipError_tPvRmT0_T1_T2_T3_T4_T5_mmT6_P12ihipStream_tbEUlT_E0_NS1_11comp_targetILNS1_3genE8ELNS1_11target_archE1030ELNS1_3gpuE2ELNS1_3repE0EEENS1_30default_config_static_selectorELNS0_4arch9wavefront6targetE0EEEvS10_
                                        ; -- End function
	.set _ZN7rocprim17ROCPRIM_400000_NS6detail17trampoline_kernelINS0_14default_configENS1_21merge_config_selectorINS0_5tupleIJiiEEENS0_10empty_typeEEEZNS1_10merge_implIS3_NS0_12zip_iteratorINS5_IJN6thrust23THRUST_200600_302600_NS6detail15normal_iteratorINSC_10device_ptrIKiEEEESI_EEEEESK_NSA_INS5_IJNSE_INSF_IiEEEESM_EEEEEPS7_SP_SP_NSC_11hip_rocprim7__merge17predicate_wrapperIiiNSC_4lessIiEEEEEE10hipError_tPvRmT0_T1_T2_T3_T4_T5_mmT6_P12ihipStream_tbEUlT_E0_NS1_11comp_targetILNS1_3genE8ELNS1_11target_archE1030ELNS1_3gpuE2ELNS1_3repE0EEENS1_30default_config_static_selectorELNS0_4arch9wavefront6targetE0EEEvS10_.num_vgpr, 0
	.set _ZN7rocprim17ROCPRIM_400000_NS6detail17trampoline_kernelINS0_14default_configENS1_21merge_config_selectorINS0_5tupleIJiiEEENS0_10empty_typeEEEZNS1_10merge_implIS3_NS0_12zip_iteratorINS5_IJN6thrust23THRUST_200600_302600_NS6detail15normal_iteratorINSC_10device_ptrIKiEEEESI_EEEEESK_NSA_INS5_IJNSE_INSF_IiEEEESM_EEEEEPS7_SP_SP_NSC_11hip_rocprim7__merge17predicate_wrapperIiiNSC_4lessIiEEEEEE10hipError_tPvRmT0_T1_T2_T3_T4_T5_mmT6_P12ihipStream_tbEUlT_E0_NS1_11comp_targetILNS1_3genE8ELNS1_11target_archE1030ELNS1_3gpuE2ELNS1_3repE0EEENS1_30default_config_static_selectorELNS0_4arch9wavefront6targetE0EEEvS10_.num_agpr, 0
	.set _ZN7rocprim17ROCPRIM_400000_NS6detail17trampoline_kernelINS0_14default_configENS1_21merge_config_selectorINS0_5tupleIJiiEEENS0_10empty_typeEEEZNS1_10merge_implIS3_NS0_12zip_iteratorINS5_IJN6thrust23THRUST_200600_302600_NS6detail15normal_iteratorINSC_10device_ptrIKiEEEESI_EEEEESK_NSA_INS5_IJNSE_INSF_IiEEEESM_EEEEEPS7_SP_SP_NSC_11hip_rocprim7__merge17predicate_wrapperIiiNSC_4lessIiEEEEEE10hipError_tPvRmT0_T1_T2_T3_T4_T5_mmT6_P12ihipStream_tbEUlT_E0_NS1_11comp_targetILNS1_3genE8ELNS1_11target_archE1030ELNS1_3gpuE2ELNS1_3repE0EEENS1_30default_config_static_selectorELNS0_4arch9wavefront6targetE0EEEvS10_.numbered_sgpr, 0
	.set _ZN7rocprim17ROCPRIM_400000_NS6detail17trampoline_kernelINS0_14default_configENS1_21merge_config_selectorINS0_5tupleIJiiEEENS0_10empty_typeEEEZNS1_10merge_implIS3_NS0_12zip_iteratorINS5_IJN6thrust23THRUST_200600_302600_NS6detail15normal_iteratorINSC_10device_ptrIKiEEEESI_EEEEESK_NSA_INS5_IJNSE_INSF_IiEEEESM_EEEEEPS7_SP_SP_NSC_11hip_rocprim7__merge17predicate_wrapperIiiNSC_4lessIiEEEEEE10hipError_tPvRmT0_T1_T2_T3_T4_T5_mmT6_P12ihipStream_tbEUlT_E0_NS1_11comp_targetILNS1_3genE8ELNS1_11target_archE1030ELNS1_3gpuE2ELNS1_3repE0EEENS1_30default_config_static_selectorELNS0_4arch9wavefront6targetE0EEEvS10_.num_named_barrier, 0
	.set _ZN7rocprim17ROCPRIM_400000_NS6detail17trampoline_kernelINS0_14default_configENS1_21merge_config_selectorINS0_5tupleIJiiEEENS0_10empty_typeEEEZNS1_10merge_implIS3_NS0_12zip_iteratorINS5_IJN6thrust23THRUST_200600_302600_NS6detail15normal_iteratorINSC_10device_ptrIKiEEEESI_EEEEESK_NSA_INS5_IJNSE_INSF_IiEEEESM_EEEEEPS7_SP_SP_NSC_11hip_rocprim7__merge17predicate_wrapperIiiNSC_4lessIiEEEEEE10hipError_tPvRmT0_T1_T2_T3_T4_T5_mmT6_P12ihipStream_tbEUlT_E0_NS1_11comp_targetILNS1_3genE8ELNS1_11target_archE1030ELNS1_3gpuE2ELNS1_3repE0EEENS1_30default_config_static_selectorELNS0_4arch9wavefront6targetE0EEEvS10_.private_seg_size, 0
	.set _ZN7rocprim17ROCPRIM_400000_NS6detail17trampoline_kernelINS0_14default_configENS1_21merge_config_selectorINS0_5tupleIJiiEEENS0_10empty_typeEEEZNS1_10merge_implIS3_NS0_12zip_iteratorINS5_IJN6thrust23THRUST_200600_302600_NS6detail15normal_iteratorINSC_10device_ptrIKiEEEESI_EEEEESK_NSA_INS5_IJNSE_INSF_IiEEEESM_EEEEEPS7_SP_SP_NSC_11hip_rocprim7__merge17predicate_wrapperIiiNSC_4lessIiEEEEEE10hipError_tPvRmT0_T1_T2_T3_T4_T5_mmT6_P12ihipStream_tbEUlT_E0_NS1_11comp_targetILNS1_3genE8ELNS1_11target_archE1030ELNS1_3gpuE2ELNS1_3repE0EEENS1_30default_config_static_selectorELNS0_4arch9wavefront6targetE0EEEvS10_.uses_vcc, 0
	.set _ZN7rocprim17ROCPRIM_400000_NS6detail17trampoline_kernelINS0_14default_configENS1_21merge_config_selectorINS0_5tupleIJiiEEENS0_10empty_typeEEEZNS1_10merge_implIS3_NS0_12zip_iteratorINS5_IJN6thrust23THRUST_200600_302600_NS6detail15normal_iteratorINSC_10device_ptrIKiEEEESI_EEEEESK_NSA_INS5_IJNSE_INSF_IiEEEESM_EEEEEPS7_SP_SP_NSC_11hip_rocprim7__merge17predicate_wrapperIiiNSC_4lessIiEEEEEE10hipError_tPvRmT0_T1_T2_T3_T4_T5_mmT6_P12ihipStream_tbEUlT_E0_NS1_11comp_targetILNS1_3genE8ELNS1_11target_archE1030ELNS1_3gpuE2ELNS1_3repE0EEENS1_30default_config_static_selectorELNS0_4arch9wavefront6targetE0EEEvS10_.uses_flat_scratch, 0
	.set _ZN7rocprim17ROCPRIM_400000_NS6detail17trampoline_kernelINS0_14default_configENS1_21merge_config_selectorINS0_5tupleIJiiEEENS0_10empty_typeEEEZNS1_10merge_implIS3_NS0_12zip_iteratorINS5_IJN6thrust23THRUST_200600_302600_NS6detail15normal_iteratorINSC_10device_ptrIKiEEEESI_EEEEESK_NSA_INS5_IJNSE_INSF_IiEEEESM_EEEEEPS7_SP_SP_NSC_11hip_rocprim7__merge17predicate_wrapperIiiNSC_4lessIiEEEEEE10hipError_tPvRmT0_T1_T2_T3_T4_T5_mmT6_P12ihipStream_tbEUlT_E0_NS1_11comp_targetILNS1_3genE8ELNS1_11target_archE1030ELNS1_3gpuE2ELNS1_3repE0EEENS1_30default_config_static_selectorELNS0_4arch9wavefront6targetE0EEEvS10_.has_dyn_sized_stack, 0
	.set _ZN7rocprim17ROCPRIM_400000_NS6detail17trampoline_kernelINS0_14default_configENS1_21merge_config_selectorINS0_5tupleIJiiEEENS0_10empty_typeEEEZNS1_10merge_implIS3_NS0_12zip_iteratorINS5_IJN6thrust23THRUST_200600_302600_NS6detail15normal_iteratorINSC_10device_ptrIKiEEEESI_EEEEESK_NSA_INS5_IJNSE_INSF_IiEEEESM_EEEEEPS7_SP_SP_NSC_11hip_rocprim7__merge17predicate_wrapperIiiNSC_4lessIiEEEEEE10hipError_tPvRmT0_T1_T2_T3_T4_T5_mmT6_P12ihipStream_tbEUlT_E0_NS1_11comp_targetILNS1_3genE8ELNS1_11target_archE1030ELNS1_3gpuE2ELNS1_3repE0EEENS1_30default_config_static_selectorELNS0_4arch9wavefront6targetE0EEEvS10_.has_recursion, 0
	.set _ZN7rocprim17ROCPRIM_400000_NS6detail17trampoline_kernelINS0_14default_configENS1_21merge_config_selectorINS0_5tupleIJiiEEENS0_10empty_typeEEEZNS1_10merge_implIS3_NS0_12zip_iteratorINS5_IJN6thrust23THRUST_200600_302600_NS6detail15normal_iteratorINSC_10device_ptrIKiEEEESI_EEEEESK_NSA_INS5_IJNSE_INSF_IiEEEESM_EEEEEPS7_SP_SP_NSC_11hip_rocprim7__merge17predicate_wrapperIiiNSC_4lessIiEEEEEE10hipError_tPvRmT0_T1_T2_T3_T4_T5_mmT6_P12ihipStream_tbEUlT_E0_NS1_11comp_targetILNS1_3genE8ELNS1_11target_archE1030ELNS1_3gpuE2ELNS1_3repE0EEENS1_30default_config_static_selectorELNS0_4arch9wavefront6targetE0EEEvS10_.has_indirect_call, 0
	.section	.AMDGPU.csdata,"",@progbits
; Kernel info:
; codeLenInByte = 0
; TotalNumSgprs: 0
; NumVgprs: 0
; ScratchSize: 0
; MemoryBound: 0
; FloatMode: 240
; IeeeMode: 1
; LDSByteSize: 0 bytes/workgroup (compile time only)
; SGPRBlocks: 0
; VGPRBlocks: 0
; NumSGPRsForWavesPerEU: 1
; NumVGPRsForWavesPerEU: 1
; NamedBarCnt: 0
; Occupancy: 16
; WaveLimiterHint : 0
; COMPUTE_PGM_RSRC2:SCRATCH_EN: 0
; COMPUTE_PGM_RSRC2:USER_SGPR: 2
; COMPUTE_PGM_RSRC2:TRAP_HANDLER: 0
; COMPUTE_PGM_RSRC2:TGID_X_EN: 1
; COMPUTE_PGM_RSRC2:TGID_Y_EN: 0
; COMPUTE_PGM_RSRC2:TGID_Z_EN: 0
; COMPUTE_PGM_RSRC2:TIDIG_COMP_CNT: 0
	.section	.text._ZN7rocprim17ROCPRIM_400000_NS6detail17trampoline_kernelINS0_14default_configENS1_22reduce_config_selectorIN6thrust23THRUST_200600_302600_NS5tupleIblNS6_9null_typeES8_S8_S8_S8_S8_S8_S8_EEEEZNS1_11reduce_implILb1ES3_NS6_12zip_iteratorINS7_INS6_11hip_rocprim26transform_input_iterator_tIbNSD_35transform_pair_of_input_iterators_tIbNS6_6detail15normal_iteratorINS6_10device_ptrIKiEEEESL_NS6_8equal_toIiEEEENSG_9not_fun_tINSD_8identityEEEEENSD_19counting_iterator_tIlEES8_S8_S8_S8_S8_S8_S8_S8_EEEEPS9_S9_NSD_9__find_if7functorIS9_EEEE10hipError_tPvRmT1_T2_T3_mT4_P12ihipStream_tbEUlT_E0_NS1_11comp_targetILNS1_3genE0ELNS1_11target_archE4294967295ELNS1_3gpuE0ELNS1_3repE0EEENS1_30default_config_static_selectorELNS0_4arch9wavefront6targetE0EEEvS14_,"axG",@progbits,_ZN7rocprim17ROCPRIM_400000_NS6detail17trampoline_kernelINS0_14default_configENS1_22reduce_config_selectorIN6thrust23THRUST_200600_302600_NS5tupleIblNS6_9null_typeES8_S8_S8_S8_S8_S8_S8_EEEEZNS1_11reduce_implILb1ES3_NS6_12zip_iteratorINS7_INS6_11hip_rocprim26transform_input_iterator_tIbNSD_35transform_pair_of_input_iterators_tIbNS6_6detail15normal_iteratorINS6_10device_ptrIKiEEEESL_NS6_8equal_toIiEEEENSG_9not_fun_tINSD_8identityEEEEENSD_19counting_iterator_tIlEES8_S8_S8_S8_S8_S8_S8_S8_EEEEPS9_S9_NSD_9__find_if7functorIS9_EEEE10hipError_tPvRmT1_T2_T3_mT4_P12ihipStream_tbEUlT_E0_NS1_11comp_targetILNS1_3genE0ELNS1_11target_archE4294967295ELNS1_3gpuE0ELNS1_3repE0EEENS1_30default_config_static_selectorELNS0_4arch9wavefront6targetE0EEEvS14_,comdat
	.protected	_ZN7rocprim17ROCPRIM_400000_NS6detail17trampoline_kernelINS0_14default_configENS1_22reduce_config_selectorIN6thrust23THRUST_200600_302600_NS5tupleIblNS6_9null_typeES8_S8_S8_S8_S8_S8_S8_EEEEZNS1_11reduce_implILb1ES3_NS6_12zip_iteratorINS7_INS6_11hip_rocprim26transform_input_iterator_tIbNSD_35transform_pair_of_input_iterators_tIbNS6_6detail15normal_iteratorINS6_10device_ptrIKiEEEESL_NS6_8equal_toIiEEEENSG_9not_fun_tINSD_8identityEEEEENSD_19counting_iterator_tIlEES8_S8_S8_S8_S8_S8_S8_S8_EEEEPS9_S9_NSD_9__find_if7functorIS9_EEEE10hipError_tPvRmT1_T2_T3_mT4_P12ihipStream_tbEUlT_E0_NS1_11comp_targetILNS1_3genE0ELNS1_11target_archE4294967295ELNS1_3gpuE0ELNS1_3repE0EEENS1_30default_config_static_selectorELNS0_4arch9wavefront6targetE0EEEvS14_ ; -- Begin function _ZN7rocprim17ROCPRIM_400000_NS6detail17trampoline_kernelINS0_14default_configENS1_22reduce_config_selectorIN6thrust23THRUST_200600_302600_NS5tupleIblNS6_9null_typeES8_S8_S8_S8_S8_S8_S8_EEEEZNS1_11reduce_implILb1ES3_NS6_12zip_iteratorINS7_INS6_11hip_rocprim26transform_input_iterator_tIbNSD_35transform_pair_of_input_iterators_tIbNS6_6detail15normal_iteratorINS6_10device_ptrIKiEEEESL_NS6_8equal_toIiEEEENSG_9not_fun_tINSD_8identityEEEEENSD_19counting_iterator_tIlEES8_S8_S8_S8_S8_S8_S8_S8_EEEEPS9_S9_NSD_9__find_if7functorIS9_EEEE10hipError_tPvRmT1_T2_T3_mT4_P12ihipStream_tbEUlT_E0_NS1_11comp_targetILNS1_3genE0ELNS1_11target_archE4294967295ELNS1_3gpuE0ELNS1_3repE0EEENS1_30default_config_static_selectorELNS0_4arch9wavefront6targetE0EEEvS14_
	.globl	_ZN7rocprim17ROCPRIM_400000_NS6detail17trampoline_kernelINS0_14default_configENS1_22reduce_config_selectorIN6thrust23THRUST_200600_302600_NS5tupleIblNS6_9null_typeES8_S8_S8_S8_S8_S8_S8_EEEEZNS1_11reduce_implILb1ES3_NS6_12zip_iteratorINS7_INS6_11hip_rocprim26transform_input_iterator_tIbNSD_35transform_pair_of_input_iterators_tIbNS6_6detail15normal_iteratorINS6_10device_ptrIKiEEEESL_NS6_8equal_toIiEEEENSG_9not_fun_tINSD_8identityEEEEENSD_19counting_iterator_tIlEES8_S8_S8_S8_S8_S8_S8_S8_EEEEPS9_S9_NSD_9__find_if7functorIS9_EEEE10hipError_tPvRmT1_T2_T3_mT4_P12ihipStream_tbEUlT_E0_NS1_11comp_targetILNS1_3genE0ELNS1_11target_archE4294967295ELNS1_3gpuE0ELNS1_3repE0EEENS1_30default_config_static_selectorELNS0_4arch9wavefront6targetE0EEEvS14_
	.p2align	8
	.type	_ZN7rocprim17ROCPRIM_400000_NS6detail17trampoline_kernelINS0_14default_configENS1_22reduce_config_selectorIN6thrust23THRUST_200600_302600_NS5tupleIblNS6_9null_typeES8_S8_S8_S8_S8_S8_S8_EEEEZNS1_11reduce_implILb1ES3_NS6_12zip_iteratorINS7_INS6_11hip_rocprim26transform_input_iterator_tIbNSD_35transform_pair_of_input_iterators_tIbNS6_6detail15normal_iteratorINS6_10device_ptrIKiEEEESL_NS6_8equal_toIiEEEENSG_9not_fun_tINSD_8identityEEEEENSD_19counting_iterator_tIlEES8_S8_S8_S8_S8_S8_S8_S8_EEEEPS9_S9_NSD_9__find_if7functorIS9_EEEE10hipError_tPvRmT1_T2_T3_mT4_P12ihipStream_tbEUlT_E0_NS1_11comp_targetILNS1_3genE0ELNS1_11target_archE4294967295ELNS1_3gpuE0ELNS1_3repE0EEENS1_30default_config_static_selectorELNS0_4arch9wavefront6targetE0EEEvS14_,@function
_ZN7rocprim17ROCPRIM_400000_NS6detail17trampoline_kernelINS0_14default_configENS1_22reduce_config_selectorIN6thrust23THRUST_200600_302600_NS5tupleIblNS6_9null_typeES8_S8_S8_S8_S8_S8_S8_EEEEZNS1_11reduce_implILb1ES3_NS6_12zip_iteratorINS7_INS6_11hip_rocprim26transform_input_iterator_tIbNSD_35transform_pair_of_input_iterators_tIbNS6_6detail15normal_iteratorINS6_10device_ptrIKiEEEESL_NS6_8equal_toIiEEEENSG_9not_fun_tINSD_8identityEEEEENSD_19counting_iterator_tIlEES8_S8_S8_S8_S8_S8_S8_S8_EEEEPS9_S9_NSD_9__find_if7functorIS9_EEEE10hipError_tPvRmT1_T2_T3_mT4_P12ihipStream_tbEUlT_E0_NS1_11comp_targetILNS1_3genE0ELNS1_11target_archE4294967295ELNS1_3gpuE0ELNS1_3repE0EEENS1_30default_config_static_selectorELNS0_4arch9wavefront6targetE0EEEvS14_: ; @_ZN7rocprim17ROCPRIM_400000_NS6detail17trampoline_kernelINS0_14default_configENS1_22reduce_config_selectorIN6thrust23THRUST_200600_302600_NS5tupleIblNS6_9null_typeES8_S8_S8_S8_S8_S8_S8_EEEEZNS1_11reduce_implILb1ES3_NS6_12zip_iteratorINS7_INS6_11hip_rocprim26transform_input_iterator_tIbNSD_35transform_pair_of_input_iterators_tIbNS6_6detail15normal_iteratorINS6_10device_ptrIKiEEEESL_NS6_8equal_toIiEEEENSG_9not_fun_tINSD_8identityEEEEENSD_19counting_iterator_tIlEES8_S8_S8_S8_S8_S8_S8_S8_EEEEPS9_S9_NSD_9__find_if7functorIS9_EEEE10hipError_tPvRmT1_T2_T3_mT4_P12ihipStream_tbEUlT_E0_NS1_11comp_targetILNS1_3genE0ELNS1_11target_archE4294967295ELNS1_3gpuE0ELNS1_3repE0EEENS1_30default_config_static_selectorELNS0_4arch9wavefront6targetE0EEEvS14_
; %bb.0:
	s_clause 0x2
	s_load_b256 s[4:11], s[0:1], 0x20
	s_load_b128 s[24:27], s[0:1], 0x0
	s_load_b128 s[12:15], s[0:1], 0x40
	s_bfe_u32 s3, ttmp6, 0x4000c
	s_and_b32 s2, ttmp6, 15
	s_add_co_i32 s3, s3, 1
	s_getreg_b32 s16, hwreg(HW_REG_IB_STS2, 6, 4)
	s_mul_i32 s3, ttmp9, s3
	s_mov_b32 s23, 0
	s_add_co_i32 s20, s2, s3
	v_mbcnt_lo_u32_b32 v8, -1, 0
	s_mov_b32 s17, s23
	s_wait_kmcnt 0x0
	s_lshl_b64 s[2:3], s[6:7], 2
	s_cmp_eq_u32 s16, 0
	s_add_nc_u64 s[18:19], s[24:25], s[2:3]
	s_cselect_b32 s16, ttmp9, s20
	s_add_nc_u64 s[2:3], s[26:27], s[2:3]
	s_lshl_b32 s22, s16, 8
	s_lshr_b64 s[20:21], s[8:9], 8
	s_lshl_b64 s[24:25], s[22:23], 2
	s_add_nc_u64 s[4:5], s[4:5], s[22:23]
	s_cmp_lg_u64 s[20:21], s[16:17]
	s_add_nc_u64 s[18:19], s[18:19], s[24:25]
	s_add_nc_u64 s[20:21], s[2:3], s[24:25]
	;; [unrolled: 1-line block ×3, first 2 shown]
	s_cbranch_scc0 .LBB261_10
; %bb.1:
	s_clause 0x3
	global_load_b32 v6, v0, s[18:19] scale_offset
	global_load_b32 v7, v0, s[20:21] scale_offset
	global_load_b32 v9, v0, s[20:21] offset:512 scale_offset
	global_load_b32 v10, v0, s[18:19] offset:512 scale_offset
	s_wait_loadcnt 0x2
	v_cmp_ne_u32_e32 vcc_lo, v6, v7
	v_mov_b32_e32 v1, 0
	s_wait_loadcnt 0x0
	v_cmp_ne_u32_e64 s2, v10, v9
	s_delay_alu instid0(VALU_DEP_2) | instskip(NEXT) | instid1(VALU_DEP_1)
	v_add_nc_u64_e32 v[2:3], s[6:7], v[0:1]
	v_add_nc_u64_e32 v[4:5], 0x80, v[2:3]
	s_delay_alu instid0(VALU_DEP_1) | instskip(NEXT) | instid1(VALU_DEP_1)
	v_cndmask_b32_e32 v3, v5, v3, vcc_lo
	v_mov_b32_dpp v5, v3 quad_perm:[1,0,3,2] row_mask:0xf bank_mask:0xf
	s_delay_alu instid0(VALU_DEP_3) | instskip(SKIP_3) | instid1(VALU_DEP_2)
	v_cndmask_b32_e32 v2, v4, v2, vcc_lo
	s_or_b32 vcc_lo, vcc_lo, s2
	s_mov_b32 s2, exec_lo
	v_cndmask_b32_e64 v9, 0, 1, vcc_lo
	v_mov_b32_dpp v4, v2 quad_perm:[1,0,3,2] row_mask:0xf bank_mask:0xf
	s_delay_alu instid0(VALU_DEP_2) | instskip(NEXT) | instid1(VALU_DEP_2)
	v_mov_b32_dpp v10, v9 quad_perm:[1,0,3,2] row_mask:0xf bank_mask:0xf
	v_min_i64 v[6:7], v[2:3], v[4:5]
	s_delay_alu instid0(VALU_DEP_1) | instskip(NEXT) | instid1(VALU_DEP_2)
	v_dual_cndmask_b32 v5, v5, v7, vcc_lo :: v_dual_bitop2_b32 v10, 1, v10 bitop3:0x40
	v_cndmask_b32_e32 v4, v4, v6, vcc_lo
	s_delay_alu instid0(VALU_DEP_2) | instskip(SKIP_1) | instid1(VALU_DEP_4)
	v_cmp_eq_u32_e32 vcc_lo, 1, v10
	v_cndmask_b32_e64 v9, v9, 1, vcc_lo
	v_cndmask_b32_e32 v3, v3, v5, vcc_lo
	s_delay_alu instid0(VALU_DEP_2) | instskip(SKIP_2) | instid1(VALU_DEP_4)
	v_and_b32_e32 v10, 1, v9
	v_mov_b32_dpp v11, v9 quad_perm:[2,3,0,1] row_mask:0xf bank_mask:0xf
	v_cndmask_b32_e32 v2, v2, v4, vcc_lo
	v_mov_b32_dpp v5, v3 quad_perm:[2,3,0,1] row_mask:0xf bank_mask:0xf
	s_delay_alu instid0(VALU_DEP_4) | instskip(NEXT) | instid1(VALU_DEP_4)
	v_cmp_eq_u32_e32 vcc_lo, 1, v10
	v_and_b32_e32 v10, 1, v11
	s_delay_alu instid0(VALU_DEP_4) | instskip(NEXT) | instid1(VALU_DEP_1)
	v_mov_b32_dpp v4, v2 quad_perm:[2,3,0,1] row_mask:0xf bank_mask:0xf
	v_min_i64 v[6:7], v[2:3], v[4:5]
	s_delay_alu instid0(VALU_DEP_1) | instskip(NEXT) | instid1(VALU_DEP_4)
	v_dual_cndmask_b32 v4, v4, v6 :: v_dual_cndmask_b32 v5, v5, v7
	v_cmp_eq_u32_e32 vcc_lo, 1, v10
	s_delay_alu instid0(VALU_DEP_2) | instskip(SKIP_1) | instid1(VALU_DEP_2)
	v_dual_cndmask_b32 v3, v3, v5 :: v_dual_cndmask_b32 v2, v2, v4
	v_cndmask_b32_e64 v9, v9, 1, vcc_lo
	v_mov_b32_dpp v5, v3 row_ror:4 row_mask:0xf bank_mask:0xf
	s_delay_alu instid0(VALU_DEP_3) | instskip(NEXT) | instid1(VALU_DEP_3)
	v_mov_b32_dpp v4, v2 row_ror:4 row_mask:0xf bank_mask:0xf
	v_mov_b32_dpp v11, v9 row_ror:4 row_mask:0xf bank_mask:0xf
	s_delay_alu instid0(VALU_DEP_2) | instskip(SKIP_1) | instid1(VALU_DEP_1)
	v_min_i64 v[6:7], v[2:3], v[4:5]
	v_and_b32_e32 v10, 1, v9
	v_cmp_eq_u32_e32 vcc_lo, 1, v10
	s_delay_alu instid0(VALU_DEP_3) | instskip(SKIP_1) | instid1(VALU_DEP_1)
	v_dual_cndmask_b32 v4, v4, v6 :: v_dual_cndmask_b32 v5, v5, v7
	v_and_b32_e32 v10, 1, v11
	v_cmp_eq_u32_e32 vcc_lo, 1, v10
	s_delay_alu instid0(VALU_DEP_3) | instskip(SKIP_1) | instid1(VALU_DEP_2)
	v_dual_cndmask_b32 v2, v2, v4 :: v_dual_cndmask_b32 v3, v3, v5
	v_cndmask_b32_e64 v9, v9, 1, vcc_lo
	v_mov_b32_dpp v4, v2 row_ror:8 row_mask:0xf bank_mask:0xf
	s_delay_alu instid0(VALU_DEP_3) | instskip(NEXT) | instid1(VALU_DEP_3)
	v_mov_b32_dpp v5, v3 row_ror:8 row_mask:0xf bank_mask:0xf
	v_mov_b32_dpp v11, v9 row_ror:8 row_mask:0xf bank_mask:0xf
	s_delay_alu instid0(VALU_DEP_2) | instskip(SKIP_1) | instid1(VALU_DEP_1)
	v_min_i64 v[6:7], v[2:3], v[4:5]
	v_and_b32_e32 v10, 1, v9
	v_cmp_eq_u32_e32 vcc_lo, 1, v10
	s_delay_alu instid0(VALU_DEP_3) | instskip(SKIP_1) | instid1(VALU_DEP_1)
	v_dual_cndmask_b32 v4, v4, v6 :: v_dual_cndmask_b32 v5, v5, v7
	v_and_b32_e32 v10, 1, v11
	v_cmp_eq_u32_e32 vcc_lo, 1, v10
	s_delay_alu instid0(VALU_DEP_3)
	v_dual_cndmask_b32 v2, v2, v4 :: v_dual_cndmask_b32 v3, v3, v5
	v_cndmask_b32_e64 v9, v9, 1, vcc_lo
	ds_swizzle_b32 v4, v2 offset:swizzle(BROADCAST,32,15)
	ds_swizzle_b32 v5, v3 offset:swizzle(BROADCAST,32,15)
	;; [unrolled: 1-line block ×3, first 2 shown]
	s_wait_dscnt 0x1
	v_min_i64 v[6:7], v[2:3], v[4:5]
	v_and_b32_e32 v11, 1, v9
	s_delay_alu instid0(VALU_DEP_1) | instskip(SKIP_1) | instid1(VALU_DEP_3)
	v_cmp_eq_u32_e32 vcc_lo, 1, v11
	s_wait_dscnt 0x0
	v_dual_cndmask_b32 v5, v5, v7, vcc_lo :: v_dual_bitop2_b32 v10, 1, v10 bitop3:0x40
	s_delay_alu instid0(VALU_DEP_4) | instskip(NEXT) | instid1(VALU_DEP_2)
	v_cndmask_b32_e32 v4, v4, v6, vcc_lo
	v_cmp_eq_u32_e32 vcc_lo, 1, v10
	s_delay_alu instid0(VALU_DEP_2)
	v_dual_cndmask_b32 v3, v3, v5 :: v_dual_cndmask_b32 v2, v2, v4
	v_cndmask_b32_e64 v5, v9, 1, vcc_lo
	ds_bpermute_b32 v3, v1, v3 offset:124
	ds_bpermute_b32 v2, v1, v2 offset:124
	ds_bpermute_b32 v6, v1, v5 offset:124
	v_cmpx_eq_u32_e32 0, v8
	s_cbranch_execz .LBB261_3
; %bb.2:
	v_lshrrev_b32_e32 v1, 1, v0
	s_delay_alu instid0(VALU_DEP_1)
	v_and_b32_e32 v1, 48, v1
	s_wait_dscnt 0x0
	ds_store_b8 v1, v6
	ds_store_b64 v1, v[2:3] offset:8
.LBB261_3:
	s_or_b32 exec_lo, exec_lo, s2
	s_delay_alu instid0(SALU_CYCLE_1)
	s_mov_b32 s2, exec_lo
	s_wait_dscnt 0x0
	s_barrier_signal -1
	s_barrier_wait -1
	v_cmpx_gt_u32_e32 32, v0
	s_cbranch_execz .LBB261_9
; %bb.4:
	v_and_b32_e32 v2, 3, v8
	s_delay_alu instid0(VALU_DEP_1) | instskip(SKIP_2) | instid1(VALU_DEP_1)
	v_cmp_ne_u32_e32 vcc_lo, 3, v2
	v_lshlrev_b32_e32 v3, 4, v2
	v_add_co_ci_u32_e64 v2, null, 0, v8, vcc_lo
	v_lshlrev_b32_e32 v2, 2, v2
	ds_load_u8 v1, v3
	ds_load_b64 v[4:5], v3 offset:8
	s_wait_dscnt 0x1
	v_and_b32_e32 v3, 0xff, v1
	s_wait_dscnt 0x0
	ds_bpermute_b32 v6, v2, v4
	ds_bpermute_b32 v7, v2, v5
	;; [unrolled: 1-line block ×3, first 2 shown]
	s_wait_dscnt 0x0
	v_and_b32_e32 v2, v1, v9
	s_delay_alu instid0(VALU_DEP_1) | instskip(NEXT) | instid1(VALU_DEP_1)
	v_and_b32_e32 v2, 1, v2
	v_cmp_eq_u32_e32 vcc_lo, 1, v2
                                        ; implicit-def: $vgpr2_vgpr3
	s_and_saveexec_b32 s3, vcc_lo
	s_delay_alu instid0(SALU_CYCLE_1)
	s_xor_b32 s3, exec_lo, s3
; %bb.5:
	v_min_i64 v[2:3], v[6:7], v[4:5]
                                        ; implicit-def: $vgpr1
                                        ; implicit-def: $vgpr6_vgpr7
                                        ; implicit-def: $vgpr4_vgpr5
                                        ; implicit-def: $vgpr9
; %bb.6:
	s_or_saveexec_b32 s3, s3
	v_dual_mov_b32 v11, 1 :: v_dual_lshlrev_b32 v10, 2, v8
	s_xor_b32 exec_lo, exec_lo, s3
; %bb.7:
	v_and_b32_e32 v1, 1, v1
	s_delay_alu instid0(VALU_DEP_1) | instskip(SKIP_2) | instid1(VALU_DEP_2)
	v_cmp_eq_u32_e32 vcc_lo, 1, v1
	v_and_b32_e32 v1, 0xff, v9
	v_dual_cndmask_b32 v3, v7, v5 :: v_dual_cndmask_b32 v2, v6, v4
	v_cndmask_b32_e64 v11, v1, 1, vcc_lo
; %bb.8:
	s_or_b32 exec_lo, exec_lo, s3
	s_delay_alu instid0(VALU_DEP_1) | instskip(NEXT) | instid1(VALU_DEP_1)
	v_and_b32_e32 v6, 1, v11
	v_cmp_eq_u32_e32 vcc_lo, 1, v6
	v_or_b32_e32 v1, 8, v10
	ds_bpermute_b32 v4, v1, v2
	ds_bpermute_b32 v5, v1, v3
	s_wait_dscnt 0x0
	v_min_i64 v[12:13], v[4:5], v[2:3]
	v_cndmask_b32_e32 v3, v5, v3, vcc_lo
	ds_bpermute_b32 v1, v1, v11
	v_cndmask_b32_e32 v2, v4, v2, vcc_lo
	s_wait_dscnt 0x0
	v_bitop3_b32 v6, v11, 1, v1 bitop3:0x80
	v_cndmask_b32_e64 v1, v1, 1, vcc_lo
	s_delay_alu instid0(VALU_DEP_2) | instskip(NEXT) | instid1(VALU_DEP_2)
	v_cmp_eq_u32_e32 vcc_lo, 0, v6
	v_dual_cndmask_b32 v6, 1, v1 :: v_dual_cndmask_b32 v3, v13, v3
	v_cndmask_b32_e32 v2, v12, v2, vcc_lo
.LBB261_9:
	s_or_b32 exec_lo, exec_lo, s2
	s_load_b64 s[4:5], s[0:1], 0x58
	s_branch .LBB261_34
.LBB261_10:
                                        ; implicit-def: $vgpr2_vgpr3
                                        ; implicit-def: $vgpr6
	s_load_b64 s[4:5], s[0:1], 0x58
	s_cbranch_execz .LBB261_34
; %bb.11:
	v_mov_b64_e32 v[4:5], 0
	v_mov_b64_e32 v[2:3], 0
	v_dual_mov_b32 v7, 0 :: v_dual_mov_b32 v1, 0
	s_sub_co_i32 s22, s8, s22
	s_mov_b32 s2, exec_lo
	v_cmpx_gt_u32_e64 s22, v0
	s_cbranch_execz .LBB261_13
; %bb.12:
	s_clause 0x1
	global_load_b32 v6, v0, s[18:19] scale_offset
	global_load_b32 v9, v0, s[20:21] scale_offset
	v_mov_b32_e32 v1, 0
	s_delay_alu instid0(VALU_DEP_1)
	v_add_nc_u64_e32 v[2:3], s[6:7], v[0:1]
	s_wait_loadcnt 0x0
	v_cmp_ne_u32_e32 vcc_lo, v6, v9
	v_cndmask_b32_e64 v1, 0, 1, vcc_lo
.LBB261_13:
	s_or_b32 exec_lo, exec_lo, s2
	v_or_b32_e32 v6, 0x80, v0
	s_delay_alu instid0(VALU_DEP_1)
	v_cmp_gt_u32_e32 vcc_lo, s22, v6
	s_and_saveexec_b32 s3, vcc_lo
	s_cbranch_execz .LBB261_15
; %bb.14:
	s_clause 0x1
	global_load_b32 v9, v0, s[18:19] offset:512 scale_offset
	global_load_b32 v10, v0, s[20:21] offset:512 scale_offset
	v_mov_b32_e32 v7, 0
	s_delay_alu instid0(VALU_DEP_1) | instskip(SKIP_2) | instid1(VALU_DEP_1)
	v_add_nc_u64_e32 v[4:5], s[6:7], v[6:7]
	s_wait_loadcnt 0x0
	v_cmp_ne_u32_e64 s2, v9, v10
	v_cndmask_b32_e64 v7, 0, 1, s2
.LBB261_15:
	s_or_b32 exec_lo, exec_lo, s3
	s_delay_alu instid0(VALU_DEP_3) | instskip(NEXT) | instid1(VALU_DEP_2)
	v_min_i64 v[10:11], v[4:5], v[2:3]
	v_and_b32_e32 v6, 1, v7
	s_mov_b32 s6, exec_lo
	s_delay_alu instid0(VALU_DEP_1) | instskip(SKIP_3) | instid1(VALU_DEP_4)
	v_cmp_eq_u32_e64 s2, 1, v6
	v_and_b32_e32 v9, 1, v1
	v_and_b32_e32 v6, 0xffff, v7
	;; [unrolled: 1-line block ×3, first 2 shown]
	v_cndmask_b32_e64 v7, v3, v11, s2
	s_delay_alu instid0(VALU_DEP_4) | instskip(SKIP_2) | instid1(VALU_DEP_3)
	v_cmp_eq_u32_e64 s3, 1, v9
	v_cndmask_b32_e64 v9, v2, v10, s2
	v_cmp_ne_u32_e64 s2, 31, v8
	v_cndmask_b32_e64 v6, v6, 1, s3
	s_delay_alu instid0(VALU_DEP_3) | instskip(NEXT) | instid1(VALU_DEP_3)
	v_dual_cndmask_b32 v4, v4, v9, s3 :: v_dual_cndmask_b32 v5, v5, v7, s3
	v_add_co_ci_u32_e64 v10, null, 0, v8, s2
	s_delay_alu instid0(VALU_DEP_2) | instskip(NEXT) | instid1(VALU_DEP_2)
	v_dual_cndmask_b32 v6, v1, v6, vcc_lo :: v_dual_cndmask_b32 v2, v2, v4, vcc_lo
	v_dual_cndmask_b32 v3, v3, v5, vcc_lo :: v_dual_lshlrev_b32 v9, 2, v10
	v_and_b32_e32 v1, 0x60, v0
	s_min_u32 s3, s22, 0x80
	ds_bpermute_b32 v7, v9, v6
	ds_bpermute_b32 v4, v9, v2
	;; [unrolled: 1-line block ×3, first 2 shown]
	v_sub_nc_u32_e64 v1, s3, v1 clamp
	v_add_nc_u32_e32 v9, 1, v8
	s_delay_alu instid0(VALU_DEP_1)
	v_cmpx_lt_u32_e64 v9, v1
	s_cbranch_execz .LBB261_17
; %bb.16:
	s_wait_dscnt 0x0
	v_min_i64 v[10:11], v[4:5], v[2:3]
	v_and_b32_e32 v9, 1, v6
	s_delay_alu instid0(VALU_DEP_1) | instskip(SKIP_3) | instid1(VALU_DEP_3)
	v_cmp_eq_u32_e32 vcc_lo, 1, v9
	v_and_b32_e32 v6, v6, v7
	v_and_b32_e32 v7, 0xff, v7
	v_dual_cndmask_b32 v2, v4, v2 :: v_dual_cndmask_b32 v3, v5, v3
	v_cmp_eq_u32_e64 s2, 0, v6
	s_delay_alu instid0(VALU_DEP_3) | instskip(NEXT) | instid1(VALU_DEP_1)
	v_cndmask_b32_e64 v4, v7, 1, vcc_lo
	v_dual_cndmask_b32 v6, 1, v4, s2 :: v_dual_cndmask_b32 v3, v11, v3, s2
	s_delay_alu instid0(VALU_DEP_4)
	v_cndmask_b32_e64 v2, v10, v2, s2
.LBB261_17:
	s_or_b32 exec_lo, exec_lo, s6
	v_cmp_gt_u32_e32 vcc_lo, 30, v8
	v_add_nc_u32_e32 v9, 2, v8
	s_mov_b32 s6, exec_lo
	s_wait_dscnt 0x1
	v_cndmask_b32_e64 v4, 0, 2, vcc_lo
	s_wait_dscnt 0x0
	s_delay_alu instid0(VALU_DEP_1)
	v_add_lshl_u32 v5, v4, v8, 2
	ds_bpermute_b32 v7, v5, v6
	ds_bpermute_b32 v4, v5, v2
	ds_bpermute_b32 v5, v5, v3
	v_cmpx_lt_u32_e64 v9, v1
	s_cbranch_execz .LBB261_19
; %bb.18:
	s_wait_dscnt 0x0
	v_min_i64 v[10:11], v[4:5], v[2:3]
	v_and_b32_e32 v9, 1, v6
	v_bitop3_b32 v6, v6, 1, v7 bitop3:0x80
	v_and_b32_e32 v7, 0xff, v7
	s_delay_alu instid0(VALU_DEP_3) | instskip(NEXT) | instid1(VALU_DEP_3)
	v_cmp_eq_u32_e32 vcc_lo, 1, v9
	v_cmp_eq_u32_e64 s2, 0, v6
	v_dual_cndmask_b32 v3, v5, v3 :: v_dual_cndmask_b32 v2, v4, v2
	s_delay_alu instid0(VALU_DEP_4) | instskip(NEXT) | instid1(VALU_DEP_1)
	v_cndmask_b32_e64 v4, v7, 1, vcc_lo
	v_dual_cndmask_b32 v6, 1, v4, s2 :: v_dual_cndmask_b32 v3, v11, v3, s2
	s_delay_alu instid0(VALU_DEP_3)
	v_cndmask_b32_e64 v2, v10, v2, s2
.LBB261_19:
	s_or_b32 exec_lo, exec_lo, s6
	v_cmp_gt_u32_e32 vcc_lo, 28, v8
	v_add_nc_u32_e32 v9, 4, v8
	s_mov_b32 s6, exec_lo
	s_wait_dscnt 0x1
	v_cndmask_b32_e64 v4, 0, 4, vcc_lo
	s_wait_dscnt 0x0
	s_delay_alu instid0(VALU_DEP_1)
	v_add_lshl_u32 v5, v4, v8, 2
	ds_bpermute_b32 v7, v5, v6
	ds_bpermute_b32 v4, v5, v2
	ds_bpermute_b32 v5, v5, v3
	v_cmpx_lt_u32_e64 v9, v1
	s_cbranch_execz .LBB261_21
; %bb.20:
	s_wait_dscnt 0x0
	v_min_i64 v[10:11], v[4:5], v[2:3]
	v_and_b32_e32 v9, 1, v6
	v_bitop3_b32 v6, v6, 1, v7 bitop3:0x80
	v_and_b32_e32 v7, 0xff, v7
	s_delay_alu instid0(VALU_DEP_3) | instskip(NEXT) | instid1(VALU_DEP_3)
	v_cmp_eq_u32_e32 vcc_lo, 1, v9
	v_cmp_eq_u32_e64 s2, 0, v6
	v_dual_cndmask_b32 v3, v5, v3 :: v_dual_cndmask_b32 v2, v4, v2
	s_delay_alu instid0(VALU_DEP_4) | instskip(NEXT) | instid1(VALU_DEP_1)
	v_cndmask_b32_e64 v4, v7, 1, vcc_lo
	v_dual_cndmask_b32 v6, 1, v4, s2 :: v_dual_cndmask_b32 v3, v11, v3, s2
	s_delay_alu instid0(VALU_DEP_3)
	v_cndmask_b32_e64 v2, v10, v2, s2
.LBB261_21:
	s_or_b32 exec_lo, exec_lo, s6
	v_cmp_gt_u32_e32 vcc_lo, 24, v8
	v_add_nc_u32_e32 v9, 8, v8
	s_mov_b32 s6, exec_lo
	s_wait_dscnt 0x1
	v_cndmask_b32_e64 v4, 0, 8, vcc_lo
	s_wait_dscnt 0x0
	s_delay_alu instid0(VALU_DEP_1)
	v_add_lshl_u32 v5, v4, v8, 2
	ds_bpermute_b32 v7, v5, v6
	ds_bpermute_b32 v4, v5, v2
	ds_bpermute_b32 v5, v5, v3
	v_cmpx_lt_u32_e64 v9, v1
	s_cbranch_execz .LBB261_23
; %bb.22:
	s_wait_dscnt 0x0
	v_min_i64 v[10:11], v[4:5], v[2:3]
	v_and_b32_e32 v9, 1, v6
	v_bitop3_b32 v6, v6, 1, v7 bitop3:0x80
	v_and_b32_e32 v7, 0xff, v7
	s_delay_alu instid0(VALU_DEP_3) | instskip(NEXT) | instid1(VALU_DEP_3)
	v_cmp_eq_u32_e32 vcc_lo, 1, v9
	v_cmp_eq_u32_e64 s2, 0, v6
	v_dual_cndmask_b32 v3, v5, v3 :: v_dual_cndmask_b32 v2, v4, v2
	s_delay_alu instid0(VALU_DEP_4) | instskip(NEXT) | instid1(VALU_DEP_1)
	v_cndmask_b32_e64 v4, v7, 1, vcc_lo
	v_dual_cndmask_b32 v6, 1, v4, s2 :: v_dual_cndmask_b32 v3, v11, v3, s2
	s_delay_alu instid0(VALU_DEP_3)
	v_cndmask_b32_e64 v2, v10, v2, s2
.LBB261_23:
	s_or_b32 exec_lo, exec_lo, s6
	s_wait_dscnt 0x2
	v_dual_lshlrev_b32 v7, 2, v8 :: v_dual_add_nc_u32 v10, 16, v8
	s_wait_dscnt 0x0
	s_delay_alu instid0(VALU_DEP_1) | instskip(NEXT) | instid1(VALU_DEP_2)
	v_or_b32_e32 v5, 64, v7
	v_cmp_lt_u32_e32 vcc_lo, v10, v1
	v_mov_b32_e32 v1, v6
	ds_bpermute_b32 v9, v5, v6
	ds_bpermute_b32 v4, v5, v2
	;; [unrolled: 1-line block ×3, first 2 shown]
	s_and_saveexec_b32 s6, vcc_lo
	s_cbranch_execz .LBB261_25
; %bb.24:
	s_wait_dscnt 0x0
	v_min_i64 v[10:11], v[4:5], v[2:3]
	v_and_b32_e32 v1, 1, v6
	v_bitop3_b32 v6, v6, 1, v9 bitop3:0x80
	s_delay_alu instid0(VALU_DEP_2) | instskip(NEXT) | instid1(VALU_DEP_2)
	v_cmp_eq_u32_e32 vcc_lo, 1, v1
	v_cmp_eq_u32_e64 s2, 0, v6
	v_cndmask_b32_e64 v1, v9, 1, vcc_lo
	v_dual_cndmask_b32 v3, v5, v3 :: v_dual_cndmask_b32 v2, v4, v2
	s_delay_alu instid0(VALU_DEP_2) | instskip(NEXT) | instid1(VALU_DEP_1)
	v_cndmask_b32_e64 v1, 1, v1, s2
	v_and_b32_e32 v6, 0xff, v1
	s_delay_alu instid0(VALU_DEP_3)
	v_dual_cndmask_b32 v3, v11, v3, s2 :: v_dual_cndmask_b32 v2, v10, v2, s2
.LBB261_25:
	s_or_b32 exec_lo, exec_lo, s6
	s_delay_alu instid0(SALU_CYCLE_1)
	s_mov_b32 s2, exec_lo
	v_cmpx_eq_u32_e32 0, v8
	s_cbranch_execz .LBB261_27
; %bb.26:
	s_wait_dscnt 0x1
	v_lshrrev_b32_e32 v4, 1, v0
	s_delay_alu instid0(VALU_DEP_1)
	v_and_b32_e32 v4, 48, v4
	ds_store_b8 v4, v1 offset:64
	ds_store_b64 v4, v[2:3] offset:72
.LBB261_27:
	s_or_b32 exec_lo, exec_lo, s2
	s_delay_alu instid0(SALU_CYCLE_1)
	s_mov_b32 s6, exec_lo
	s_wait_dscnt 0x0
	s_barrier_signal -1
	s_barrier_wait -1
	v_cmpx_gt_u32_e32 4, v0
	s_cbranch_execz .LBB261_33
; %bb.28:
	v_lshlrev_b32_e32 v1, 4, v8
	s_add_co_i32 s3, s3, 31
	s_mov_b32 s7, exec_lo
	s_lshr_b32 s3, s3, 5
	ds_load_u8 v9, v1 offset:64
	ds_load_b64 v[2:3], v1 offset:72
	v_and_b32_e32 v1, 3, v8
	s_delay_alu instid0(VALU_DEP_1) | instskip(SKIP_2) | instid1(VALU_DEP_1)
	v_cmp_ne_u32_e32 vcc_lo, 3, v1
	v_add_nc_u32_e32 v10, 1, v1
	v_add_co_ci_u32_e64 v4, null, 0, v8, vcc_lo
	v_lshlrev_b32_e32 v5, 2, v4
	s_wait_dscnt 0x1
	v_and_b32_e32 v6, 0xff, v9
	s_wait_dscnt 0x0
	ds_bpermute_b32 v4, v5, v2
	ds_bpermute_b32 v8, v5, v6
	;; [unrolled: 1-line block ×3, first 2 shown]
	v_cmpx_gt_u32_e64 s3, v10
	s_cbranch_execz .LBB261_30
; %bb.29:
	s_wait_dscnt 0x0
	v_min_i64 v[10:11], v[4:5], v[2:3]
	v_and_b32_e32 v9, 1, v9
	v_bitop3_b32 v6, v6, 1, v8 bitop3:0x80
	v_and_b32_e32 v8, 0xff, v8
	s_delay_alu instid0(VALU_DEP_3) | instskip(NEXT) | instid1(VALU_DEP_3)
	v_cmp_eq_u32_e32 vcc_lo, 1, v9
	v_cmp_eq_u32_e64 s2, 0, v6
	v_dual_cndmask_b32 v2, v4, v2 :: v_dual_cndmask_b32 v3, v5, v3
	s_delay_alu instid0(VALU_DEP_4) | instskip(NEXT) | instid1(VALU_DEP_1)
	v_cndmask_b32_e64 v4, v8, 1, vcc_lo
	v_dual_cndmask_b32 v6, 1, v4, s2 :: v_dual_cndmask_b32 v2, v10, v2, s2
	s_delay_alu instid0(VALU_DEP_3)
	v_cndmask_b32_e64 v3, v11, v3, s2
.LBB261_30:
	s_or_b32 exec_lo, exec_lo, s7
	s_wait_dscnt 0x0
	v_dual_add_nc_u32 v1, 2, v1 :: v_dual_bitop2_b32 v5, 8, v7 bitop3:0x54
	ds_bpermute_b32 v7, v5, v6
	ds_bpermute_b32 v4, v5, v2
	;; [unrolled: 1-line block ×3, first 2 shown]
	v_cmp_gt_u32_e32 vcc_lo, s3, v1
	s_and_saveexec_b32 s3, vcc_lo
	s_cbranch_execz .LBB261_32
; %bb.31:
	s_wait_dscnt 0x0
	v_min_i64 v[8:9], v[4:5], v[2:3]
	v_and_b32_e32 v1, 1, v6
	s_delay_alu instid0(VALU_DEP_1) | instskip(SKIP_2) | instid1(VALU_DEP_2)
	v_cmp_eq_u32_e32 vcc_lo, 1, v1
	v_bitop3_b32 v1, v6, 1, v7 bitop3:0x80
	v_cndmask_b32_e32 v3, v5, v3, vcc_lo
	v_cmp_eq_u32_e64 s2, 0, v1
	v_cndmask_b32_e32 v2, v4, v2, vcc_lo
	v_cndmask_b32_e64 v1, v7, 1, vcc_lo
	s_delay_alu instid0(VALU_DEP_1) | instskip(NEXT) | instid1(VALU_DEP_3)
	v_dual_cndmask_b32 v6, 1, v1, s2 :: v_dual_cndmask_b32 v3, v9, v3, s2
	v_cndmask_b32_e64 v2, v8, v2, s2
.LBB261_32:
	s_or_b32 exec_lo, exec_lo, s3
.LBB261_33:
	s_delay_alu instid0(SALU_CYCLE_1)
	s_or_b32 exec_lo, exec_lo, s6
.LBB261_34:
	s_wait_xcnt 0x0
	s_load_b32 s0, s[0:1], 0x50
	s_wait_xcnt 0x0
	s_mov_b32 s1, exec_lo
	v_cmpx_eq_u32_e32 0, v0
	s_cbranch_execz .LBB261_36
; %bb.35:
	s_mul_u64 s[2:3], s[14:15], s[12:13]
	s_delay_alu instid0(SALU_CYCLE_1)
	s_lshl_b64 s[2:3], s[2:3], 4
	s_cmp_eq_u64 s[8:9], 0
	s_add_nc_u64 s[2:3], s[10:11], s[2:3]
	s_cselect_b32 s1, -1, 0
	s_wait_kmcnt 0x0
	v_cndmask_b32_e64 v1, v3, s5, s1
	v_cndmask_b32_e64 v0, v2, s4, s1
	;; [unrolled: 1-line block ×3, first 2 shown]
	v_mov_b32_e32 v3, 0
	s_lshl_b64 s[0:1], s[16:17], 4
	s_delay_alu instid0(SALU_CYCLE_1)
	s_add_nc_u64 s[0:1], s[2:3], s[0:1]
	s_clause 0x1
	global_store_b8 v3, v2, s[0:1]
	global_store_b64 v3, v[0:1], s[0:1] offset:8
.LBB261_36:
	s_endpgm
	.section	.rodata,"a",@progbits
	.p2align	6, 0x0
	.amdhsa_kernel _ZN7rocprim17ROCPRIM_400000_NS6detail17trampoline_kernelINS0_14default_configENS1_22reduce_config_selectorIN6thrust23THRUST_200600_302600_NS5tupleIblNS6_9null_typeES8_S8_S8_S8_S8_S8_S8_EEEEZNS1_11reduce_implILb1ES3_NS6_12zip_iteratorINS7_INS6_11hip_rocprim26transform_input_iterator_tIbNSD_35transform_pair_of_input_iterators_tIbNS6_6detail15normal_iteratorINS6_10device_ptrIKiEEEESL_NS6_8equal_toIiEEEENSG_9not_fun_tINSD_8identityEEEEENSD_19counting_iterator_tIlEES8_S8_S8_S8_S8_S8_S8_S8_EEEEPS9_S9_NSD_9__find_if7functorIS9_EEEE10hipError_tPvRmT1_T2_T3_mT4_P12ihipStream_tbEUlT_E0_NS1_11comp_targetILNS1_3genE0ELNS1_11target_archE4294967295ELNS1_3gpuE0ELNS1_3repE0EEENS1_30default_config_static_selectorELNS0_4arch9wavefront6targetE0EEEvS14_
		.amdhsa_group_segment_fixed_size 128
		.amdhsa_private_segment_fixed_size 0
		.amdhsa_kernarg_size 104
		.amdhsa_user_sgpr_count 2
		.amdhsa_user_sgpr_dispatch_ptr 0
		.amdhsa_user_sgpr_queue_ptr 0
		.amdhsa_user_sgpr_kernarg_segment_ptr 1
		.amdhsa_user_sgpr_dispatch_id 0
		.amdhsa_user_sgpr_kernarg_preload_length 0
		.amdhsa_user_sgpr_kernarg_preload_offset 0
		.amdhsa_user_sgpr_private_segment_size 0
		.amdhsa_wavefront_size32 1
		.amdhsa_uses_dynamic_stack 0
		.amdhsa_enable_private_segment 0
		.amdhsa_system_sgpr_workgroup_id_x 1
		.amdhsa_system_sgpr_workgroup_id_y 0
		.amdhsa_system_sgpr_workgroup_id_z 0
		.amdhsa_system_sgpr_workgroup_info 0
		.amdhsa_system_vgpr_workitem_id 0
		.amdhsa_next_free_vgpr 14
		.amdhsa_next_free_sgpr 28
		.amdhsa_named_barrier_count 0
		.amdhsa_reserve_vcc 1
		.amdhsa_float_round_mode_32 0
		.amdhsa_float_round_mode_16_64 0
		.amdhsa_float_denorm_mode_32 3
		.amdhsa_float_denorm_mode_16_64 3
		.amdhsa_fp16_overflow 0
		.amdhsa_memory_ordered 1
		.amdhsa_forward_progress 1
		.amdhsa_inst_pref_size 23
		.amdhsa_round_robin_scheduling 0
		.amdhsa_exception_fp_ieee_invalid_op 0
		.amdhsa_exception_fp_denorm_src 0
		.amdhsa_exception_fp_ieee_div_zero 0
		.amdhsa_exception_fp_ieee_overflow 0
		.amdhsa_exception_fp_ieee_underflow 0
		.amdhsa_exception_fp_ieee_inexact 0
		.amdhsa_exception_int_div_zero 0
	.end_amdhsa_kernel
	.section	.text._ZN7rocprim17ROCPRIM_400000_NS6detail17trampoline_kernelINS0_14default_configENS1_22reduce_config_selectorIN6thrust23THRUST_200600_302600_NS5tupleIblNS6_9null_typeES8_S8_S8_S8_S8_S8_S8_EEEEZNS1_11reduce_implILb1ES3_NS6_12zip_iteratorINS7_INS6_11hip_rocprim26transform_input_iterator_tIbNSD_35transform_pair_of_input_iterators_tIbNS6_6detail15normal_iteratorINS6_10device_ptrIKiEEEESL_NS6_8equal_toIiEEEENSG_9not_fun_tINSD_8identityEEEEENSD_19counting_iterator_tIlEES8_S8_S8_S8_S8_S8_S8_S8_EEEEPS9_S9_NSD_9__find_if7functorIS9_EEEE10hipError_tPvRmT1_T2_T3_mT4_P12ihipStream_tbEUlT_E0_NS1_11comp_targetILNS1_3genE0ELNS1_11target_archE4294967295ELNS1_3gpuE0ELNS1_3repE0EEENS1_30default_config_static_selectorELNS0_4arch9wavefront6targetE0EEEvS14_,"axG",@progbits,_ZN7rocprim17ROCPRIM_400000_NS6detail17trampoline_kernelINS0_14default_configENS1_22reduce_config_selectorIN6thrust23THRUST_200600_302600_NS5tupleIblNS6_9null_typeES8_S8_S8_S8_S8_S8_S8_EEEEZNS1_11reduce_implILb1ES3_NS6_12zip_iteratorINS7_INS6_11hip_rocprim26transform_input_iterator_tIbNSD_35transform_pair_of_input_iterators_tIbNS6_6detail15normal_iteratorINS6_10device_ptrIKiEEEESL_NS6_8equal_toIiEEEENSG_9not_fun_tINSD_8identityEEEEENSD_19counting_iterator_tIlEES8_S8_S8_S8_S8_S8_S8_S8_EEEEPS9_S9_NSD_9__find_if7functorIS9_EEEE10hipError_tPvRmT1_T2_T3_mT4_P12ihipStream_tbEUlT_E0_NS1_11comp_targetILNS1_3genE0ELNS1_11target_archE4294967295ELNS1_3gpuE0ELNS1_3repE0EEENS1_30default_config_static_selectorELNS0_4arch9wavefront6targetE0EEEvS14_,comdat
.Lfunc_end261:
	.size	_ZN7rocprim17ROCPRIM_400000_NS6detail17trampoline_kernelINS0_14default_configENS1_22reduce_config_selectorIN6thrust23THRUST_200600_302600_NS5tupleIblNS6_9null_typeES8_S8_S8_S8_S8_S8_S8_EEEEZNS1_11reduce_implILb1ES3_NS6_12zip_iteratorINS7_INS6_11hip_rocprim26transform_input_iterator_tIbNSD_35transform_pair_of_input_iterators_tIbNS6_6detail15normal_iteratorINS6_10device_ptrIKiEEEESL_NS6_8equal_toIiEEEENSG_9not_fun_tINSD_8identityEEEEENSD_19counting_iterator_tIlEES8_S8_S8_S8_S8_S8_S8_S8_EEEEPS9_S9_NSD_9__find_if7functorIS9_EEEE10hipError_tPvRmT1_T2_T3_mT4_P12ihipStream_tbEUlT_E0_NS1_11comp_targetILNS1_3genE0ELNS1_11target_archE4294967295ELNS1_3gpuE0ELNS1_3repE0EEENS1_30default_config_static_selectorELNS0_4arch9wavefront6targetE0EEEvS14_, .Lfunc_end261-_ZN7rocprim17ROCPRIM_400000_NS6detail17trampoline_kernelINS0_14default_configENS1_22reduce_config_selectorIN6thrust23THRUST_200600_302600_NS5tupleIblNS6_9null_typeES8_S8_S8_S8_S8_S8_S8_EEEEZNS1_11reduce_implILb1ES3_NS6_12zip_iteratorINS7_INS6_11hip_rocprim26transform_input_iterator_tIbNSD_35transform_pair_of_input_iterators_tIbNS6_6detail15normal_iteratorINS6_10device_ptrIKiEEEESL_NS6_8equal_toIiEEEENSG_9not_fun_tINSD_8identityEEEEENSD_19counting_iterator_tIlEES8_S8_S8_S8_S8_S8_S8_S8_EEEEPS9_S9_NSD_9__find_if7functorIS9_EEEE10hipError_tPvRmT1_T2_T3_mT4_P12ihipStream_tbEUlT_E0_NS1_11comp_targetILNS1_3genE0ELNS1_11target_archE4294967295ELNS1_3gpuE0ELNS1_3repE0EEENS1_30default_config_static_selectorELNS0_4arch9wavefront6targetE0EEEvS14_
                                        ; -- End function
	.set _ZN7rocprim17ROCPRIM_400000_NS6detail17trampoline_kernelINS0_14default_configENS1_22reduce_config_selectorIN6thrust23THRUST_200600_302600_NS5tupleIblNS6_9null_typeES8_S8_S8_S8_S8_S8_S8_EEEEZNS1_11reduce_implILb1ES3_NS6_12zip_iteratorINS7_INS6_11hip_rocprim26transform_input_iterator_tIbNSD_35transform_pair_of_input_iterators_tIbNS6_6detail15normal_iteratorINS6_10device_ptrIKiEEEESL_NS6_8equal_toIiEEEENSG_9not_fun_tINSD_8identityEEEEENSD_19counting_iterator_tIlEES8_S8_S8_S8_S8_S8_S8_S8_EEEEPS9_S9_NSD_9__find_if7functorIS9_EEEE10hipError_tPvRmT1_T2_T3_mT4_P12ihipStream_tbEUlT_E0_NS1_11comp_targetILNS1_3genE0ELNS1_11target_archE4294967295ELNS1_3gpuE0ELNS1_3repE0EEENS1_30default_config_static_selectorELNS0_4arch9wavefront6targetE0EEEvS14_.num_vgpr, 14
	.set _ZN7rocprim17ROCPRIM_400000_NS6detail17trampoline_kernelINS0_14default_configENS1_22reduce_config_selectorIN6thrust23THRUST_200600_302600_NS5tupleIblNS6_9null_typeES8_S8_S8_S8_S8_S8_S8_EEEEZNS1_11reduce_implILb1ES3_NS6_12zip_iteratorINS7_INS6_11hip_rocprim26transform_input_iterator_tIbNSD_35transform_pair_of_input_iterators_tIbNS6_6detail15normal_iteratorINS6_10device_ptrIKiEEEESL_NS6_8equal_toIiEEEENSG_9not_fun_tINSD_8identityEEEEENSD_19counting_iterator_tIlEES8_S8_S8_S8_S8_S8_S8_S8_EEEEPS9_S9_NSD_9__find_if7functorIS9_EEEE10hipError_tPvRmT1_T2_T3_mT4_P12ihipStream_tbEUlT_E0_NS1_11comp_targetILNS1_3genE0ELNS1_11target_archE4294967295ELNS1_3gpuE0ELNS1_3repE0EEENS1_30default_config_static_selectorELNS0_4arch9wavefront6targetE0EEEvS14_.num_agpr, 0
	.set _ZN7rocprim17ROCPRIM_400000_NS6detail17trampoline_kernelINS0_14default_configENS1_22reduce_config_selectorIN6thrust23THRUST_200600_302600_NS5tupleIblNS6_9null_typeES8_S8_S8_S8_S8_S8_S8_EEEEZNS1_11reduce_implILb1ES3_NS6_12zip_iteratorINS7_INS6_11hip_rocprim26transform_input_iterator_tIbNSD_35transform_pair_of_input_iterators_tIbNS6_6detail15normal_iteratorINS6_10device_ptrIKiEEEESL_NS6_8equal_toIiEEEENSG_9not_fun_tINSD_8identityEEEEENSD_19counting_iterator_tIlEES8_S8_S8_S8_S8_S8_S8_S8_EEEEPS9_S9_NSD_9__find_if7functorIS9_EEEE10hipError_tPvRmT1_T2_T3_mT4_P12ihipStream_tbEUlT_E0_NS1_11comp_targetILNS1_3genE0ELNS1_11target_archE4294967295ELNS1_3gpuE0ELNS1_3repE0EEENS1_30default_config_static_selectorELNS0_4arch9wavefront6targetE0EEEvS14_.numbered_sgpr, 28
	.set _ZN7rocprim17ROCPRIM_400000_NS6detail17trampoline_kernelINS0_14default_configENS1_22reduce_config_selectorIN6thrust23THRUST_200600_302600_NS5tupleIblNS6_9null_typeES8_S8_S8_S8_S8_S8_S8_EEEEZNS1_11reduce_implILb1ES3_NS6_12zip_iteratorINS7_INS6_11hip_rocprim26transform_input_iterator_tIbNSD_35transform_pair_of_input_iterators_tIbNS6_6detail15normal_iteratorINS6_10device_ptrIKiEEEESL_NS6_8equal_toIiEEEENSG_9not_fun_tINSD_8identityEEEEENSD_19counting_iterator_tIlEES8_S8_S8_S8_S8_S8_S8_S8_EEEEPS9_S9_NSD_9__find_if7functorIS9_EEEE10hipError_tPvRmT1_T2_T3_mT4_P12ihipStream_tbEUlT_E0_NS1_11comp_targetILNS1_3genE0ELNS1_11target_archE4294967295ELNS1_3gpuE0ELNS1_3repE0EEENS1_30default_config_static_selectorELNS0_4arch9wavefront6targetE0EEEvS14_.num_named_barrier, 0
	.set _ZN7rocprim17ROCPRIM_400000_NS6detail17trampoline_kernelINS0_14default_configENS1_22reduce_config_selectorIN6thrust23THRUST_200600_302600_NS5tupleIblNS6_9null_typeES8_S8_S8_S8_S8_S8_S8_EEEEZNS1_11reduce_implILb1ES3_NS6_12zip_iteratorINS7_INS6_11hip_rocprim26transform_input_iterator_tIbNSD_35transform_pair_of_input_iterators_tIbNS6_6detail15normal_iteratorINS6_10device_ptrIKiEEEESL_NS6_8equal_toIiEEEENSG_9not_fun_tINSD_8identityEEEEENSD_19counting_iterator_tIlEES8_S8_S8_S8_S8_S8_S8_S8_EEEEPS9_S9_NSD_9__find_if7functorIS9_EEEE10hipError_tPvRmT1_T2_T3_mT4_P12ihipStream_tbEUlT_E0_NS1_11comp_targetILNS1_3genE0ELNS1_11target_archE4294967295ELNS1_3gpuE0ELNS1_3repE0EEENS1_30default_config_static_selectorELNS0_4arch9wavefront6targetE0EEEvS14_.private_seg_size, 0
	.set _ZN7rocprim17ROCPRIM_400000_NS6detail17trampoline_kernelINS0_14default_configENS1_22reduce_config_selectorIN6thrust23THRUST_200600_302600_NS5tupleIblNS6_9null_typeES8_S8_S8_S8_S8_S8_S8_EEEEZNS1_11reduce_implILb1ES3_NS6_12zip_iteratorINS7_INS6_11hip_rocprim26transform_input_iterator_tIbNSD_35transform_pair_of_input_iterators_tIbNS6_6detail15normal_iteratorINS6_10device_ptrIKiEEEESL_NS6_8equal_toIiEEEENSG_9not_fun_tINSD_8identityEEEEENSD_19counting_iterator_tIlEES8_S8_S8_S8_S8_S8_S8_S8_EEEEPS9_S9_NSD_9__find_if7functorIS9_EEEE10hipError_tPvRmT1_T2_T3_mT4_P12ihipStream_tbEUlT_E0_NS1_11comp_targetILNS1_3genE0ELNS1_11target_archE4294967295ELNS1_3gpuE0ELNS1_3repE0EEENS1_30default_config_static_selectorELNS0_4arch9wavefront6targetE0EEEvS14_.uses_vcc, 1
	.set _ZN7rocprim17ROCPRIM_400000_NS6detail17trampoline_kernelINS0_14default_configENS1_22reduce_config_selectorIN6thrust23THRUST_200600_302600_NS5tupleIblNS6_9null_typeES8_S8_S8_S8_S8_S8_S8_EEEEZNS1_11reduce_implILb1ES3_NS6_12zip_iteratorINS7_INS6_11hip_rocprim26transform_input_iterator_tIbNSD_35transform_pair_of_input_iterators_tIbNS6_6detail15normal_iteratorINS6_10device_ptrIKiEEEESL_NS6_8equal_toIiEEEENSG_9not_fun_tINSD_8identityEEEEENSD_19counting_iterator_tIlEES8_S8_S8_S8_S8_S8_S8_S8_EEEEPS9_S9_NSD_9__find_if7functorIS9_EEEE10hipError_tPvRmT1_T2_T3_mT4_P12ihipStream_tbEUlT_E0_NS1_11comp_targetILNS1_3genE0ELNS1_11target_archE4294967295ELNS1_3gpuE0ELNS1_3repE0EEENS1_30default_config_static_selectorELNS0_4arch9wavefront6targetE0EEEvS14_.uses_flat_scratch, 0
	.set _ZN7rocprim17ROCPRIM_400000_NS6detail17trampoline_kernelINS0_14default_configENS1_22reduce_config_selectorIN6thrust23THRUST_200600_302600_NS5tupleIblNS6_9null_typeES8_S8_S8_S8_S8_S8_S8_EEEEZNS1_11reduce_implILb1ES3_NS6_12zip_iteratorINS7_INS6_11hip_rocprim26transform_input_iterator_tIbNSD_35transform_pair_of_input_iterators_tIbNS6_6detail15normal_iteratorINS6_10device_ptrIKiEEEESL_NS6_8equal_toIiEEEENSG_9not_fun_tINSD_8identityEEEEENSD_19counting_iterator_tIlEES8_S8_S8_S8_S8_S8_S8_S8_EEEEPS9_S9_NSD_9__find_if7functorIS9_EEEE10hipError_tPvRmT1_T2_T3_mT4_P12ihipStream_tbEUlT_E0_NS1_11comp_targetILNS1_3genE0ELNS1_11target_archE4294967295ELNS1_3gpuE0ELNS1_3repE0EEENS1_30default_config_static_selectorELNS0_4arch9wavefront6targetE0EEEvS14_.has_dyn_sized_stack, 0
	.set _ZN7rocprim17ROCPRIM_400000_NS6detail17trampoline_kernelINS0_14default_configENS1_22reduce_config_selectorIN6thrust23THRUST_200600_302600_NS5tupleIblNS6_9null_typeES8_S8_S8_S8_S8_S8_S8_EEEEZNS1_11reduce_implILb1ES3_NS6_12zip_iteratorINS7_INS6_11hip_rocprim26transform_input_iterator_tIbNSD_35transform_pair_of_input_iterators_tIbNS6_6detail15normal_iteratorINS6_10device_ptrIKiEEEESL_NS6_8equal_toIiEEEENSG_9not_fun_tINSD_8identityEEEEENSD_19counting_iterator_tIlEES8_S8_S8_S8_S8_S8_S8_S8_EEEEPS9_S9_NSD_9__find_if7functorIS9_EEEE10hipError_tPvRmT1_T2_T3_mT4_P12ihipStream_tbEUlT_E0_NS1_11comp_targetILNS1_3genE0ELNS1_11target_archE4294967295ELNS1_3gpuE0ELNS1_3repE0EEENS1_30default_config_static_selectorELNS0_4arch9wavefront6targetE0EEEvS14_.has_recursion, 0
	.set _ZN7rocprim17ROCPRIM_400000_NS6detail17trampoline_kernelINS0_14default_configENS1_22reduce_config_selectorIN6thrust23THRUST_200600_302600_NS5tupleIblNS6_9null_typeES8_S8_S8_S8_S8_S8_S8_EEEEZNS1_11reduce_implILb1ES3_NS6_12zip_iteratorINS7_INS6_11hip_rocprim26transform_input_iterator_tIbNSD_35transform_pair_of_input_iterators_tIbNS6_6detail15normal_iteratorINS6_10device_ptrIKiEEEESL_NS6_8equal_toIiEEEENSG_9not_fun_tINSD_8identityEEEEENSD_19counting_iterator_tIlEES8_S8_S8_S8_S8_S8_S8_S8_EEEEPS9_S9_NSD_9__find_if7functorIS9_EEEE10hipError_tPvRmT1_T2_T3_mT4_P12ihipStream_tbEUlT_E0_NS1_11comp_targetILNS1_3genE0ELNS1_11target_archE4294967295ELNS1_3gpuE0ELNS1_3repE0EEENS1_30default_config_static_selectorELNS0_4arch9wavefront6targetE0EEEvS14_.has_indirect_call, 0
	.section	.AMDGPU.csdata,"",@progbits
; Kernel info:
; codeLenInByte = 2840
; TotalNumSgprs: 30
; NumVgprs: 14
; ScratchSize: 0
; MemoryBound: 0
; FloatMode: 240
; IeeeMode: 1
; LDSByteSize: 128 bytes/workgroup (compile time only)
; SGPRBlocks: 0
; VGPRBlocks: 0
; NumSGPRsForWavesPerEU: 30
; NumVGPRsForWavesPerEU: 14
; NamedBarCnt: 0
; Occupancy: 16
; WaveLimiterHint : 0
; COMPUTE_PGM_RSRC2:SCRATCH_EN: 0
; COMPUTE_PGM_RSRC2:USER_SGPR: 2
; COMPUTE_PGM_RSRC2:TRAP_HANDLER: 0
; COMPUTE_PGM_RSRC2:TGID_X_EN: 1
; COMPUTE_PGM_RSRC2:TGID_Y_EN: 0
; COMPUTE_PGM_RSRC2:TGID_Z_EN: 0
; COMPUTE_PGM_RSRC2:TIDIG_COMP_CNT: 0
	.section	.text._ZN7rocprim17ROCPRIM_400000_NS6detail17trampoline_kernelINS0_14default_configENS1_22reduce_config_selectorIN6thrust23THRUST_200600_302600_NS5tupleIblNS6_9null_typeES8_S8_S8_S8_S8_S8_S8_EEEEZNS1_11reduce_implILb1ES3_NS6_12zip_iteratorINS7_INS6_11hip_rocprim26transform_input_iterator_tIbNSD_35transform_pair_of_input_iterators_tIbNS6_6detail15normal_iteratorINS6_10device_ptrIKiEEEESL_NS6_8equal_toIiEEEENSG_9not_fun_tINSD_8identityEEEEENSD_19counting_iterator_tIlEES8_S8_S8_S8_S8_S8_S8_S8_EEEEPS9_S9_NSD_9__find_if7functorIS9_EEEE10hipError_tPvRmT1_T2_T3_mT4_P12ihipStream_tbEUlT_E0_NS1_11comp_targetILNS1_3genE5ELNS1_11target_archE942ELNS1_3gpuE9ELNS1_3repE0EEENS1_30default_config_static_selectorELNS0_4arch9wavefront6targetE0EEEvS14_,"axG",@progbits,_ZN7rocprim17ROCPRIM_400000_NS6detail17trampoline_kernelINS0_14default_configENS1_22reduce_config_selectorIN6thrust23THRUST_200600_302600_NS5tupleIblNS6_9null_typeES8_S8_S8_S8_S8_S8_S8_EEEEZNS1_11reduce_implILb1ES3_NS6_12zip_iteratorINS7_INS6_11hip_rocprim26transform_input_iterator_tIbNSD_35transform_pair_of_input_iterators_tIbNS6_6detail15normal_iteratorINS6_10device_ptrIKiEEEESL_NS6_8equal_toIiEEEENSG_9not_fun_tINSD_8identityEEEEENSD_19counting_iterator_tIlEES8_S8_S8_S8_S8_S8_S8_S8_EEEEPS9_S9_NSD_9__find_if7functorIS9_EEEE10hipError_tPvRmT1_T2_T3_mT4_P12ihipStream_tbEUlT_E0_NS1_11comp_targetILNS1_3genE5ELNS1_11target_archE942ELNS1_3gpuE9ELNS1_3repE0EEENS1_30default_config_static_selectorELNS0_4arch9wavefront6targetE0EEEvS14_,comdat
	.protected	_ZN7rocprim17ROCPRIM_400000_NS6detail17trampoline_kernelINS0_14default_configENS1_22reduce_config_selectorIN6thrust23THRUST_200600_302600_NS5tupleIblNS6_9null_typeES8_S8_S8_S8_S8_S8_S8_EEEEZNS1_11reduce_implILb1ES3_NS6_12zip_iteratorINS7_INS6_11hip_rocprim26transform_input_iterator_tIbNSD_35transform_pair_of_input_iterators_tIbNS6_6detail15normal_iteratorINS6_10device_ptrIKiEEEESL_NS6_8equal_toIiEEEENSG_9not_fun_tINSD_8identityEEEEENSD_19counting_iterator_tIlEES8_S8_S8_S8_S8_S8_S8_S8_EEEEPS9_S9_NSD_9__find_if7functorIS9_EEEE10hipError_tPvRmT1_T2_T3_mT4_P12ihipStream_tbEUlT_E0_NS1_11comp_targetILNS1_3genE5ELNS1_11target_archE942ELNS1_3gpuE9ELNS1_3repE0EEENS1_30default_config_static_selectorELNS0_4arch9wavefront6targetE0EEEvS14_ ; -- Begin function _ZN7rocprim17ROCPRIM_400000_NS6detail17trampoline_kernelINS0_14default_configENS1_22reduce_config_selectorIN6thrust23THRUST_200600_302600_NS5tupleIblNS6_9null_typeES8_S8_S8_S8_S8_S8_S8_EEEEZNS1_11reduce_implILb1ES3_NS6_12zip_iteratorINS7_INS6_11hip_rocprim26transform_input_iterator_tIbNSD_35transform_pair_of_input_iterators_tIbNS6_6detail15normal_iteratorINS6_10device_ptrIKiEEEESL_NS6_8equal_toIiEEEENSG_9not_fun_tINSD_8identityEEEEENSD_19counting_iterator_tIlEES8_S8_S8_S8_S8_S8_S8_S8_EEEEPS9_S9_NSD_9__find_if7functorIS9_EEEE10hipError_tPvRmT1_T2_T3_mT4_P12ihipStream_tbEUlT_E0_NS1_11comp_targetILNS1_3genE5ELNS1_11target_archE942ELNS1_3gpuE9ELNS1_3repE0EEENS1_30default_config_static_selectorELNS0_4arch9wavefront6targetE0EEEvS14_
	.globl	_ZN7rocprim17ROCPRIM_400000_NS6detail17trampoline_kernelINS0_14default_configENS1_22reduce_config_selectorIN6thrust23THRUST_200600_302600_NS5tupleIblNS6_9null_typeES8_S8_S8_S8_S8_S8_S8_EEEEZNS1_11reduce_implILb1ES3_NS6_12zip_iteratorINS7_INS6_11hip_rocprim26transform_input_iterator_tIbNSD_35transform_pair_of_input_iterators_tIbNS6_6detail15normal_iteratorINS6_10device_ptrIKiEEEESL_NS6_8equal_toIiEEEENSG_9not_fun_tINSD_8identityEEEEENSD_19counting_iterator_tIlEES8_S8_S8_S8_S8_S8_S8_S8_EEEEPS9_S9_NSD_9__find_if7functorIS9_EEEE10hipError_tPvRmT1_T2_T3_mT4_P12ihipStream_tbEUlT_E0_NS1_11comp_targetILNS1_3genE5ELNS1_11target_archE942ELNS1_3gpuE9ELNS1_3repE0EEENS1_30default_config_static_selectorELNS0_4arch9wavefront6targetE0EEEvS14_
	.p2align	8
	.type	_ZN7rocprim17ROCPRIM_400000_NS6detail17trampoline_kernelINS0_14default_configENS1_22reduce_config_selectorIN6thrust23THRUST_200600_302600_NS5tupleIblNS6_9null_typeES8_S8_S8_S8_S8_S8_S8_EEEEZNS1_11reduce_implILb1ES3_NS6_12zip_iteratorINS7_INS6_11hip_rocprim26transform_input_iterator_tIbNSD_35transform_pair_of_input_iterators_tIbNS6_6detail15normal_iteratorINS6_10device_ptrIKiEEEESL_NS6_8equal_toIiEEEENSG_9not_fun_tINSD_8identityEEEEENSD_19counting_iterator_tIlEES8_S8_S8_S8_S8_S8_S8_S8_EEEEPS9_S9_NSD_9__find_if7functorIS9_EEEE10hipError_tPvRmT1_T2_T3_mT4_P12ihipStream_tbEUlT_E0_NS1_11comp_targetILNS1_3genE5ELNS1_11target_archE942ELNS1_3gpuE9ELNS1_3repE0EEENS1_30default_config_static_selectorELNS0_4arch9wavefront6targetE0EEEvS14_,@function
_ZN7rocprim17ROCPRIM_400000_NS6detail17trampoline_kernelINS0_14default_configENS1_22reduce_config_selectorIN6thrust23THRUST_200600_302600_NS5tupleIblNS6_9null_typeES8_S8_S8_S8_S8_S8_S8_EEEEZNS1_11reduce_implILb1ES3_NS6_12zip_iteratorINS7_INS6_11hip_rocprim26transform_input_iterator_tIbNSD_35transform_pair_of_input_iterators_tIbNS6_6detail15normal_iteratorINS6_10device_ptrIKiEEEESL_NS6_8equal_toIiEEEENSG_9not_fun_tINSD_8identityEEEEENSD_19counting_iterator_tIlEES8_S8_S8_S8_S8_S8_S8_S8_EEEEPS9_S9_NSD_9__find_if7functorIS9_EEEE10hipError_tPvRmT1_T2_T3_mT4_P12ihipStream_tbEUlT_E0_NS1_11comp_targetILNS1_3genE5ELNS1_11target_archE942ELNS1_3gpuE9ELNS1_3repE0EEENS1_30default_config_static_selectorELNS0_4arch9wavefront6targetE0EEEvS14_: ; @_ZN7rocprim17ROCPRIM_400000_NS6detail17trampoline_kernelINS0_14default_configENS1_22reduce_config_selectorIN6thrust23THRUST_200600_302600_NS5tupleIblNS6_9null_typeES8_S8_S8_S8_S8_S8_S8_EEEEZNS1_11reduce_implILb1ES3_NS6_12zip_iteratorINS7_INS6_11hip_rocprim26transform_input_iterator_tIbNSD_35transform_pair_of_input_iterators_tIbNS6_6detail15normal_iteratorINS6_10device_ptrIKiEEEESL_NS6_8equal_toIiEEEENSG_9not_fun_tINSD_8identityEEEEENSD_19counting_iterator_tIlEES8_S8_S8_S8_S8_S8_S8_S8_EEEEPS9_S9_NSD_9__find_if7functorIS9_EEEE10hipError_tPvRmT1_T2_T3_mT4_P12ihipStream_tbEUlT_E0_NS1_11comp_targetILNS1_3genE5ELNS1_11target_archE942ELNS1_3gpuE9ELNS1_3repE0EEENS1_30default_config_static_selectorELNS0_4arch9wavefront6targetE0EEEvS14_
; %bb.0:
	.section	.rodata,"a",@progbits
	.p2align	6, 0x0
	.amdhsa_kernel _ZN7rocprim17ROCPRIM_400000_NS6detail17trampoline_kernelINS0_14default_configENS1_22reduce_config_selectorIN6thrust23THRUST_200600_302600_NS5tupleIblNS6_9null_typeES8_S8_S8_S8_S8_S8_S8_EEEEZNS1_11reduce_implILb1ES3_NS6_12zip_iteratorINS7_INS6_11hip_rocprim26transform_input_iterator_tIbNSD_35transform_pair_of_input_iterators_tIbNS6_6detail15normal_iteratorINS6_10device_ptrIKiEEEESL_NS6_8equal_toIiEEEENSG_9not_fun_tINSD_8identityEEEEENSD_19counting_iterator_tIlEES8_S8_S8_S8_S8_S8_S8_S8_EEEEPS9_S9_NSD_9__find_if7functorIS9_EEEE10hipError_tPvRmT1_T2_T3_mT4_P12ihipStream_tbEUlT_E0_NS1_11comp_targetILNS1_3genE5ELNS1_11target_archE942ELNS1_3gpuE9ELNS1_3repE0EEENS1_30default_config_static_selectorELNS0_4arch9wavefront6targetE0EEEvS14_
		.amdhsa_group_segment_fixed_size 0
		.amdhsa_private_segment_fixed_size 0
		.amdhsa_kernarg_size 104
		.amdhsa_user_sgpr_count 2
		.amdhsa_user_sgpr_dispatch_ptr 0
		.amdhsa_user_sgpr_queue_ptr 0
		.amdhsa_user_sgpr_kernarg_segment_ptr 1
		.amdhsa_user_sgpr_dispatch_id 0
		.amdhsa_user_sgpr_kernarg_preload_length 0
		.amdhsa_user_sgpr_kernarg_preload_offset 0
		.amdhsa_user_sgpr_private_segment_size 0
		.amdhsa_wavefront_size32 1
		.amdhsa_uses_dynamic_stack 0
		.amdhsa_enable_private_segment 0
		.amdhsa_system_sgpr_workgroup_id_x 1
		.amdhsa_system_sgpr_workgroup_id_y 0
		.amdhsa_system_sgpr_workgroup_id_z 0
		.amdhsa_system_sgpr_workgroup_info 0
		.amdhsa_system_vgpr_workitem_id 0
		.amdhsa_next_free_vgpr 1
		.amdhsa_next_free_sgpr 1
		.amdhsa_named_barrier_count 0
		.amdhsa_reserve_vcc 0
		.amdhsa_float_round_mode_32 0
		.amdhsa_float_round_mode_16_64 0
		.amdhsa_float_denorm_mode_32 3
		.amdhsa_float_denorm_mode_16_64 3
		.amdhsa_fp16_overflow 0
		.amdhsa_memory_ordered 1
		.amdhsa_forward_progress 1
		.amdhsa_inst_pref_size 0
		.amdhsa_round_robin_scheduling 0
		.amdhsa_exception_fp_ieee_invalid_op 0
		.amdhsa_exception_fp_denorm_src 0
		.amdhsa_exception_fp_ieee_div_zero 0
		.amdhsa_exception_fp_ieee_overflow 0
		.amdhsa_exception_fp_ieee_underflow 0
		.amdhsa_exception_fp_ieee_inexact 0
		.amdhsa_exception_int_div_zero 0
	.end_amdhsa_kernel
	.section	.text._ZN7rocprim17ROCPRIM_400000_NS6detail17trampoline_kernelINS0_14default_configENS1_22reduce_config_selectorIN6thrust23THRUST_200600_302600_NS5tupleIblNS6_9null_typeES8_S8_S8_S8_S8_S8_S8_EEEEZNS1_11reduce_implILb1ES3_NS6_12zip_iteratorINS7_INS6_11hip_rocprim26transform_input_iterator_tIbNSD_35transform_pair_of_input_iterators_tIbNS6_6detail15normal_iteratorINS6_10device_ptrIKiEEEESL_NS6_8equal_toIiEEEENSG_9not_fun_tINSD_8identityEEEEENSD_19counting_iterator_tIlEES8_S8_S8_S8_S8_S8_S8_S8_EEEEPS9_S9_NSD_9__find_if7functorIS9_EEEE10hipError_tPvRmT1_T2_T3_mT4_P12ihipStream_tbEUlT_E0_NS1_11comp_targetILNS1_3genE5ELNS1_11target_archE942ELNS1_3gpuE9ELNS1_3repE0EEENS1_30default_config_static_selectorELNS0_4arch9wavefront6targetE0EEEvS14_,"axG",@progbits,_ZN7rocprim17ROCPRIM_400000_NS6detail17trampoline_kernelINS0_14default_configENS1_22reduce_config_selectorIN6thrust23THRUST_200600_302600_NS5tupleIblNS6_9null_typeES8_S8_S8_S8_S8_S8_S8_EEEEZNS1_11reduce_implILb1ES3_NS6_12zip_iteratorINS7_INS6_11hip_rocprim26transform_input_iterator_tIbNSD_35transform_pair_of_input_iterators_tIbNS6_6detail15normal_iteratorINS6_10device_ptrIKiEEEESL_NS6_8equal_toIiEEEENSG_9not_fun_tINSD_8identityEEEEENSD_19counting_iterator_tIlEES8_S8_S8_S8_S8_S8_S8_S8_EEEEPS9_S9_NSD_9__find_if7functorIS9_EEEE10hipError_tPvRmT1_T2_T3_mT4_P12ihipStream_tbEUlT_E0_NS1_11comp_targetILNS1_3genE5ELNS1_11target_archE942ELNS1_3gpuE9ELNS1_3repE0EEENS1_30default_config_static_selectorELNS0_4arch9wavefront6targetE0EEEvS14_,comdat
.Lfunc_end262:
	.size	_ZN7rocprim17ROCPRIM_400000_NS6detail17trampoline_kernelINS0_14default_configENS1_22reduce_config_selectorIN6thrust23THRUST_200600_302600_NS5tupleIblNS6_9null_typeES8_S8_S8_S8_S8_S8_S8_EEEEZNS1_11reduce_implILb1ES3_NS6_12zip_iteratorINS7_INS6_11hip_rocprim26transform_input_iterator_tIbNSD_35transform_pair_of_input_iterators_tIbNS6_6detail15normal_iteratorINS6_10device_ptrIKiEEEESL_NS6_8equal_toIiEEEENSG_9not_fun_tINSD_8identityEEEEENSD_19counting_iterator_tIlEES8_S8_S8_S8_S8_S8_S8_S8_EEEEPS9_S9_NSD_9__find_if7functorIS9_EEEE10hipError_tPvRmT1_T2_T3_mT4_P12ihipStream_tbEUlT_E0_NS1_11comp_targetILNS1_3genE5ELNS1_11target_archE942ELNS1_3gpuE9ELNS1_3repE0EEENS1_30default_config_static_selectorELNS0_4arch9wavefront6targetE0EEEvS14_, .Lfunc_end262-_ZN7rocprim17ROCPRIM_400000_NS6detail17trampoline_kernelINS0_14default_configENS1_22reduce_config_selectorIN6thrust23THRUST_200600_302600_NS5tupleIblNS6_9null_typeES8_S8_S8_S8_S8_S8_S8_EEEEZNS1_11reduce_implILb1ES3_NS6_12zip_iteratorINS7_INS6_11hip_rocprim26transform_input_iterator_tIbNSD_35transform_pair_of_input_iterators_tIbNS6_6detail15normal_iteratorINS6_10device_ptrIKiEEEESL_NS6_8equal_toIiEEEENSG_9not_fun_tINSD_8identityEEEEENSD_19counting_iterator_tIlEES8_S8_S8_S8_S8_S8_S8_S8_EEEEPS9_S9_NSD_9__find_if7functorIS9_EEEE10hipError_tPvRmT1_T2_T3_mT4_P12ihipStream_tbEUlT_E0_NS1_11comp_targetILNS1_3genE5ELNS1_11target_archE942ELNS1_3gpuE9ELNS1_3repE0EEENS1_30default_config_static_selectorELNS0_4arch9wavefront6targetE0EEEvS14_
                                        ; -- End function
	.set _ZN7rocprim17ROCPRIM_400000_NS6detail17trampoline_kernelINS0_14default_configENS1_22reduce_config_selectorIN6thrust23THRUST_200600_302600_NS5tupleIblNS6_9null_typeES8_S8_S8_S8_S8_S8_S8_EEEEZNS1_11reduce_implILb1ES3_NS6_12zip_iteratorINS7_INS6_11hip_rocprim26transform_input_iterator_tIbNSD_35transform_pair_of_input_iterators_tIbNS6_6detail15normal_iteratorINS6_10device_ptrIKiEEEESL_NS6_8equal_toIiEEEENSG_9not_fun_tINSD_8identityEEEEENSD_19counting_iterator_tIlEES8_S8_S8_S8_S8_S8_S8_S8_EEEEPS9_S9_NSD_9__find_if7functorIS9_EEEE10hipError_tPvRmT1_T2_T3_mT4_P12ihipStream_tbEUlT_E0_NS1_11comp_targetILNS1_3genE5ELNS1_11target_archE942ELNS1_3gpuE9ELNS1_3repE0EEENS1_30default_config_static_selectorELNS0_4arch9wavefront6targetE0EEEvS14_.num_vgpr, 0
	.set _ZN7rocprim17ROCPRIM_400000_NS6detail17trampoline_kernelINS0_14default_configENS1_22reduce_config_selectorIN6thrust23THRUST_200600_302600_NS5tupleIblNS6_9null_typeES8_S8_S8_S8_S8_S8_S8_EEEEZNS1_11reduce_implILb1ES3_NS6_12zip_iteratorINS7_INS6_11hip_rocprim26transform_input_iterator_tIbNSD_35transform_pair_of_input_iterators_tIbNS6_6detail15normal_iteratorINS6_10device_ptrIKiEEEESL_NS6_8equal_toIiEEEENSG_9not_fun_tINSD_8identityEEEEENSD_19counting_iterator_tIlEES8_S8_S8_S8_S8_S8_S8_S8_EEEEPS9_S9_NSD_9__find_if7functorIS9_EEEE10hipError_tPvRmT1_T2_T3_mT4_P12ihipStream_tbEUlT_E0_NS1_11comp_targetILNS1_3genE5ELNS1_11target_archE942ELNS1_3gpuE9ELNS1_3repE0EEENS1_30default_config_static_selectorELNS0_4arch9wavefront6targetE0EEEvS14_.num_agpr, 0
	.set _ZN7rocprim17ROCPRIM_400000_NS6detail17trampoline_kernelINS0_14default_configENS1_22reduce_config_selectorIN6thrust23THRUST_200600_302600_NS5tupleIblNS6_9null_typeES8_S8_S8_S8_S8_S8_S8_EEEEZNS1_11reduce_implILb1ES3_NS6_12zip_iteratorINS7_INS6_11hip_rocprim26transform_input_iterator_tIbNSD_35transform_pair_of_input_iterators_tIbNS6_6detail15normal_iteratorINS6_10device_ptrIKiEEEESL_NS6_8equal_toIiEEEENSG_9not_fun_tINSD_8identityEEEEENSD_19counting_iterator_tIlEES8_S8_S8_S8_S8_S8_S8_S8_EEEEPS9_S9_NSD_9__find_if7functorIS9_EEEE10hipError_tPvRmT1_T2_T3_mT4_P12ihipStream_tbEUlT_E0_NS1_11comp_targetILNS1_3genE5ELNS1_11target_archE942ELNS1_3gpuE9ELNS1_3repE0EEENS1_30default_config_static_selectorELNS0_4arch9wavefront6targetE0EEEvS14_.numbered_sgpr, 0
	.set _ZN7rocprim17ROCPRIM_400000_NS6detail17trampoline_kernelINS0_14default_configENS1_22reduce_config_selectorIN6thrust23THRUST_200600_302600_NS5tupleIblNS6_9null_typeES8_S8_S8_S8_S8_S8_S8_EEEEZNS1_11reduce_implILb1ES3_NS6_12zip_iteratorINS7_INS6_11hip_rocprim26transform_input_iterator_tIbNSD_35transform_pair_of_input_iterators_tIbNS6_6detail15normal_iteratorINS6_10device_ptrIKiEEEESL_NS6_8equal_toIiEEEENSG_9not_fun_tINSD_8identityEEEEENSD_19counting_iterator_tIlEES8_S8_S8_S8_S8_S8_S8_S8_EEEEPS9_S9_NSD_9__find_if7functorIS9_EEEE10hipError_tPvRmT1_T2_T3_mT4_P12ihipStream_tbEUlT_E0_NS1_11comp_targetILNS1_3genE5ELNS1_11target_archE942ELNS1_3gpuE9ELNS1_3repE0EEENS1_30default_config_static_selectorELNS0_4arch9wavefront6targetE0EEEvS14_.num_named_barrier, 0
	.set _ZN7rocprim17ROCPRIM_400000_NS6detail17trampoline_kernelINS0_14default_configENS1_22reduce_config_selectorIN6thrust23THRUST_200600_302600_NS5tupleIblNS6_9null_typeES8_S8_S8_S8_S8_S8_S8_EEEEZNS1_11reduce_implILb1ES3_NS6_12zip_iteratorINS7_INS6_11hip_rocprim26transform_input_iterator_tIbNSD_35transform_pair_of_input_iterators_tIbNS6_6detail15normal_iteratorINS6_10device_ptrIKiEEEESL_NS6_8equal_toIiEEEENSG_9not_fun_tINSD_8identityEEEEENSD_19counting_iterator_tIlEES8_S8_S8_S8_S8_S8_S8_S8_EEEEPS9_S9_NSD_9__find_if7functorIS9_EEEE10hipError_tPvRmT1_T2_T3_mT4_P12ihipStream_tbEUlT_E0_NS1_11comp_targetILNS1_3genE5ELNS1_11target_archE942ELNS1_3gpuE9ELNS1_3repE0EEENS1_30default_config_static_selectorELNS0_4arch9wavefront6targetE0EEEvS14_.private_seg_size, 0
	.set _ZN7rocprim17ROCPRIM_400000_NS6detail17trampoline_kernelINS0_14default_configENS1_22reduce_config_selectorIN6thrust23THRUST_200600_302600_NS5tupleIblNS6_9null_typeES8_S8_S8_S8_S8_S8_S8_EEEEZNS1_11reduce_implILb1ES3_NS6_12zip_iteratorINS7_INS6_11hip_rocprim26transform_input_iterator_tIbNSD_35transform_pair_of_input_iterators_tIbNS6_6detail15normal_iteratorINS6_10device_ptrIKiEEEESL_NS6_8equal_toIiEEEENSG_9not_fun_tINSD_8identityEEEEENSD_19counting_iterator_tIlEES8_S8_S8_S8_S8_S8_S8_S8_EEEEPS9_S9_NSD_9__find_if7functorIS9_EEEE10hipError_tPvRmT1_T2_T3_mT4_P12ihipStream_tbEUlT_E0_NS1_11comp_targetILNS1_3genE5ELNS1_11target_archE942ELNS1_3gpuE9ELNS1_3repE0EEENS1_30default_config_static_selectorELNS0_4arch9wavefront6targetE0EEEvS14_.uses_vcc, 0
	.set _ZN7rocprim17ROCPRIM_400000_NS6detail17trampoline_kernelINS0_14default_configENS1_22reduce_config_selectorIN6thrust23THRUST_200600_302600_NS5tupleIblNS6_9null_typeES8_S8_S8_S8_S8_S8_S8_EEEEZNS1_11reduce_implILb1ES3_NS6_12zip_iteratorINS7_INS6_11hip_rocprim26transform_input_iterator_tIbNSD_35transform_pair_of_input_iterators_tIbNS6_6detail15normal_iteratorINS6_10device_ptrIKiEEEESL_NS6_8equal_toIiEEEENSG_9not_fun_tINSD_8identityEEEEENSD_19counting_iterator_tIlEES8_S8_S8_S8_S8_S8_S8_S8_EEEEPS9_S9_NSD_9__find_if7functorIS9_EEEE10hipError_tPvRmT1_T2_T3_mT4_P12ihipStream_tbEUlT_E0_NS1_11comp_targetILNS1_3genE5ELNS1_11target_archE942ELNS1_3gpuE9ELNS1_3repE0EEENS1_30default_config_static_selectorELNS0_4arch9wavefront6targetE0EEEvS14_.uses_flat_scratch, 0
	.set _ZN7rocprim17ROCPRIM_400000_NS6detail17trampoline_kernelINS0_14default_configENS1_22reduce_config_selectorIN6thrust23THRUST_200600_302600_NS5tupleIblNS6_9null_typeES8_S8_S8_S8_S8_S8_S8_EEEEZNS1_11reduce_implILb1ES3_NS6_12zip_iteratorINS7_INS6_11hip_rocprim26transform_input_iterator_tIbNSD_35transform_pair_of_input_iterators_tIbNS6_6detail15normal_iteratorINS6_10device_ptrIKiEEEESL_NS6_8equal_toIiEEEENSG_9not_fun_tINSD_8identityEEEEENSD_19counting_iterator_tIlEES8_S8_S8_S8_S8_S8_S8_S8_EEEEPS9_S9_NSD_9__find_if7functorIS9_EEEE10hipError_tPvRmT1_T2_T3_mT4_P12ihipStream_tbEUlT_E0_NS1_11comp_targetILNS1_3genE5ELNS1_11target_archE942ELNS1_3gpuE9ELNS1_3repE0EEENS1_30default_config_static_selectorELNS0_4arch9wavefront6targetE0EEEvS14_.has_dyn_sized_stack, 0
	.set _ZN7rocprim17ROCPRIM_400000_NS6detail17trampoline_kernelINS0_14default_configENS1_22reduce_config_selectorIN6thrust23THRUST_200600_302600_NS5tupleIblNS6_9null_typeES8_S8_S8_S8_S8_S8_S8_EEEEZNS1_11reduce_implILb1ES3_NS6_12zip_iteratorINS7_INS6_11hip_rocprim26transform_input_iterator_tIbNSD_35transform_pair_of_input_iterators_tIbNS6_6detail15normal_iteratorINS6_10device_ptrIKiEEEESL_NS6_8equal_toIiEEEENSG_9not_fun_tINSD_8identityEEEEENSD_19counting_iterator_tIlEES8_S8_S8_S8_S8_S8_S8_S8_EEEEPS9_S9_NSD_9__find_if7functorIS9_EEEE10hipError_tPvRmT1_T2_T3_mT4_P12ihipStream_tbEUlT_E0_NS1_11comp_targetILNS1_3genE5ELNS1_11target_archE942ELNS1_3gpuE9ELNS1_3repE0EEENS1_30default_config_static_selectorELNS0_4arch9wavefront6targetE0EEEvS14_.has_recursion, 0
	.set _ZN7rocprim17ROCPRIM_400000_NS6detail17trampoline_kernelINS0_14default_configENS1_22reduce_config_selectorIN6thrust23THRUST_200600_302600_NS5tupleIblNS6_9null_typeES8_S8_S8_S8_S8_S8_S8_EEEEZNS1_11reduce_implILb1ES3_NS6_12zip_iteratorINS7_INS6_11hip_rocprim26transform_input_iterator_tIbNSD_35transform_pair_of_input_iterators_tIbNS6_6detail15normal_iteratorINS6_10device_ptrIKiEEEESL_NS6_8equal_toIiEEEENSG_9not_fun_tINSD_8identityEEEEENSD_19counting_iterator_tIlEES8_S8_S8_S8_S8_S8_S8_S8_EEEEPS9_S9_NSD_9__find_if7functorIS9_EEEE10hipError_tPvRmT1_T2_T3_mT4_P12ihipStream_tbEUlT_E0_NS1_11comp_targetILNS1_3genE5ELNS1_11target_archE942ELNS1_3gpuE9ELNS1_3repE0EEENS1_30default_config_static_selectorELNS0_4arch9wavefront6targetE0EEEvS14_.has_indirect_call, 0
	.section	.AMDGPU.csdata,"",@progbits
; Kernel info:
; codeLenInByte = 0
; TotalNumSgprs: 0
; NumVgprs: 0
; ScratchSize: 0
; MemoryBound: 0
; FloatMode: 240
; IeeeMode: 1
; LDSByteSize: 0 bytes/workgroup (compile time only)
; SGPRBlocks: 0
; VGPRBlocks: 0
; NumSGPRsForWavesPerEU: 1
; NumVGPRsForWavesPerEU: 1
; NamedBarCnt: 0
; Occupancy: 16
; WaveLimiterHint : 0
; COMPUTE_PGM_RSRC2:SCRATCH_EN: 0
; COMPUTE_PGM_RSRC2:USER_SGPR: 2
; COMPUTE_PGM_RSRC2:TRAP_HANDLER: 0
; COMPUTE_PGM_RSRC2:TGID_X_EN: 1
; COMPUTE_PGM_RSRC2:TGID_Y_EN: 0
; COMPUTE_PGM_RSRC2:TGID_Z_EN: 0
; COMPUTE_PGM_RSRC2:TIDIG_COMP_CNT: 0
	.section	.text._ZN7rocprim17ROCPRIM_400000_NS6detail17trampoline_kernelINS0_14default_configENS1_22reduce_config_selectorIN6thrust23THRUST_200600_302600_NS5tupleIblNS6_9null_typeES8_S8_S8_S8_S8_S8_S8_EEEEZNS1_11reduce_implILb1ES3_NS6_12zip_iteratorINS7_INS6_11hip_rocprim26transform_input_iterator_tIbNSD_35transform_pair_of_input_iterators_tIbNS6_6detail15normal_iteratorINS6_10device_ptrIKiEEEESL_NS6_8equal_toIiEEEENSG_9not_fun_tINSD_8identityEEEEENSD_19counting_iterator_tIlEES8_S8_S8_S8_S8_S8_S8_S8_EEEEPS9_S9_NSD_9__find_if7functorIS9_EEEE10hipError_tPvRmT1_T2_T3_mT4_P12ihipStream_tbEUlT_E0_NS1_11comp_targetILNS1_3genE4ELNS1_11target_archE910ELNS1_3gpuE8ELNS1_3repE0EEENS1_30default_config_static_selectorELNS0_4arch9wavefront6targetE0EEEvS14_,"axG",@progbits,_ZN7rocprim17ROCPRIM_400000_NS6detail17trampoline_kernelINS0_14default_configENS1_22reduce_config_selectorIN6thrust23THRUST_200600_302600_NS5tupleIblNS6_9null_typeES8_S8_S8_S8_S8_S8_S8_EEEEZNS1_11reduce_implILb1ES3_NS6_12zip_iteratorINS7_INS6_11hip_rocprim26transform_input_iterator_tIbNSD_35transform_pair_of_input_iterators_tIbNS6_6detail15normal_iteratorINS6_10device_ptrIKiEEEESL_NS6_8equal_toIiEEEENSG_9not_fun_tINSD_8identityEEEEENSD_19counting_iterator_tIlEES8_S8_S8_S8_S8_S8_S8_S8_EEEEPS9_S9_NSD_9__find_if7functorIS9_EEEE10hipError_tPvRmT1_T2_T3_mT4_P12ihipStream_tbEUlT_E0_NS1_11comp_targetILNS1_3genE4ELNS1_11target_archE910ELNS1_3gpuE8ELNS1_3repE0EEENS1_30default_config_static_selectorELNS0_4arch9wavefront6targetE0EEEvS14_,comdat
	.protected	_ZN7rocprim17ROCPRIM_400000_NS6detail17trampoline_kernelINS0_14default_configENS1_22reduce_config_selectorIN6thrust23THRUST_200600_302600_NS5tupleIblNS6_9null_typeES8_S8_S8_S8_S8_S8_S8_EEEEZNS1_11reduce_implILb1ES3_NS6_12zip_iteratorINS7_INS6_11hip_rocprim26transform_input_iterator_tIbNSD_35transform_pair_of_input_iterators_tIbNS6_6detail15normal_iteratorINS6_10device_ptrIKiEEEESL_NS6_8equal_toIiEEEENSG_9not_fun_tINSD_8identityEEEEENSD_19counting_iterator_tIlEES8_S8_S8_S8_S8_S8_S8_S8_EEEEPS9_S9_NSD_9__find_if7functorIS9_EEEE10hipError_tPvRmT1_T2_T3_mT4_P12ihipStream_tbEUlT_E0_NS1_11comp_targetILNS1_3genE4ELNS1_11target_archE910ELNS1_3gpuE8ELNS1_3repE0EEENS1_30default_config_static_selectorELNS0_4arch9wavefront6targetE0EEEvS14_ ; -- Begin function _ZN7rocprim17ROCPRIM_400000_NS6detail17trampoline_kernelINS0_14default_configENS1_22reduce_config_selectorIN6thrust23THRUST_200600_302600_NS5tupleIblNS6_9null_typeES8_S8_S8_S8_S8_S8_S8_EEEEZNS1_11reduce_implILb1ES3_NS6_12zip_iteratorINS7_INS6_11hip_rocprim26transform_input_iterator_tIbNSD_35transform_pair_of_input_iterators_tIbNS6_6detail15normal_iteratorINS6_10device_ptrIKiEEEESL_NS6_8equal_toIiEEEENSG_9not_fun_tINSD_8identityEEEEENSD_19counting_iterator_tIlEES8_S8_S8_S8_S8_S8_S8_S8_EEEEPS9_S9_NSD_9__find_if7functorIS9_EEEE10hipError_tPvRmT1_T2_T3_mT4_P12ihipStream_tbEUlT_E0_NS1_11comp_targetILNS1_3genE4ELNS1_11target_archE910ELNS1_3gpuE8ELNS1_3repE0EEENS1_30default_config_static_selectorELNS0_4arch9wavefront6targetE0EEEvS14_
	.globl	_ZN7rocprim17ROCPRIM_400000_NS6detail17trampoline_kernelINS0_14default_configENS1_22reduce_config_selectorIN6thrust23THRUST_200600_302600_NS5tupleIblNS6_9null_typeES8_S8_S8_S8_S8_S8_S8_EEEEZNS1_11reduce_implILb1ES3_NS6_12zip_iteratorINS7_INS6_11hip_rocprim26transform_input_iterator_tIbNSD_35transform_pair_of_input_iterators_tIbNS6_6detail15normal_iteratorINS6_10device_ptrIKiEEEESL_NS6_8equal_toIiEEEENSG_9not_fun_tINSD_8identityEEEEENSD_19counting_iterator_tIlEES8_S8_S8_S8_S8_S8_S8_S8_EEEEPS9_S9_NSD_9__find_if7functorIS9_EEEE10hipError_tPvRmT1_T2_T3_mT4_P12ihipStream_tbEUlT_E0_NS1_11comp_targetILNS1_3genE4ELNS1_11target_archE910ELNS1_3gpuE8ELNS1_3repE0EEENS1_30default_config_static_selectorELNS0_4arch9wavefront6targetE0EEEvS14_
	.p2align	8
	.type	_ZN7rocprim17ROCPRIM_400000_NS6detail17trampoline_kernelINS0_14default_configENS1_22reduce_config_selectorIN6thrust23THRUST_200600_302600_NS5tupleIblNS6_9null_typeES8_S8_S8_S8_S8_S8_S8_EEEEZNS1_11reduce_implILb1ES3_NS6_12zip_iteratorINS7_INS6_11hip_rocprim26transform_input_iterator_tIbNSD_35transform_pair_of_input_iterators_tIbNS6_6detail15normal_iteratorINS6_10device_ptrIKiEEEESL_NS6_8equal_toIiEEEENSG_9not_fun_tINSD_8identityEEEEENSD_19counting_iterator_tIlEES8_S8_S8_S8_S8_S8_S8_S8_EEEEPS9_S9_NSD_9__find_if7functorIS9_EEEE10hipError_tPvRmT1_T2_T3_mT4_P12ihipStream_tbEUlT_E0_NS1_11comp_targetILNS1_3genE4ELNS1_11target_archE910ELNS1_3gpuE8ELNS1_3repE0EEENS1_30default_config_static_selectorELNS0_4arch9wavefront6targetE0EEEvS14_,@function
_ZN7rocprim17ROCPRIM_400000_NS6detail17trampoline_kernelINS0_14default_configENS1_22reduce_config_selectorIN6thrust23THRUST_200600_302600_NS5tupleIblNS6_9null_typeES8_S8_S8_S8_S8_S8_S8_EEEEZNS1_11reduce_implILb1ES3_NS6_12zip_iteratorINS7_INS6_11hip_rocprim26transform_input_iterator_tIbNSD_35transform_pair_of_input_iterators_tIbNS6_6detail15normal_iteratorINS6_10device_ptrIKiEEEESL_NS6_8equal_toIiEEEENSG_9not_fun_tINSD_8identityEEEEENSD_19counting_iterator_tIlEES8_S8_S8_S8_S8_S8_S8_S8_EEEEPS9_S9_NSD_9__find_if7functorIS9_EEEE10hipError_tPvRmT1_T2_T3_mT4_P12ihipStream_tbEUlT_E0_NS1_11comp_targetILNS1_3genE4ELNS1_11target_archE910ELNS1_3gpuE8ELNS1_3repE0EEENS1_30default_config_static_selectorELNS0_4arch9wavefront6targetE0EEEvS14_: ; @_ZN7rocprim17ROCPRIM_400000_NS6detail17trampoline_kernelINS0_14default_configENS1_22reduce_config_selectorIN6thrust23THRUST_200600_302600_NS5tupleIblNS6_9null_typeES8_S8_S8_S8_S8_S8_S8_EEEEZNS1_11reduce_implILb1ES3_NS6_12zip_iteratorINS7_INS6_11hip_rocprim26transform_input_iterator_tIbNSD_35transform_pair_of_input_iterators_tIbNS6_6detail15normal_iteratorINS6_10device_ptrIKiEEEESL_NS6_8equal_toIiEEEENSG_9not_fun_tINSD_8identityEEEEENSD_19counting_iterator_tIlEES8_S8_S8_S8_S8_S8_S8_S8_EEEEPS9_S9_NSD_9__find_if7functorIS9_EEEE10hipError_tPvRmT1_T2_T3_mT4_P12ihipStream_tbEUlT_E0_NS1_11comp_targetILNS1_3genE4ELNS1_11target_archE910ELNS1_3gpuE8ELNS1_3repE0EEENS1_30default_config_static_selectorELNS0_4arch9wavefront6targetE0EEEvS14_
; %bb.0:
	.section	.rodata,"a",@progbits
	.p2align	6, 0x0
	.amdhsa_kernel _ZN7rocprim17ROCPRIM_400000_NS6detail17trampoline_kernelINS0_14default_configENS1_22reduce_config_selectorIN6thrust23THRUST_200600_302600_NS5tupleIblNS6_9null_typeES8_S8_S8_S8_S8_S8_S8_EEEEZNS1_11reduce_implILb1ES3_NS6_12zip_iteratorINS7_INS6_11hip_rocprim26transform_input_iterator_tIbNSD_35transform_pair_of_input_iterators_tIbNS6_6detail15normal_iteratorINS6_10device_ptrIKiEEEESL_NS6_8equal_toIiEEEENSG_9not_fun_tINSD_8identityEEEEENSD_19counting_iterator_tIlEES8_S8_S8_S8_S8_S8_S8_S8_EEEEPS9_S9_NSD_9__find_if7functorIS9_EEEE10hipError_tPvRmT1_T2_T3_mT4_P12ihipStream_tbEUlT_E0_NS1_11comp_targetILNS1_3genE4ELNS1_11target_archE910ELNS1_3gpuE8ELNS1_3repE0EEENS1_30default_config_static_selectorELNS0_4arch9wavefront6targetE0EEEvS14_
		.amdhsa_group_segment_fixed_size 0
		.amdhsa_private_segment_fixed_size 0
		.amdhsa_kernarg_size 104
		.amdhsa_user_sgpr_count 2
		.amdhsa_user_sgpr_dispatch_ptr 0
		.amdhsa_user_sgpr_queue_ptr 0
		.amdhsa_user_sgpr_kernarg_segment_ptr 1
		.amdhsa_user_sgpr_dispatch_id 0
		.amdhsa_user_sgpr_kernarg_preload_length 0
		.amdhsa_user_sgpr_kernarg_preload_offset 0
		.amdhsa_user_sgpr_private_segment_size 0
		.amdhsa_wavefront_size32 1
		.amdhsa_uses_dynamic_stack 0
		.amdhsa_enable_private_segment 0
		.amdhsa_system_sgpr_workgroup_id_x 1
		.amdhsa_system_sgpr_workgroup_id_y 0
		.amdhsa_system_sgpr_workgroup_id_z 0
		.amdhsa_system_sgpr_workgroup_info 0
		.amdhsa_system_vgpr_workitem_id 0
		.amdhsa_next_free_vgpr 1
		.amdhsa_next_free_sgpr 1
		.amdhsa_named_barrier_count 0
		.amdhsa_reserve_vcc 0
		.amdhsa_float_round_mode_32 0
		.amdhsa_float_round_mode_16_64 0
		.amdhsa_float_denorm_mode_32 3
		.amdhsa_float_denorm_mode_16_64 3
		.amdhsa_fp16_overflow 0
		.amdhsa_memory_ordered 1
		.amdhsa_forward_progress 1
		.amdhsa_inst_pref_size 0
		.amdhsa_round_robin_scheduling 0
		.amdhsa_exception_fp_ieee_invalid_op 0
		.amdhsa_exception_fp_denorm_src 0
		.amdhsa_exception_fp_ieee_div_zero 0
		.amdhsa_exception_fp_ieee_overflow 0
		.amdhsa_exception_fp_ieee_underflow 0
		.amdhsa_exception_fp_ieee_inexact 0
		.amdhsa_exception_int_div_zero 0
	.end_amdhsa_kernel
	.section	.text._ZN7rocprim17ROCPRIM_400000_NS6detail17trampoline_kernelINS0_14default_configENS1_22reduce_config_selectorIN6thrust23THRUST_200600_302600_NS5tupleIblNS6_9null_typeES8_S8_S8_S8_S8_S8_S8_EEEEZNS1_11reduce_implILb1ES3_NS6_12zip_iteratorINS7_INS6_11hip_rocprim26transform_input_iterator_tIbNSD_35transform_pair_of_input_iterators_tIbNS6_6detail15normal_iteratorINS6_10device_ptrIKiEEEESL_NS6_8equal_toIiEEEENSG_9not_fun_tINSD_8identityEEEEENSD_19counting_iterator_tIlEES8_S8_S8_S8_S8_S8_S8_S8_EEEEPS9_S9_NSD_9__find_if7functorIS9_EEEE10hipError_tPvRmT1_T2_T3_mT4_P12ihipStream_tbEUlT_E0_NS1_11comp_targetILNS1_3genE4ELNS1_11target_archE910ELNS1_3gpuE8ELNS1_3repE0EEENS1_30default_config_static_selectorELNS0_4arch9wavefront6targetE0EEEvS14_,"axG",@progbits,_ZN7rocprim17ROCPRIM_400000_NS6detail17trampoline_kernelINS0_14default_configENS1_22reduce_config_selectorIN6thrust23THRUST_200600_302600_NS5tupleIblNS6_9null_typeES8_S8_S8_S8_S8_S8_S8_EEEEZNS1_11reduce_implILb1ES3_NS6_12zip_iteratorINS7_INS6_11hip_rocprim26transform_input_iterator_tIbNSD_35transform_pair_of_input_iterators_tIbNS6_6detail15normal_iteratorINS6_10device_ptrIKiEEEESL_NS6_8equal_toIiEEEENSG_9not_fun_tINSD_8identityEEEEENSD_19counting_iterator_tIlEES8_S8_S8_S8_S8_S8_S8_S8_EEEEPS9_S9_NSD_9__find_if7functorIS9_EEEE10hipError_tPvRmT1_T2_T3_mT4_P12ihipStream_tbEUlT_E0_NS1_11comp_targetILNS1_3genE4ELNS1_11target_archE910ELNS1_3gpuE8ELNS1_3repE0EEENS1_30default_config_static_selectorELNS0_4arch9wavefront6targetE0EEEvS14_,comdat
.Lfunc_end263:
	.size	_ZN7rocprim17ROCPRIM_400000_NS6detail17trampoline_kernelINS0_14default_configENS1_22reduce_config_selectorIN6thrust23THRUST_200600_302600_NS5tupleIblNS6_9null_typeES8_S8_S8_S8_S8_S8_S8_EEEEZNS1_11reduce_implILb1ES3_NS6_12zip_iteratorINS7_INS6_11hip_rocprim26transform_input_iterator_tIbNSD_35transform_pair_of_input_iterators_tIbNS6_6detail15normal_iteratorINS6_10device_ptrIKiEEEESL_NS6_8equal_toIiEEEENSG_9not_fun_tINSD_8identityEEEEENSD_19counting_iterator_tIlEES8_S8_S8_S8_S8_S8_S8_S8_EEEEPS9_S9_NSD_9__find_if7functorIS9_EEEE10hipError_tPvRmT1_T2_T3_mT4_P12ihipStream_tbEUlT_E0_NS1_11comp_targetILNS1_3genE4ELNS1_11target_archE910ELNS1_3gpuE8ELNS1_3repE0EEENS1_30default_config_static_selectorELNS0_4arch9wavefront6targetE0EEEvS14_, .Lfunc_end263-_ZN7rocprim17ROCPRIM_400000_NS6detail17trampoline_kernelINS0_14default_configENS1_22reduce_config_selectorIN6thrust23THRUST_200600_302600_NS5tupleIblNS6_9null_typeES8_S8_S8_S8_S8_S8_S8_EEEEZNS1_11reduce_implILb1ES3_NS6_12zip_iteratorINS7_INS6_11hip_rocprim26transform_input_iterator_tIbNSD_35transform_pair_of_input_iterators_tIbNS6_6detail15normal_iteratorINS6_10device_ptrIKiEEEESL_NS6_8equal_toIiEEEENSG_9not_fun_tINSD_8identityEEEEENSD_19counting_iterator_tIlEES8_S8_S8_S8_S8_S8_S8_S8_EEEEPS9_S9_NSD_9__find_if7functorIS9_EEEE10hipError_tPvRmT1_T2_T3_mT4_P12ihipStream_tbEUlT_E0_NS1_11comp_targetILNS1_3genE4ELNS1_11target_archE910ELNS1_3gpuE8ELNS1_3repE0EEENS1_30default_config_static_selectorELNS0_4arch9wavefront6targetE0EEEvS14_
                                        ; -- End function
	.set _ZN7rocprim17ROCPRIM_400000_NS6detail17trampoline_kernelINS0_14default_configENS1_22reduce_config_selectorIN6thrust23THRUST_200600_302600_NS5tupleIblNS6_9null_typeES8_S8_S8_S8_S8_S8_S8_EEEEZNS1_11reduce_implILb1ES3_NS6_12zip_iteratorINS7_INS6_11hip_rocprim26transform_input_iterator_tIbNSD_35transform_pair_of_input_iterators_tIbNS6_6detail15normal_iteratorINS6_10device_ptrIKiEEEESL_NS6_8equal_toIiEEEENSG_9not_fun_tINSD_8identityEEEEENSD_19counting_iterator_tIlEES8_S8_S8_S8_S8_S8_S8_S8_EEEEPS9_S9_NSD_9__find_if7functorIS9_EEEE10hipError_tPvRmT1_T2_T3_mT4_P12ihipStream_tbEUlT_E0_NS1_11comp_targetILNS1_3genE4ELNS1_11target_archE910ELNS1_3gpuE8ELNS1_3repE0EEENS1_30default_config_static_selectorELNS0_4arch9wavefront6targetE0EEEvS14_.num_vgpr, 0
	.set _ZN7rocprim17ROCPRIM_400000_NS6detail17trampoline_kernelINS0_14default_configENS1_22reduce_config_selectorIN6thrust23THRUST_200600_302600_NS5tupleIblNS6_9null_typeES8_S8_S8_S8_S8_S8_S8_EEEEZNS1_11reduce_implILb1ES3_NS6_12zip_iteratorINS7_INS6_11hip_rocprim26transform_input_iterator_tIbNSD_35transform_pair_of_input_iterators_tIbNS6_6detail15normal_iteratorINS6_10device_ptrIKiEEEESL_NS6_8equal_toIiEEEENSG_9not_fun_tINSD_8identityEEEEENSD_19counting_iterator_tIlEES8_S8_S8_S8_S8_S8_S8_S8_EEEEPS9_S9_NSD_9__find_if7functorIS9_EEEE10hipError_tPvRmT1_T2_T3_mT4_P12ihipStream_tbEUlT_E0_NS1_11comp_targetILNS1_3genE4ELNS1_11target_archE910ELNS1_3gpuE8ELNS1_3repE0EEENS1_30default_config_static_selectorELNS0_4arch9wavefront6targetE0EEEvS14_.num_agpr, 0
	.set _ZN7rocprim17ROCPRIM_400000_NS6detail17trampoline_kernelINS0_14default_configENS1_22reduce_config_selectorIN6thrust23THRUST_200600_302600_NS5tupleIblNS6_9null_typeES8_S8_S8_S8_S8_S8_S8_EEEEZNS1_11reduce_implILb1ES3_NS6_12zip_iteratorINS7_INS6_11hip_rocprim26transform_input_iterator_tIbNSD_35transform_pair_of_input_iterators_tIbNS6_6detail15normal_iteratorINS6_10device_ptrIKiEEEESL_NS6_8equal_toIiEEEENSG_9not_fun_tINSD_8identityEEEEENSD_19counting_iterator_tIlEES8_S8_S8_S8_S8_S8_S8_S8_EEEEPS9_S9_NSD_9__find_if7functorIS9_EEEE10hipError_tPvRmT1_T2_T3_mT4_P12ihipStream_tbEUlT_E0_NS1_11comp_targetILNS1_3genE4ELNS1_11target_archE910ELNS1_3gpuE8ELNS1_3repE0EEENS1_30default_config_static_selectorELNS0_4arch9wavefront6targetE0EEEvS14_.numbered_sgpr, 0
	.set _ZN7rocprim17ROCPRIM_400000_NS6detail17trampoline_kernelINS0_14default_configENS1_22reduce_config_selectorIN6thrust23THRUST_200600_302600_NS5tupleIblNS6_9null_typeES8_S8_S8_S8_S8_S8_S8_EEEEZNS1_11reduce_implILb1ES3_NS6_12zip_iteratorINS7_INS6_11hip_rocprim26transform_input_iterator_tIbNSD_35transform_pair_of_input_iterators_tIbNS6_6detail15normal_iteratorINS6_10device_ptrIKiEEEESL_NS6_8equal_toIiEEEENSG_9not_fun_tINSD_8identityEEEEENSD_19counting_iterator_tIlEES8_S8_S8_S8_S8_S8_S8_S8_EEEEPS9_S9_NSD_9__find_if7functorIS9_EEEE10hipError_tPvRmT1_T2_T3_mT4_P12ihipStream_tbEUlT_E0_NS1_11comp_targetILNS1_3genE4ELNS1_11target_archE910ELNS1_3gpuE8ELNS1_3repE0EEENS1_30default_config_static_selectorELNS0_4arch9wavefront6targetE0EEEvS14_.num_named_barrier, 0
	.set _ZN7rocprim17ROCPRIM_400000_NS6detail17trampoline_kernelINS0_14default_configENS1_22reduce_config_selectorIN6thrust23THRUST_200600_302600_NS5tupleIblNS6_9null_typeES8_S8_S8_S8_S8_S8_S8_EEEEZNS1_11reduce_implILb1ES3_NS6_12zip_iteratorINS7_INS6_11hip_rocprim26transform_input_iterator_tIbNSD_35transform_pair_of_input_iterators_tIbNS6_6detail15normal_iteratorINS6_10device_ptrIKiEEEESL_NS6_8equal_toIiEEEENSG_9not_fun_tINSD_8identityEEEEENSD_19counting_iterator_tIlEES8_S8_S8_S8_S8_S8_S8_S8_EEEEPS9_S9_NSD_9__find_if7functorIS9_EEEE10hipError_tPvRmT1_T2_T3_mT4_P12ihipStream_tbEUlT_E0_NS1_11comp_targetILNS1_3genE4ELNS1_11target_archE910ELNS1_3gpuE8ELNS1_3repE0EEENS1_30default_config_static_selectorELNS0_4arch9wavefront6targetE0EEEvS14_.private_seg_size, 0
	.set _ZN7rocprim17ROCPRIM_400000_NS6detail17trampoline_kernelINS0_14default_configENS1_22reduce_config_selectorIN6thrust23THRUST_200600_302600_NS5tupleIblNS6_9null_typeES8_S8_S8_S8_S8_S8_S8_EEEEZNS1_11reduce_implILb1ES3_NS6_12zip_iteratorINS7_INS6_11hip_rocprim26transform_input_iterator_tIbNSD_35transform_pair_of_input_iterators_tIbNS6_6detail15normal_iteratorINS6_10device_ptrIKiEEEESL_NS6_8equal_toIiEEEENSG_9not_fun_tINSD_8identityEEEEENSD_19counting_iterator_tIlEES8_S8_S8_S8_S8_S8_S8_S8_EEEEPS9_S9_NSD_9__find_if7functorIS9_EEEE10hipError_tPvRmT1_T2_T3_mT4_P12ihipStream_tbEUlT_E0_NS1_11comp_targetILNS1_3genE4ELNS1_11target_archE910ELNS1_3gpuE8ELNS1_3repE0EEENS1_30default_config_static_selectorELNS0_4arch9wavefront6targetE0EEEvS14_.uses_vcc, 0
	.set _ZN7rocprim17ROCPRIM_400000_NS6detail17trampoline_kernelINS0_14default_configENS1_22reduce_config_selectorIN6thrust23THRUST_200600_302600_NS5tupleIblNS6_9null_typeES8_S8_S8_S8_S8_S8_S8_EEEEZNS1_11reduce_implILb1ES3_NS6_12zip_iteratorINS7_INS6_11hip_rocprim26transform_input_iterator_tIbNSD_35transform_pair_of_input_iterators_tIbNS6_6detail15normal_iteratorINS6_10device_ptrIKiEEEESL_NS6_8equal_toIiEEEENSG_9not_fun_tINSD_8identityEEEEENSD_19counting_iterator_tIlEES8_S8_S8_S8_S8_S8_S8_S8_EEEEPS9_S9_NSD_9__find_if7functorIS9_EEEE10hipError_tPvRmT1_T2_T3_mT4_P12ihipStream_tbEUlT_E0_NS1_11comp_targetILNS1_3genE4ELNS1_11target_archE910ELNS1_3gpuE8ELNS1_3repE0EEENS1_30default_config_static_selectorELNS0_4arch9wavefront6targetE0EEEvS14_.uses_flat_scratch, 0
	.set _ZN7rocprim17ROCPRIM_400000_NS6detail17trampoline_kernelINS0_14default_configENS1_22reduce_config_selectorIN6thrust23THRUST_200600_302600_NS5tupleIblNS6_9null_typeES8_S8_S8_S8_S8_S8_S8_EEEEZNS1_11reduce_implILb1ES3_NS6_12zip_iteratorINS7_INS6_11hip_rocprim26transform_input_iterator_tIbNSD_35transform_pair_of_input_iterators_tIbNS6_6detail15normal_iteratorINS6_10device_ptrIKiEEEESL_NS6_8equal_toIiEEEENSG_9not_fun_tINSD_8identityEEEEENSD_19counting_iterator_tIlEES8_S8_S8_S8_S8_S8_S8_S8_EEEEPS9_S9_NSD_9__find_if7functorIS9_EEEE10hipError_tPvRmT1_T2_T3_mT4_P12ihipStream_tbEUlT_E0_NS1_11comp_targetILNS1_3genE4ELNS1_11target_archE910ELNS1_3gpuE8ELNS1_3repE0EEENS1_30default_config_static_selectorELNS0_4arch9wavefront6targetE0EEEvS14_.has_dyn_sized_stack, 0
	.set _ZN7rocprim17ROCPRIM_400000_NS6detail17trampoline_kernelINS0_14default_configENS1_22reduce_config_selectorIN6thrust23THRUST_200600_302600_NS5tupleIblNS6_9null_typeES8_S8_S8_S8_S8_S8_S8_EEEEZNS1_11reduce_implILb1ES3_NS6_12zip_iteratorINS7_INS6_11hip_rocprim26transform_input_iterator_tIbNSD_35transform_pair_of_input_iterators_tIbNS6_6detail15normal_iteratorINS6_10device_ptrIKiEEEESL_NS6_8equal_toIiEEEENSG_9not_fun_tINSD_8identityEEEEENSD_19counting_iterator_tIlEES8_S8_S8_S8_S8_S8_S8_S8_EEEEPS9_S9_NSD_9__find_if7functorIS9_EEEE10hipError_tPvRmT1_T2_T3_mT4_P12ihipStream_tbEUlT_E0_NS1_11comp_targetILNS1_3genE4ELNS1_11target_archE910ELNS1_3gpuE8ELNS1_3repE0EEENS1_30default_config_static_selectorELNS0_4arch9wavefront6targetE0EEEvS14_.has_recursion, 0
	.set _ZN7rocprim17ROCPRIM_400000_NS6detail17trampoline_kernelINS0_14default_configENS1_22reduce_config_selectorIN6thrust23THRUST_200600_302600_NS5tupleIblNS6_9null_typeES8_S8_S8_S8_S8_S8_S8_EEEEZNS1_11reduce_implILb1ES3_NS6_12zip_iteratorINS7_INS6_11hip_rocprim26transform_input_iterator_tIbNSD_35transform_pair_of_input_iterators_tIbNS6_6detail15normal_iteratorINS6_10device_ptrIKiEEEESL_NS6_8equal_toIiEEEENSG_9not_fun_tINSD_8identityEEEEENSD_19counting_iterator_tIlEES8_S8_S8_S8_S8_S8_S8_S8_EEEEPS9_S9_NSD_9__find_if7functorIS9_EEEE10hipError_tPvRmT1_T2_T3_mT4_P12ihipStream_tbEUlT_E0_NS1_11comp_targetILNS1_3genE4ELNS1_11target_archE910ELNS1_3gpuE8ELNS1_3repE0EEENS1_30default_config_static_selectorELNS0_4arch9wavefront6targetE0EEEvS14_.has_indirect_call, 0
	.section	.AMDGPU.csdata,"",@progbits
; Kernel info:
; codeLenInByte = 0
; TotalNumSgprs: 0
; NumVgprs: 0
; ScratchSize: 0
; MemoryBound: 0
; FloatMode: 240
; IeeeMode: 1
; LDSByteSize: 0 bytes/workgroup (compile time only)
; SGPRBlocks: 0
; VGPRBlocks: 0
; NumSGPRsForWavesPerEU: 1
; NumVGPRsForWavesPerEU: 1
; NamedBarCnt: 0
; Occupancy: 16
; WaveLimiterHint : 0
; COMPUTE_PGM_RSRC2:SCRATCH_EN: 0
; COMPUTE_PGM_RSRC2:USER_SGPR: 2
; COMPUTE_PGM_RSRC2:TRAP_HANDLER: 0
; COMPUTE_PGM_RSRC2:TGID_X_EN: 1
; COMPUTE_PGM_RSRC2:TGID_Y_EN: 0
; COMPUTE_PGM_RSRC2:TGID_Z_EN: 0
; COMPUTE_PGM_RSRC2:TIDIG_COMP_CNT: 0
	.section	.text._ZN7rocprim17ROCPRIM_400000_NS6detail17trampoline_kernelINS0_14default_configENS1_22reduce_config_selectorIN6thrust23THRUST_200600_302600_NS5tupleIblNS6_9null_typeES8_S8_S8_S8_S8_S8_S8_EEEEZNS1_11reduce_implILb1ES3_NS6_12zip_iteratorINS7_INS6_11hip_rocprim26transform_input_iterator_tIbNSD_35transform_pair_of_input_iterators_tIbNS6_6detail15normal_iteratorINS6_10device_ptrIKiEEEESL_NS6_8equal_toIiEEEENSG_9not_fun_tINSD_8identityEEEEENSD_19counting_iterator_tIlEES8_S8_S8_S8_S8_S8_S8_S8_EEEEPS9_S9_NSD_9__find_if7functorIS9_EEEE10hipError_tPvRmT1_T2_T3_mT4_P12ihipStream_tbEUlT_E0_NS1_11comp_targetILNS1_3genE3ELNS1_11target_archE908ELNS1_3gpuE7ELNS1_3repE0EEENS1_30default_config_static_selectorELNS0_4arch9wavefront6targetE0EEEvS14_,"axG",@progbits,_ZN7rocprim17ROCPRIM_400000_NS6detail17trampoline_kernelINS0_14default_configENS1_22reduce_config_selectorIN6thrust23THRUST_200600_302600_NS5tupleIblNS6_9null_typeES8_S8_S8_S8_S8_S8_S8_EEEEZNS1_11reduce_implILb1ES3_NS6_12zip_iteratorINS7_INS6_11hip_rocprim26transform_input_iterator_tIbNSD_35transform_pair_of_input_iterators_tIbNS6_6detail15normal_iteratorINS6_10device_ptrIKiEEEESL_NS6_8equal_toIiEEEENSG_9not_fun_tINSD_8identityEEEEENSD_19counting_iterator_tIlEES8_S8_S8_S8_S8_S8_S8_S8_EEEEPS9_S9_NSD_9__find_if7functorIS9_EEEE10hipError_tPvRmT1_T2_T3_mT4_P12ihipStream_tbEUlT_E0_NS1_11comp_targetILNS1_3genE3ELNS1_11target_archE908ELNS1_3gpuE7ELNS1_3repE0EEENS1_30default_config_static_selectorELNS0_4arch9wavefront6targetE0EEEvS14_,comdat
	.protected	_ZN7rocprim17ROCPRIM_400000_NS6detail17trampoline_kernelINS0_14default_configENS1_22reduce_config_selectorIN6thrust23THRUST_200600_302600_NS5tupleIblNS6_9null_typeES8_S8_S8_S8_S8_S8_S8_EEEEZNS1_11reduce_implILb1ES3_NS6_12zip_iteratorINS7_INS6_11hip_rocprim26transform_input_iterator_tIbNSD_35transform_pair_of_input_iterators_tIbNS6_6detail15normal_iteratorINS6_10device_ptrIKiEEEESL_NS6_8equal_toIiEEEENSG_9not_fun_tINSD_8identityEEEEENSD_19counting_iterator_tIlEES8_S8_S8_S8_S8_S8_S8_S8_EEEEPS9_S9_NSD_9__find_if7functorIS9_EEEE10hipError_tPvRmT1_T2_T3_mT4_P12ihipStream_tbEUlT_E0_NS1_11comp_targetILNS1_3genE3ELNS1_11target_archE908ELNS1_3gpuE7ELNS1_3repE0EEENS1_30default_config_static_selectorELNS0_4arch9wavefront6targetE0EEEvS14_ ; -- Begin function _ZN7rocprim17ROCPRIM_400000_NS6detail17trampoline_kernelINS0_14default_configENS1_22reduce_config_selectorIN6thrust23THRUST_200600_302600_NS5tupleIblNS6_9null_typeES8_S8_S8_S8_S8_S8_S8_EEEEZNS1_11reduce_implILb1ES3_NS6_12zip_iteratorINS7_INS6_11hip_rocprim26transform_input_iterator_tIbNSD_35transform_pair_of_input_iterators_tIbNS6_6detail15normal_iteratorINS6_10device_ptrIKiEEEESL_NS6_8equal_toIiEEEENSG_9not_fun_tINSD_8identityEEEEENSD_19counting_iterator_tIlEES8_S8_S8_S8_S8_S8_S8_S8_EEEEPS9_S9_NSD_9__find_if7functorIS9_EEEE10hipError_tPvRmT1_T2_T3_mT4_P12ihipStream_tbEUlT_E0_NS1_11comp_targetILNS1_3genE3ELNS1_11target_archE908ELNS1_3gpuE7ELNS1_3repE0EEENS1_30default_config_static_selectorELNS0_4arch9wavefront6targetE0EEEvS14_
	.globl	_ZN7rocprim17ROCPRIM_400000_NS6detail17trampoline_kernelINS0_14default_configENS1_22reduce_config_selectorIN6thrust23THRUST_200600_302600_NS5tupleIblNS6_9null_typeES8_S8_S8_S8_S8_S8_S8_EEEEZNS1_11reduce_implILb1ES3_NS6_12zip_iteratorINS7_INS6_11hip_rocprim26transform_input_iterator_tIbNSD_35transform_pair_of_input_iterators_tIbNS6_6detail15normal_iteratorINS6_10device_ptrIKiEEEESL_NS6_8equal_toIiEEEENSG_9not_fun_tINSD_8identityEEEEENSD_19counting_iterator_tIlEES8_S8_S8_S8_S8_S8_S8_S8_EEEEPS9_S9_NSD_9__find_if7functorIS9_EEEE10hipError_tPvRmT1_T2_T3_mT4_P12ihipStream_tbEUlT_E0_NS1_11comp_targetILNS1_3genE3ELNS1_11target_archE908ELNS1_3gpuE7ELNS1_3repE0EEENS1_30default_config_static_selectorELNS0_4arch9wavefront6targetE0EEEvS14_
	.p2align	8
	.type	_ZN7rocprim17ROCPRIM_400000_NS6detail17trampoline_kernelINS0_14default_configENS1_22reduce_config_selectorIN6thrust23THRUST_200600_302600_NS5tupleIblNS6_9null_typeES8_S8_S8_S8_S8_S8_S8_EEEEZNS1_11reduce_implILb1ES3_NS6_12zip_iteratorINS7_INS6_11hip_rocprim26transform_input_iterator_tIbNSD_35transform_pair_of_input_iterators_tIbNS6_6detail15normal_iteratorINS6_10device_ptrIKiEEEESL_NS6_8equal_toIiEEEENSG_9not_fun_tINSD_8identityEEEEENSD_19counting_iterator_tIlEES8_S8_S8_S8_S8_S8_S8_S8_EEEEPS9_S9_NSD_9__find_if7functorIS9_EEEE10hipError_tPvRmT1_T2_T3_mT4_P12ihipStream_tbEUlT_E0_NS1_11comp_targetILNS1_3genE3ELNS1_11target_archE908ELNS1_3gpuE7ELNS1_3repE0EEENS1_30default_config_static_selectorELNS0_4arch9wavefront6targetE0EEEvS14_,@function
_ZN7rocprim17ROCPRIM_400000_NS6detail17trampoline_kernelINS0_14default_configENS1_22reduce_config_selectorIN6thrust23THRUST_200600_302600_NS5tupleIblNS6_9null_typeES8_S8_S8_S8_S8_S8_S8_EEEEZNS1_11reduce_implILb1ES3_NS6_12zip_iteratorINS7_INS6_11hip_rocprim26transform_input_iterator_tIbNSD_35transform_pair_of_input_iterators_tIbNS6_6detail15normal_iteratorINS6_10device_ptrIKiEEEESL_NS6_8equal_toIiEEEENSG_9not_fun_tINSD_8identityEEEEENSD_19counting_iterator_tIlEES8_S8_S8_S8_S8_S8_S8_S8_EEEEPS9_S9_NSD_9__find_if7functorIS9_EEEE10hipError_tPvRmT1_T2_T3_mT4_P12ihipStream_tbEUlT_E0_NS1_11comp_targetILNS1_3genE3ELNS1_11target_archE908ELNS1_3gpuE7ELNS1_3repE0EEENS1_30default_config_static_selectorELNS0_4arch9wavefront6targetE0EEEvS14_: ; @_ZN7rocprim17ROCPRIM_400000_NS6detail17trampoline_kernelINS0_14default_configENS1_22reduce_config_selectorIN6thrust23THRUST_200600_302600_NS5tupleIblNS6_9null_typeES8_S8_S8_S8_S8_S8_S8_EEEEZNS1_11reduce_implILb1ES3_NS6_12zip_iteratorINS7_INS6_11hip_rocprim26transform_input_iterator_tIbNSD_35transform_pair_of_input_iterators_tIbNS6_6detail15normal_iteratorINS6_10device_ptrIKiEEEESL_NS6_8equal_toIiEEEENSG_9not_fun_tINSD_8identityEEEEENSD_19counting_iterator_tIlEES8_S8_S8_S8_S8_S8_S8_S8_EEEEPS9_S9_NSD_9__find_if7functorIS9_EEEE10hipError_tPvRmT1_T2_T3_mT4_P12ihipStream_tbEUlT_E0_NS1_11comp_targetILNS1_3genE3ELNS1_11target_archE908ELNS1_3gpuE7ELNS1_3repE0EEENS1_30default_config_static_selectorELNS0_4arch9wavefront6targetE0EEEvS14_
; %bb.0:
	.section	.rodata,"a",@progbits
	.p2align	6, 0x0
	.amdhsa_kernel _ZN7rocprim17ROCPRIM_400000_NS6detail17trampoline_kernelINS0_14default_configENS1_22reduce_config_selectorIN6thrust23THRUST_200600_302600_NS5tupleIblNS6_9null_typeES8_S8_S8_S8_S8_S8_S8_EEEEZNS1_11reduce_implILb1ES3_NS6_12zip_iteratorINS7_INS6_11hip_rocprim26transform_input_iterator_tIbNSD_35transform_pair_of_input_iterators_tIbNS6_6detail15normal_iteratorINS6_10device_ptrIKiEEEESL_NS6_8equal_toIiEEEENSG_9not_fun_tINSD_8identityEEEEENSD_19counting_iterator_tIlEES8_S8_S8_S8_S8_S8_S8_S8_EEEEPS9_S9_NSD_9__find_if7functorIS9_EEEE10hipError_tPvRmT1_T2_T3_mT4_P12ihipStream_tbEUlT_E0_NS1_11comp_targetILNS1_3genE3ELNS1_11target_archE908ELNS1_3gpuE7ELNS1_3repE0EEENS1_30default_config_static_selectorELNS0_4arch9wavefront6targetE0EEEvS14_
		.amdhsa_group_segment_fixed_size 0
		.amdhsa_private_segment_fixed_size 0
		.amdhsa_kernarg_size 104
		.amdhsa_user_sgpr_count 2
		.amdhsa_user_sgpr_dispatch_ptr 0
		.amdhsa_user_sgpr_queue_ptr 0
		.amdhsa_user_sgpr_kernarg_segment_ptr 1
		.amdhsa_user_sgpr_dispatch_id 0
		.amdhsa_user_sgpr_kernarg_preload_length 0
		.amdhsa_user_sgpr_kernarg_preload_offset 0
		.amdhsa_user_sgpr_private_segment_size 0
		.amdhsa_wavefront_size32 1
		.amdhsa_uses_dynamic_stack 0
		.amdhsa_enable_private_segment 0
		.amdhsa_system_sgpr_workgroup_id_x 1
		.amdhsa_system_sgpr_workgroup_id_y 0
		.amdhsa_system_sgpr_workgroup_id_z 0
		.amdhsa_system_sgpr_workgroup_info 0
		.amdhsa_system_vgpr_workitem_id 0
		.amdhsa_next_free_vgpr 1
		.amdhsa_next_free_sgpr 1
		.amdhsa_named_barrier_count 0
		.amdhsa_reserve_vcc 0
		.amdhsa_float_round_mode_32 0
		.amdhsa_float_round_mode_16_64 0
		.amdhsa_float_denorm_mode_32 3
		.amdhsa_float_denorm_mode_16_64 3
		.amdhsa_fp16_overflow 0
		.amdhsa_memory_ordered 1
		.amdhsa_forward_progress 1
		.amdhsa_inst_pref_size 0
		.amdhsa_round_robin_scheduling 0
		.amdhsa_exception_fp_ieee_invalid_op 0
		.amdhsa_exception_fp_denorm_src 0
		.amdhsa_exception_fp_ieee_div_zero 0
		.amdhsa_exception_fp_ieee_overflow 0
		.amdhsa_exception_fp_ieee_underflow 0
		.amdhsa_exception_fp_ieee_inexact 0
		.amdhsa_exception_int_div_zero 0
	.end_amdhsa_kernel
	.section	.text._ZN7rocprim17ROCPRIM_400000_NS6detail17trampoline_kernelINS0_14default_configENS1_22reduce_config_selectorIN6thrust23THRUST_200600_302600_NS5tupleIblNS6_9null_typeES8_S8_S8_S8_S8_S8_S8_EEEEZNS1_11reduce_implILb1ES3_NS6_12zip_iteratorINS7_INS6_11hip_rocprim26transform_input_iterator_tIbNSD_35transform_pair_of_input_iterators_tIbNS6_6detail15normal_iteratorINS6_10device_ptrIKiEEEESL_NS6_8equal_toIiEEEENSG_9not_fun_tINSD_8identityEEEEENSD_19counting_iterator_tIlEES8_S8_S8_S8_S8_S8_S8_S8_EEEEPS9_S9_NSD_9__find_if7functorIS9_EEEE10hipError_tPvRmT1_T2_T3_mT4_P12ihipStream_tbEUlT_E0_NS1_11comp_targetILNS1_3genE3ELNS1_11target_archE908ELNS1_3gpuE7ELNS1_3repE0EEENS1_30default_config_static_selectorELNS0_4arch9wavefront6targetE0EEEvS14_,"axG",@progbits,_ZN7rocprim17ROCPRIM_400000_NS6detail17trampoline_kernelINS0_14default_configENS1_22reduce_config_selectorIN6thrust23THRUST_200600_302600_NS5tupleIblNS6_9null_typeES8_S8_S8_S8_S8_S8_S8_EEEEZNS1_11reduce_implILb1ES3_NS6_12zip_iteratorINS7_INS6_11hip_rocprim26transform_input_iterator_tIbNSD_35transform_pair_of_input_iterators_tIbNS6_6detail15normal_iteratorINS6_10device_ptrIKiEEEESL_NS6_8equal_toIiEEEENSG_9not_fun_tINSD_8identityEEEEENSD_19counting_iterator_tIlEES8_S8_S8_S8_S8_S8_S8_S8_EEEEPS9_S9_NSD_9__find_if7functorIS9_EEEE10hipError_tPvRmT1_T2_T3_mT4_P12ihipStream_tbEUlT_E0_NS1_11comp_targetILNS1_3genE3ELNS1_11target_archE908ELNS1_3gpuE7ELNS1_3repE0EEENS1_30default_config_static_selectorELNS0_4arch9wavefront6targetE0EEEvS14_,comdat
.Lfunc_end264:
	.size	_ZN7rocprim17ROCPRIM_400000_NS6detail17trampoline_kernelINS0_14default_configENS1_22reduce_config_selectorIN6thrust23THRUST_200600_302600_NS5tupleIblNS6_9null_typeES8_S8_S8_S8_S8_S8_S8_EEEEZNS1_11reduce_implILb1ES3_NS6_12zip_iteratorINS7_INS6_11hip_rocprim26transform_input_iterator_tIbNSD_35transform_pair_of_input_iterators_tIbNS6_6detail15normal_iteratorINS6_10device_ptrIKiEEEESL_NS6_8equal_toIiEEEENSG_9not_fun_tINSD_8identityEEEEENSD_19counting_iterator_tIlEES8_S8_S8_S8_S8_S8_S8_S8_EEEEPS9_S9_NSD_9__find_if7functorIS9_EEEE10hipError_tPvRmT1_T2_T3_mT4_P12ihipStream_tbEUlT_E0_NS1_11comp_targetILNS1_3genE3ELNS1_11target_archE908ELNS1_3gpuE7ELNS1_3repE0EEENS1_30default_config_static_selectorELNS0_4arch9wavefront6targetE0EEEvS14_, .Lfunc_end264-_ZN7rocprim17ROCPRIM_400000_NS6detail17trampoline_kernelINS0_14default_configENS1_22reduce_config_selectorIN6thrust23THRUST_200600_302600_NS5tupleIblNS6_9null_typeES8_S8_S8_S8_S8_S8_S8_EEEEZNS1_11reduce_implILb1ES3_NS6_12zip_iteratorINS7_INS6_11hip_rocprim26transform_input_iterator_tIbNSD_35transform_pair_of_input_iterators_tIbNS6_6detail15normal_iteratorINS6_10device_ptrIKiEEEESL_NS6_8equal_toIiEEEENSG_9not_fun_tINSD_8identityEEEEENSD_19counting_iterator_tIlEES8_S8_S8_S8_S8_S8_S8_S8_EEEEPS9_S9_NSD_9__find_if7functorIS9_EEEE10hipError_tPvRmT1_T2_T3_mT4_P12ihipStream_tbEUlT_E0_NS1_11comp_targetILNS1_3genE3ELNS1_11target_archE908ELNS1_3gpuE7ELNS1_3repE0EEENS1_30default_config_static_selectorELNS0_4arch9wavefront6targetE0EEEvS14_
                                        ; -- End function
	.set _ZN7rocprim17ROCPRIM_400000_NS6detail17trampoline_kernelINS0_14default_configENS1_22reduce_config_selectorIN6thrust23THRUST_200600_302600_NS5tupleIblNS6_9null_typeES8_S8_S8_S8_S8_S8_S8_EEEEZNS1_11reduce_implILb1ES3_NS6_12zip_iteratorINS7_INS6_11hip_rocprim26transform_input_iterator_tIbNSD_35transform_pair_of_input_iterators_tIbNS6_6detail15normal_iteratorINS6_10device_ptrIKiEEEESL_NS6_8equal_toIiEEEENSG_9not_fun_tINSD_8identityEEEEENSD_19counting_iterator_tIlEES8_S8_S8_S8_S8_S8_S8_S8_EEEEPS9_S9_NSD_9__find_if7functorIS9_EEEE10hipError_tPvRmT1_T2_T3_mT4_P12ihipStream_tbEUlT_E0_NS1_11comp_targetILNS1_3genE3ELNS1_11target_archE908ELNS1_3gpuE7ELNS1_3repE0EEENS1_30default_config_static_selectorELNS0_4arch9wavefront6targetE0EEEvS14_.num_vgpr, 0
	.set _ZN7rocprim17ROCPRIM_400000_NS6detail17trampoline_kernelINS0_14default_configENS1_22reduce_config_selectorIN6thrust23THRUST_200600_302600_NS5tupleIblNS6_9null_typeES8_S8_S8_S8_S8_S8_S8_EEEEZNS1_11reduce_implILb1ES3_NS6_12zip_iteratorINS7_INS6_11hip_rocprim26transform_input_iterator_tIbNSD_35transform_pair_of_input_iterators_tIbNS6_6detail15normal_iteratorINS6_10device_ptrIKiEEEESL_NS6_8equal_toIiEEEENSG_9not_fun_tINSD_8identityEEEEENSD_19counting_iterator_tIlEES8_S8_S8_S8_S8_S8_S8_S8_EEEEPS9_S9_NSD_9__find_if7functorIS9_EEEE10hipError_tPvRmT1_T2_T3_mT4_P12ihipStream_tbEUlT_E0_NS1_11comp_targetILNS1_3genE3ELNS1_11target_archE908ELNS1_3gpuE7ELNS1_3repE0EEENS1_30default_config_static_selectorELNS0_4arch9wavefront6targetE0EEEvS14_.num_agpr, 0
	.set _ZN7rocprim17ROCPRIM_400000_NS6detail17trampoline_kernelINS0_14default_configENS1_22reduce_config_selectorIN6thrust23THRUST_200600_302600_NS5tupleIblNS6_9null_typeES8_S8_S8_S8_S8_S8_S8_EEEEZNS1_11reduce_implILb1ES3_NS6_12zip_iteratorINS7_INS6_11hip_rocprim26transform_input_iterator_tIbNSD_35transform_pair_of_input_iterators_tIbNS6_6detail15normal_iteratorINS6_10device_ptrIKiEEEESL_NS6_8equal_toIiEEEENSG_9not_fun_tINSD_8identityEEEEENSD_19counting_iterator_tIlEES8_S8_S8_S8_S8_S8_S8_S8_EEEEPS9_S9_NSD_9__find_if7functorIS9_EEEE10hipError_tPvRmT1_T2_T3_mT4_P12ihipStream_tbEUlT_E0_NS1_11comp_targetILNS1_3genE3ELNS1_11target_archE908ELNS1_3gpuE7ELNS1_3repE0EEENS1_30default_config_static_selectorELNS0_4arch9wavefront6targetE0EEEvS14_.numbered_sgpr, 0
	.set _ZN7rocprim17ROCPRIM_400000_NS6detail17trampoline_kernelINS0_14default_configENS1_22reduce_config_selectorIN6thrust23THRUST_200600_302600_NS5tupleIblNS6_9null_typeES8_S8_S8_S8_S8_S8_S8_EEEEZNS1_11reduce_implILb1ES3_NS6_12zip_iteratorINS7_INS6_11hip_rocprim26transform_input_iterator_tIbNSD_35transform_pair_of_input_iterators_tIbNS6_6detail15normal_iteratorINS6_10device_ptrIKiEEEESL_NS6_8equal_toIiEEEENSG_9not_fun_tINSD_8identityEEEEENSD_19counting_iterator_tIlEES8_S8_S8_S8_S8_S8_S8_S8_EEEEPS9_S9_NSD_9__find_if7functorIS9_EEEE10hipError_tPvRmT1_T2_T3_mT4_P12ihipStream_tbEUlT_E0_NS1_11comp_targetILNS1_3genE3ELNS1_11target_archE908ELNS1_3gpuE7ELNS1_3repE0EEENS1_30default_config_static_selectorELNS0_4arch9wavefront6targetE0EEEvS14_.num_named_barrier, 0
	.set _ZN7rocprim17ROCPRIM_400000_NS6detail17trampoline_kernelINS0_14default_configENS1_22reduce_config_selectorIN6thrust23THRUST_200600_302600_NS5tupleIblNS6_9null_typeES8_S8_S8_S8_S8_S8_S8_EEEEZNS1_11reduce_implILb1ES3_NS6_12zip_iteratorINS7_INS6_11hip_rocprim26transform_input_iterator_tIbNSD_35transform_pair_of_input_iterators_tIbNS6_6detail15normal_iteratorINS6_10device_ptrIKiEEEESL_NS6_8equal_toIiEEEENSG_9not_fun_tINSD_8identityEEEEENSD_19counting_iterator_tIlEES8_S8_S8_S8_S8_S8_S8_S8_EEEEPS9_S9_NSD_9__find_if7functorIS9_EEEE10hipError_tPvRmT1_T2_T3_mT4_P12ihipStream_tbEUlT_E0_NS1_11comp_targetILNS1_3genE3ELNS1_11target_archE908ELNS1_3gpuE7ELNS1_3repE0EEENS1_30default_config_static_selectorELNS0_4arch9wavefront6targetE0EEEvS14_.private_seg_size, 0
	.set _ZN7rocprim17ROCPRIM_400000_NS6detail17trampoline_kernelINS0_14default_configENS1_22reduce_config_selectorIN6thrust23THRUST_200600_302600_NS5tupleIblNS6_9null_typeES8_S8_S8_S8_S8_S8_S8_EEEEZNS1_11reduce_implILb1ES3_NS6_12zip_iteratorINS7_INS6_11hip_rocprim26transform_input_iterator_tIbNSD_35transform_pair_of_input_iterators_tIbNS6_6detail15normal_iteratorINS6_10device_ptrIKiEEEESL_NS6_8equal_toIiEEEENSG_9not_fun_tINSD_8identityEEEEENSD_19counting_iterator_tIlEES8_S8_S8_S8_S8_S8_S8_S8_EEEEPS9_S9_NSD_9__find_if7functorIS9_EEEE10hipError_tPvRmT1_T2_T3_mT4_P12ihipStream_tbEUlT_E0_NS1_11comp_targetILNS1_3genE3ELNS1_11target_archE908ELNS1_3gpuE7ELNS1_3repE0EEENS1_30default_config_static_selectorELNS0_4arch9wavefront6targetE0EEEvS14_.uses_vcc, 0
	.set _ZN7rocprim17ROCPRIM_400000_NS6detail17trampoline_kernelINS0_14default_configENS1_22reduce_config_selectorIN6thrust23THRUST_200600_302600_NS5tupleIblNS6_9null_typeES8_S8_S8_S8_S8_S8_S8_EEEEZNS1_11reduce_implILb1ES3_NS6_12zip_iteratorINS7_INS6_11hip_rocprim26transform_input_iterator_tIbNSD_35transform_pair_of_input_iterators_tIbNS6_6detail15normal_iteratorINS6_10device_ptrIKiEEEESL_NS6_8equal_toIiEEEENSG_9not_fun_tINSD_8identityEEEEENSD_19counting_iterator_tIlEES8_S8_S8_S8_S8_S8_S8_S8_EEEEPS9_S9_NSD_9__find_if7functorIS9_EEEE10hipError_tPvRmT1_T2_T3_mT4_P12ihipStream_tbEUlT_E0_NS1_11comp_targetILNS1_3genE3ELNS1_11target_archE908ELNS1_3gpuE7ELNS1_3repE0EEENS1_30default_config_static_selectorELNS0_4arch9wavefront6targetE0EEEvS14_.uses_flat_scratch, 0
	.set _ZN7rocprim17ROCPRIM_400000_NS6detail17trampoline_kernelINS0_14default_configENS1_22reduce_config_selectorIN6thrust23THRUST_200600_302600_NS5tupleIblNS6_9null_typeES8_S8_S8_S8_S8_S8_S8_EEEEZNS1_11reduce_implILb1ES3_NS6_12zip_iteratorINS7_INS6_11hip_rocprim26transform_input_iterator_tIbNSD_35transform_pair_of_input_iterators_tIbNS6_6detail15normal_iteratorINS6_10device_ptrIKiEEEESL_NS6_8equal_toIiEEEENSG_9not_fun_tINSD_8identityEEEEENSD_19counting_iterator_tIlEES8_S8_S8_S8_S8_S8_S8_S8_EEEEPS9_S9_NSD_9__find_if7functorIS9_EEEE10hipError_tPvRmT1_T2_T3_mT4_P12ihipStream_tbEUlT_E0_NS1_11comp_targetILNS1_3genE3ELNS1_11target_archE908ELNS1_3gpuE7ELNS1_3repE0EEENS1_30default_config_static_selectorELNS0_4arch9wavefront6targetE0EEEvS14_.has_dyn_sized_stack, 0
	.set _ZN7rocprim17ROCPRIM_400000_NS6detail17trampoline_kernelINS0_14default_configENS1_22reduce_config_selectorIN6thrust23THRUST_200600_302600_NS5tupleIblNS6_9null_typeES8_S8_S8_S8_S8_S8_S8_EEEEZNS1_11reduce_implILb1ES3_NS6_12zip_iteratorINS7_INS6_11hip_rocprim26transform_input_iterator_tIbNSD_35transform_pair_of_input_iterators_tIbNS6_6detail15normal_iteratorINS6_10device_ptrIKiEEEESL_NS6_8equal_toIiEEEENSG_9not_fun_tINSD_8identityEEEEENSD_19counting_iterator_tIlEES8_S8_S8_S8_S8_S8_S8_S8_EEEEPS9_S9_NSD_9__find_if7functorIS9_EEEE10hipError_tPvRmT1_T2_T3_mT4_P12ihipStream_tbEUlT_E0_NS1_11comp_targetILNS1_3genE3ELNS1_11target_archE908ELNS1_3gpuE7ELNS1_3repE0EEENS1_30default_config_static_selectorELNS0_4arch9wavefront6targetE0EEEvS14_.has_recursion, 0
	.set _ZN7rocprim17ROCPRIM_400000_NS6detail17trampoline_kernelINS0_14default_configENS1_22reduce_config_selectorIN6thrust23THRUST_200600_302600_NS5tupleIblNS6_9null_typeES8_S8_S8_S8_S8_S8_S8_EEEEZNS1_11reduce_implILb1ES3_NS6_12zip_iteratorINS7_INS6_11hip_rocprim26transform_input_iterator_tIbNSD_35transform_pair_of_input_iterators_tIbNS6_6detail15normal_iteratorINS6_10device_ptrIKiEEEESL_NS6_8equal_toIiEEEENSG_9not_fun_tINSD_8identityEEEEENSD_19counting_iterator_tIlEES8_S8_S8_S8_S8_S8_S8_S8_EEEEPS9_S9_NSD_9__find_if7functorIS9_EEEE10hipError_tPvRmT1_T2_T3_mT4_P12ihipStream_tbEUlT_E0_NS1_11comp_targetILNS1_3genE3ELNS1_11target_archE908ELNS1_3gpuE7ELNS1_3repE0EEENS1_30default_config_static_selectorELNS0_4arch9wavefront6targetE0EEEvS14_.has_indirect_call, 0
	.section	.AMDGPU.csdata,"",@progbits
; Kernel info:
; codeLenInByte = 0
; TotalNumSgprs: 0
; NumVgprs: 0
; ScratchSize: 0
; MemoryBound: 0
; FloatMode: 240
; IeeeMode: 1
; LDSByteSize: 0 bytes/workgroup (compile time only)
; SGPRBlocks: 0
; VGPRBlocks: 0
; NumSGPRsForWavesPerEU: 1
; NumVGPRsForWavesPerEU: 1
; NamedBarCnt: 0
; Occupancy: 16
; WaveLimiterHint : 0
; COMPUTE_PGM_RSRC2:SCRATCH_EN: 0
; COMPUTE_PGM_RSRC2:USER_SGPR: 2
; COMPUTE_PGM_RSRC2:TRAP_HANDLER: 0
; COMPUTE_PGM_RSRC2:TGID_X_EN: 1
; COMPUTE_PGM_RSRC2:TGID_Y_EN: 0
; COMPUTE_PGM_RSRC2:TGID_Z_EN: 0
; COMPUTE_PGM_RSRC2:TIDIG_COMP_CNT: 0
	.section	.text._ZN7rocprim17ROCPRIM_400000_NS6detail17trampoline_kernelINS0_14default_configENS1_22reduce_config_selectorIN6thrust23THRUST_200600_302600_NS5tupleIblNS6_9null_typeES8_S8_S8_S8_S8_S8_S8_EEEEZNS1_11reduce_implILb1ES3_NS6_12zip_iteratorINS7_INS6_11hip_rocprim26transform_input_iterator_tIbNSD_35transform_pair_of_input_iterators_tIbNS6_6detail15normal_iteratorINS6_10device_ptrIKiEEEESL_NS6_8equal_toIiEEEENSG_9not_fun_tINSD_8identityEEEEENSD_19counting_iterator_tIlEES8_S8_S8_S8_S8_S8_S8_S8_EEEEPS9_S9_NSD_9__find_if7functorIS9_EEEE10hipError_tPvRmT1_T2_T3_mT4_P12ihipStream_tbEUlT_E0_NS1_11comp_targetILNS1_3genE2ELNS1_11target_archE906ELNS1_3gpuE6ELNS1_3repE0EEENS1_30default_config_static_selectorELNS0_4arch9wavefront6targetE0EEEvS14_,"axG",@progbits,_ZN7rocprim17ROCPRIM_400000_NS6detail17trampoline_kernelINS0_14default_configENS1_22reduce_config_selectorIN6thrust23THRUST_200600_302600_NS5tupleIblNS6_9null_typeES8_S8_S8_S8_S8_S8_S8_EEEEZNS1_11reduce_implILb1ES3_NS6_12zip_iteratorINS7_INS6_11hip_rocprim26transform_input_iterator_tIbNSD_35transform_pair_of_input_iterators_tIbNS6_6detail15normal_iteratorINS6_10device_ptrIKiEEEESL_NS6_8equal_toIiEEEENSG_9not_fun_tINSD_8identityEEEEENSD_19counting_iterator_tIlEES8_S8_S8_S8_S8_S8_S8_S8_EEEEPS9_S9_NSD_9__find_if7functorIS9_EEEE10hipError_tPvRmT1_T2_T3_mT4_P12ihipStream_tbEUlT_E0_NS1_11comp_targetILNS1_3genE2ELNS1_11target_archE906ELNS1_3gpuE6ELNS1_3repE0EEENS1_30default_config_static_selectorELNS0_4arch9wavefront6targetE0EEEvS14_,comdat
	.protected	_ZN7rocprim17ROCPRIM_400000_NS6detail17trampoline_kernelINS0_14default_configENS1_22reduce_config_selectorIN6thrust23THRUST_200600_302600_NS5tupleIblNS6_9null_typeES8_S8_S8_S8_S8_S8_S8_EEEEZNS1_11reduce_implILb1ES3_NS6_12zip_iteratorINS7_INS6_11hip_rocprim26transform_input_iterator_tIbNSD_35transform_pair_of_input_iterators_tIbNS6_6detail15normal_iteratorINS6_10device_ptrIKiEEEESL_NS6_8equal_toIiEEEENSG_9not_fun_tINSD_8identityEEEEENSD_19counting_iterator_tIlEES8_S8_S8_S8_S8_S8_S8_S8_EEEEPS9_S9_NSD_9__find_if7functorIS9_EEEE10hipError_tPvRmT1_T2_T3_mT4_P12ihipStream_tbEUlT_E0_NS1_11comp_targetILNS1_3genE2ELNS1_11target_archE906ELNS1_3gpuE6ELNS1_3repE0EEENS1_30default_config_static_selectorELNS0_4arch9wavefront6targetE0EEEvS14_ ; -- Begin function _ZN7rocprim17ROCPRIM_400000_NS6detail17trampoline_kernelINS0_14default_configENS1_22reduce_config_selectorIN6thrust23THRUST_200600_302600_NS5tupleIblNS6_9null_typeES8_S8_S8_S8_S8_S8_S8_EEEEZNS1_11reduce_implILb1ES3_NS6_12zip_iteratorINS7_INS6_11hip_rocprim26transform_input_iterator_tIbNSD_35transform_pair_of_input_iterators_tIbNS6_6detail15normal_iteratorINS6_10device_ptrIKiEEEESL_NS6_8equal_toIiEEEENSG_9not_fun_tINSD_8identityEEEEENSD_19counting_iterator_tIlEES8_S8_S8_S8_S8_S8_S8_S8_EEEEPS9_S9_NSD_9__find_if7functorIS9_EEEE10hipError_tPvRmT1_T2_T3_mT4_P12ihipStream_tbEUlT_E0_NS1_11comp_targetILNS1_3genE2ELNS1_11target_archE906ELNS1_3gpuE6ELNS1_3repE0EEENS1_30default_config_static_selectorELNS0_4arch9wavefront6targetE0EEEvS14_
	.globl	_ZN7rocprim17ROCPRIM_400000_NS6detail17trampoline_kernelINS0_14default_configENS1_22reduce_config_selectorIN6thrust23THRUST_200600_302600_NS5tupleIblNS6_9null_typeES8_S8_S8_S8_S8_S8_S8_EEEEZNS1_11reduce_implILb1ES3_NS6_12zip_iteratorINS7_INS6_11hip_rocprim26transform_input_iterator_tIbNSD_35transform_pair_of_input_iterators_tIbNS6_6detail15normal_iteratorINS6_10device_ptrIKiEEEESL_NS6_8equal_toIiEEEENSG_9not_fun_tINSD_8identityEEEEENSD_19counting_iterator_tIlEES8_S8_S8_S8_S8_S8_S8_S8_EEEEPS9_S9_NSD_9__find_if7functorIS9_EEEE10hipError_tPvRmT1_T2_T3_mT4_P12ihipStream_tbEUlT_E0_NS1_11comp_targetILNS1_3genE2ELNS1_11target_archE906ELNS1_3gpuE6ELNS1_3repE0EEENS1_30default_config_static_selectorELNS0_4arch9wavefront6targetE0EEEvS14_
	.p2align	8
	.type	_ZN7rocprim17ROCPRIM_400000_NS6detail17trampoline_kernelINS0_14default_configENS1_22reduce_config_selectorIN6thrust23THRUST_200600_302600_NS5tupleIblNS6_9null_typeES8_S8_S8_S8_S8_S8_S8_EEEEZNS1_11reduce_implILb1ES3_NS6_12zip_iteratorINS7_INS6_11hip_rocprim26transform_input_iterator_tIbNSD_35transform_pair_of_input_iterators_tIbNS6_6detail15normal_iteratorINS6_10device_ptrIKiEEEESL_NS6_8equal_toIiEEEENSG_9not_fun_tINSD_8identityEEEEENSD_19counting_iterator_tIlEES8_S8_S8_S8_S8_S8_S8_S8_EEEEPS9_S9_NSD_9__find_if7functorIS9_EEEE10hipError_tPvRmT1_T2_T3_mT4_P12ihipStream_tbEUlT_E0_NS1_11comp_targetILNS1_3genE2ELNS1_11target_archE906ELNS1_3gpuE6ELNS1_3repE0EEENS1_30default_config_static_selectorELNS0_4arch9wavefront6targetE0EEEvS14_,@function
_ZN7rocprim17ROCPRIM_400000_NS6detail17trampoline_kernelINS0_14default_configENS1_22reduce_config_selectorIN6thrust23THRUST_200600_302600_NS5tupleIblNS6_9null_typeES8_S8_S8_S8_S8_S8_S8_EEEEZNS1_11reduce_implILb1ES3_NS6_12zip_iteratorINS7_INS6_11hip_rocprim26transform_input_iterator_tIbNSD_35transform_pair_of_input_iterators_tIbNS6_6detail15normal_iteratorINS6_10device_ptrIKiEEEESL_NS6_8equal_toIiEEEENSG_9not_fun_tINSD_8identityEEEEENSD_19counting_iterator_tIlEES8_S8_S8_S8_S8_S8_S8_S8_EEEEPS9_S9_NSD_9__find_if7functorIS9_EEEE10hipError_tPvRmT1_T2_T3_mT4_P12ihipStream_tbEUlT_E0_NS1_11comp_targetILNS1_3genE2ELNS1_11target_archE906ELNS1_3gpuE6ELNS1_3repE0EEENS1_30default_config_static_selectorELNS0_4arch9wavefront6targetE0EEEvS14_: ; @_ZN7rocprim17ROCPRIM_400000_NS6detail17trampoline_kernelINS0_14default_configENS1_22reduce_config_selectorIN6thrust23THRUST_200600_302600_NS5tupleIblNS6_9null_typeES8_S8_S8_S8_S8_S8_S8_EEEEZNS1_11reduce_implILb1ES3_NS6_12zip_iteratorINS7_INS6_11hip_rocprim26transform_input_iterator_tIbNSD_35transform_pair_of_input_iterators_tIbNS6_6detail15normal_iteratorINS6_10device_ptrIKiEEEESL_NS6_8equal_toIiEEEENSG_9not_fun_tINSD_8identityEEEEENSD_19counting_iterator_tIlEES8_S8_S8_S8_S8_S8_S8_S8_EEEEPS9_S9_NSD_9__find_if7functorIS9_EEEE10hipError_tPvRmT1_T2_T3_mT4_P12ihipStream_tbEUlT_E0_NS1_11comp_targetILNS1_3genE2ELNS1_11target_archE906ELNS1_3gpuE6ELNS1_3repE0EEENS1_30default_config_static_selectorELNS0_4arch9wavefront6targetE0EEEvS14_
; %bb.0:
	.section	.rodata,"a",@progbits
	.p2align	6, 0x0
	.amdhsa_kernel _ZN7rocprim17ROCPRIM_400000_NS6detail17trampoline_kernelINS0_14default_configENS1_22reduce_config_selectorIN6thrust23THRUST_200600_302600_NS5tupleIblNS6_9null_typeES8_S8_S8_S8_S8_S8_S8_EEEEZNS1_11reduce_implILb1ES3_NS6_12zip_iteratorINS7_INS6_11hip_rocprim26transform_input_iterator_tIbNSD_35transform_pair_of_input_iterators_tIbNS6_6detail15normal_iteratorINS6_10device_ptrIKiEEEESL_NS6_8equal_toIiEEEENSG_9not_fun_tINSD_8identityEEEEENSD_19counting_iterator_tIlEES8_S8_S8_S8_S8_S8_S8_S8_EEEEPS9_S9_NSD_9__find_if7functorIS9_EEEE10hipError_tPvRmT1_T2_T3_mT4_P12ihipStream_tbEUlT_E0_NS1_11comp_targetILNS1_3genE2ELNS1_11target_archE906ELNS1_3gpuE6ELNS1_3repE0EEENS1_30default_config_static_selectorELNS0_4arch9wavefront6targetE0EEEvS14_
		.amdhsa_group_segment_fixed_size 0
		.amdhsa_private_segment_fixed_size 0
		.amdhsa_kernarg_size 104
		.amdhsa_user_sgpr_count 2
		.amdhsa_user_sgpr_dispatch_ptr 0
		.amdhsa_user_sgpr_queue_ptr 0
		.amdhsa_user_sgpr_kernarg_segment_ptr 1
		.amdhsa_user_sgpr_dispatch_id 0
		.amdhsa_user_sgpr_kernarg_preload_length 0
		.amdhsa_user_sgpr_kernarg_preload_offset 0
		.amdhsa_user_sgpr_private_segment_size 0
		.amdhsa_wavefront_size32 1
		.amdhsa_uses_dynamic_stack 0
		.amdhsa_enable_private_segment 0
		.amdhsa_system_sgpr_workgroup_id_x 1
		.amdhsa_system_sgpr_workgroup_id_y 0
		.amdhsa_system_sgpr_workgroup_id_z 0
		.amdhsa_system_sgpr_workgroup_info 0
		.amdhsa_system_vgpr_workitem_id 0
		.amdhsa_next_free_vgpr 1
		.amdhsa_next_free_sgpr 1
		.amdhsa_named_barrier_count 0
		.amdhsa_reserve_vcc 0
		.amdhsa_float_round_mode_32 0
		.amdhsa_float_round_mode_16_64 0
		.amdhsa_float_denorm_mode_32 3
		.amdhsa_float_denorm_mode_16_64 3
		.amdhsa_fp16_overflow 0
		.amdhsa_memory_ordered 1
		.amdhsa_forward_progress 1
		.amdhsa_inst_pref_size 0
		.amdhsa_round_robin_scheduling 0
		.amdhsa_exception_fp_ieee_invalid_op 0
		.amdhsa_exception_fp_denorm_src 0
		.amdhsa_exception_fp_ieee_div_zero 0
		.amdhsa_exception_fp_ieee_overflow 0
		.amdhsa_exception_fp_ieee_underflow 0
		.amdhsa_exception_fp_ieee_inexact 0
		.amdhsa_exception_int_div_zero 0
	.end_amdhsa_kernel
	.section	.text._ZN7rocprim17ROCPRIM_400000_NS6detail17trampoline_kernelINS0_14default_configENS1_22reduce_config_selectorIN6thrust23THRUST_200600_302600_NS5tupleIblNS6_9null_typeES8_S8_S8_S8_S8_S8_S8_EEEEZNS1_11reduce_implILb1ES3_NS6_12zip_iteratorINS7_INS6_11hip_rocprim26transform_input_iterator_tIbNSD_35transform_pair_of_input_iterators_tIbNS6_6detail15normal_iteratorINS6_10device_ptrIKiEEEESL_NS6_8equal_toIiEEEENSG_9not_fun_tINSD_8identityEEEEENSD_19counting_iterator_tIlEES8_S8_S8_S8_S8_S8_S8_S8_EEEEPS9_S9_NSD_9__find_if7functorIS9_EEEE10hipError_tPvRmT1_T2_T3_mT4_P12ihipStream_tbEUlT_E0_NS1_11comp_targetILNS1_3genE2ELNS1_11target_archE906ELNS1_3gpuE6ELNS1_3repE0EEENS1_30default_config_static_selectorELNS0_4arch9wavefront6targetE0EEEvS14_,"axG",@progbits,_ZN7rocprim17ROCPRIM_400000_NS6detail17trampoline_kernelINS0_14default_configENS1_22reduce_config_selectorIN6thrust23THRUST_200600_302600_NS5tupleIblNS6_9null_typeES8_S8_S8_S8_S8_S8_S8_EEEEZNS1_11reduce_implILb1ES3_NS6_12zip_iteratorINS7_INS6_11hip_rocprim26transform_input_iterator_tIbNSD_35transform_pair_of_input_iterators_tIbNS6_6detail15normal_iteratorINS6_10device_ptrIKiEEEESL_NS6_8equal_toIiEEEENSG_9not_fun_tINSD_8identityEEEEENSD_19counting_iterator_tIlEES8_S8_S8_S8_S8_S8_S8_S8_EEEEPS9_S9_NSD_9__find_if7functorIS9_EEEE10hipError_tPvRmT1_T2_T3_mT4_P12ihipStream_tbEUlT_E0_NS1_11comp_targetILNS1_3genE2ELNS1_11target_archE906ELNS1_3gpuE6ELNS1_3repE0EEENS1_30default_config_static_selectorELNS0_4arch9wavefront6targetE0EEEvS14_,comdat
.Lfunc_end265:
	.size	_ZN7rocprim17ROCPRIM_400000_NS6detail17trampoline_kernelINS0_14default_configENS1_22reduce_config_selectorIN6thrust23THRUST_200600_302600_NS5tupleIblNS6_9null_typeES8_S8_S8_S8_S8_S8_S8_EEEEZNS1_11reduce_implILb1ES3_NS6_12zip_iteratorINS7_INS6_11hip_rocprim26transform_input_iterator_tIbNSD_35transform_pair_of_input_iterators_tIbNS6_6detail15normal_iteratorINS6_10device_ptrIKiEEEESL_NS6_8equal_toIiEEEENSG_9not_fun_tINSD_8identityEEEEENSD_19counting_iterator_tIlEES8_S8_S8_S8_S8_S8_S8_S8_EEEEPS9_S9_NSD_9__find_if7functorIS9_EEEE10hipError_tPvRmT1_T2_T3_mT4_P12ihipStream_tbEUlT_E0_NS1_11comp_targetILNS1_3genE2ELNS1_11target_archE906ELNS1_3gpuE6ELNS1_3repE0EEENS1_30default_config_static_selectorELNS0_4arch9wavefront6targetE0EEEvS14_, .Lfunc_end265-_ZN7rocprim17ROCPRIM_400000_NS6detail17trampoline_kernelINS0_14default_configENS1_22reduce_config_selectorIN6thrust23THRUST_200600_302600_NS5tupleIblNS6_9null_typeES8_S8_S8_S8_S8_S8_S8_EEEEZNS1_11reduce_implILb1ES3_NS6_12zip_iteratorINS7_INS6_11hip_rocprim26transform_input_iterator_tIbNSD_35transform_pair_of_input_iterators_tIbNS6_6detail15normal_iteratorINS6_10device_ptrIKiEEEESL_NS6_8equal_toIiEEEENSG_9not_fun_tINSD_8identityEEEEENSD_19counting_iterator_tIlEES8_S8_S8_S8_S8_S8_S8_S8_EEEEPS9_S9_NSD_9__find_if7functorIS9_EEEE10hipError_tPvRmT1_T2_T3_mT4_P12ihipStream_tbEUlT_E0_NS1_11comp_targetILNS1_3genE2ELNS1_11target_archE906ELNS1_3gpuE6ELNS1_3repE0EEENS1_30default_config_static_selectorELNS0_4arch9wavefront6targetE0EEEvS14_
                                        ; -- End function
	.set _ZN7rocprim17ROCPRIM_400000_NS6detail17trampoline_kernelINS0_14default_configENS1_22reduce_config_selectorIN6thrust23THRUST_200600_302600_NS5tupleIblNS6_9null_typeES8_S8_S8_S8_S8_S8_S8_EEEEZNS1_11reduce_implILb1ES3_NS6_12zip_iteratorINS7_INS6_11hip_rocprim26transform_input_iterator_tIbNSD_35transform_pair_of_input_iterators_tIbNS6_6detail15normal_iteratorINS6_10device_ptrIKiEEEESL_NS6_8equal_toIiEEEENSG_9not_fun_tINSD_8identityEEEEENSD_19counting_iterator_tIlEES8_S8_S8_S8_S8_S8_S8_S8_EEEEPS9_S9_NSD_9__find_if7functorIS9_EEEE10hipError_tPvRmT1_T2_T3_mT4_P12ihipStream_tbEUlT_E0_NS1_11comp_targetILNS1_3genE2ELNS1_11target_archE906ELNS1_3gpuE6ELNS1_3repE0EEENS1_30default_config_static_selectorELNS0_4arch9wavefront6targetE0EEEvS14_.num_vgpr, 0
	.set _ZN7rocprim17ROCPRIM_400000_NS6detail17trampoline_kernelINS0_14default_configENS1_22reduce_config_selectorIN6thrust23THRUST_200600_302600_NS5tupleIblNS6_9null_typeES8_S8_S8_S8_S8_S8_S8_EEEEZNS1_11reduce_implILb1ES3_NS6_12zip_iteratorINS7_INS6_11hip_rocprim26transform_input_iterator_tIbNSD_35transform_pair_of_input_iterators_tIbNS6_6detail15normal_iteratorINS6_10device_ptrIKiEEEESL_NS6_8equal_toIiEEEENSG_9not_fun_tINSD_8identityEEEEENSD_19counting_iterator_tIlEES8_S8_S8_S8_S8_S8_S8_S8_EEEEPS9_S9_NSD_9__find_if7functorIS9_EEEE10hipError_tPvRmT1_T2_T3_mT4_P12ihipStream_tbEUlT_E0_NS1_11comp_targetILNS1_3genE2ELNS1_11target_archE906ELNS1_3gpuE6ELNS1_3repE0EEENS1_30default_config_static_selectorELNS0_4arch9wavefront6targetE0EEEvS14_.num_agpr, 0
	.set _ZN7rocprim17ROCPRIM_400000_NS6detail17trampoline_kernelINS0_14default_configENS1_22reduce_config_selectorIN6thrust23THRUST_200600_302600_NS5tupleIblNS6_9null_typeES8_S8_S8_S8_S8_S8_S8_EEEEZNS1_11reduce_implILb1ES3_NS6_12zip_iteratorINS7_INS6_11hip_rocprim26transform_input_iterator_tIbNSD_35transform_pair_of_input_iterators_tIbNS6_6detail15normal_iteratorINS6_10device_ptrIKiEEEESL_NS6_8equal_toIiEEEENSG_9not_fun_tINSD_8identityEEEEENSD_19counting_iterator_tIlEES8_S8_S8_S8_S8_S8_S8_S8_EEEEPS9_S9_NSD_9__find_if7functorIS9_EEEE10hipError_tPvRmT1_T2_T3_mT4_P12ihipStream_tbEUlT_E0_NS1_11comp_targetILNS1_3genE2ELNS1_11target_archE906ELNS1_3gpuE6ELNS1_3repE0EEENS1_30default_config_static_selectorELNS0_4arch9wavefront6targetE0EEEvS14_.numbered_sgpr, 0
	.set _ZN7rocprim17ROCPRIM_400000_NS6detail17trampoline_kernelINS0_14default_configENS1_22reduce_config_selectorIN6thrust23THRUST_200600_302600_NS5tupleIblNS6_9null_typeES8_S8_S8_S8_S8_S8_S8_EEEEZNS1_11reduce_implILb1ES3_NS6_12zip_iteratorINS7_INS6_11hip_rocprim26transform_input_iterator_tIbNSD_35transform_pair_of_input_iterators_tIbNS6_6detail15normal_iteratorINS6_10device_ptrIKiEEEESL_NS6_8equal_toIiEEEENSG_9not_fun_tINSD_8identityEEEEENSD_19counting_iterator_tIlEES8_S8_S8_S8_S8_S8_S8_S8_EEEEPS9_S9_NSD_9__find_if7functorIS9_EEEE10hipError_tPvRmT1_T2_T3_mT4_P12ihipStream_tbEUlT_E0_NS1_11comp_targetILNS1_3genE2ELNS1_11target_archE906ELNS1_3gpuE6ELNS1_3repE0EEENS1_30default_config_static_selectorELNS0_4arch9wavefront6targetE0EEEvS14_.num_named_barrier, 0
	.set _ZN7rocprim17ROCPRIM_400000_NS6detail17trampoline_kernelINS0_14default_configENS1_22reduce_config_selectorIN6thrust23THRUST_200600_302600_NS5tupleIblNS6_9null_typeES8_S8_S8_S8_S8_S8_S8_EEEEZNS1_11reduce_implILb1ES3_NS6_12zip_iteratorINS7_INS6_11hip_rocprim26transform_input_iterator_tIbNSD_35transform_pair_of_input_iterators_tIbNS6_6detail15normal_iteratorINS6_10device_ptrIKiEEEESL_NS6_8equal_toIiEEEENSG_9not_fun_tINSD_8identityEEEEENSD_19counting_iterator_tIlEES8_S8_S8_S8_S8_S8_S8_S8_EEEEPS9_S9_NSD_9__find_if7functorIS9_EEEE10hipError_tPvRmT1_T2_T3_mT4_P12ihipStream_tbEUlT_E0_NS1_11comp_targetILNS1_3genE2ELNS1_11target_archE906ELNS1_3gpuE6ELNS1_3repE0EEENS1_30default_config_static_selectorELNS0_4arch9wavefront6targetE0EEEvS14_.private_seg_size, 0
	.set _ZN7rocprim17ROCPRIM_400000_NS6detail17trampoline_kernelINS0_14default_configENS1_22reduce_config_selectorIN6thrust23THRUST_200600_302600_NS5tupleIblNS6_9null_typeES8_S8_S8_S8_S8_S8_S8_EEEEZNS1_11reduce_implILb1ES3_NS6_12zip_iteratorINS7_INS6_11hip_rocprim26transform_input_iterator_tIbNSD_35transform_pair_of_input_iterators_tIbNS6_6detail15normal_iteratorINS6_10device_ptrIKiEEEESL_NS6_8equal_toIiEEEENSG_9not_fun_tINSD_8identityEEEEENSD_19counting_iterator_tIlEES8_S8_S8_S8_S8_S8_S8_S8_EEEEPS9_S9_NSD_9__find_if7functorIS9_EEEE10hipError_tPvRmT1_T2_T3_mT4_P12ihipStream_tbEUlT_E0_NS1_11comp_targetILNS1_3genE2ELNS1_11target_archE906ELNS1_3gpuE6ELNS1_3repE0EEENS1_30default_config_static_selectorELNS0_4arch9wavefront6targetE0EEEvS14_.uses_vcc, 0
	.set _ZN7rocprim17ROCPRIM_400000_NS6detail17trampoline_kernelINS0_14default_configENS1_22reduce_config_selectorIN6thrust23THRUST_200600_302600_NS5tupleIblNS6_9null_typeES8_S8_S8_S8_S8_S8_S8_EEEEZNS1_11reduce_implILb1ES3_NS6_12zip_iteratorINS7_INS6_11hip_rocprim26transform_input_iterator_tIbNSD_35transform_pair_of_input_iterators_tIbNS6_6detail15normal_iteratorINS6_10device_ptrIKiEEEESL_NS6_8equal_toIiEEEENSG_9not_fun_tINSD_8identityEEEEENSD_19counting_iterator_tIlEES8_S8_S8_S8_S8_S8_S8_S8_EEEEPS9_S9_NSD_9__find_if7functorIS9_EEEE10hipError_tPvRmT1_T2_T3_mT4_P12ihipStream_tbEUlT_E0_NS1_11comp_targetILNS1_3genE2ELNS1_11target_archE906ELNS1_3gpuE6ELNS1_3repE0EEENS1_30default_config_static_selectorELNS0_4arch9wavefront6targetE0EEEvS14_.uses_flat_scratch, 0
	.set _ZN7rocprim17ROCPRIM_400000_NS6detail17trampoline_kernelINS0_14default_configENS1_22reduce_config_selectorIN6thrust23THRUST_200600_302600_NS5tupleIblNS6_9null_typeES8_S8_S8_S8_S8_S8_S8_EEEEZNS1_11reduce_implILb1ES3_NS6_12zip_iteratorINS7_INS6_11hip_rocprim26transform_input_iterator_tIbNSD_35transform_pair_of_input_iterators_tIbNS6_6detail15normal_iteratorINS6_10device_ptrIKiEEEESL_NS6_8equal_toIiEEEENSG_9not_fun_tINSD_8identityEEEEENSD_19counting_iterator_tIlEES8_S8_S8_S8_S8_S8_S8_S8_EEEEPS9_S9_NSD_9__find_if7functorIS9_EEEE10hipError_tPvRmT1_T2_T3_mT4_P12ihipStream_tbEUlT_E0_NS1_11comp_targetILNS1_3genE2ELNS1_11target_archE906ELNS1_3gpuE6ELNS1_3repE0EEENS1_30default_config_static_selectorELNS0_4arch9wavefront6targetE0EEEvS14_.has_dyn_sized_stack, 0
	.set _ZN7rocprim17ROCPRIM_400000_NS6detail17trampoline_kernelINS0_14default_configENS1_22reduce_config_selectorIN6thrust23THRUST_200600_302600_NS5tupleIblNS6_9null_typeES8_S8_S8_S8_S8_S8_S8_EEEEZNS1_11reduce_implILb1ES3_NS6_12zip_iteratorINS7_INS6_11hip_rocprim26transform_input_iterator_tIbNSD_35transform_pair_of_input_iterators_tIbNS6_6detail15normal_iteratorINS6_10device_ptrIKiEEEESL_NS6_8equal_toIiEEEENSG_9not_fun_tINSD_8identityEEEEENSD_19counting_iterator_tIlEES8_S8_S8_S8_S8_S8_S8_S8_EEEEPS9_S9_NSD_9__find_if7functorIS9_EEEE10hipError_tPvRmT1_T2_T3_mT4_P12ihipStream_tbEUlT_E0_NS1_11comp_targetILNS1_3genE2ELNS1_11target_archE906ELNS1_3gpuE6ELNS1_3repE0EEENS1_30default_config_static_selectorELNS0_4arch9wavefront6targetE0EEEvS14_.has_recursion, 0
	.set _ZN7rocprim17ROCPRIM_400000_NS6detail17trampoline_kernelINS0_14default_configENS1_22reduce_config_selectorIN6thrust23THRUST_200600_302600_NS5tupleIblNS6_9null_typeES8_S8_S8_S8_S8_S8_S8_EEEEZNS1_11reduce_implILb1ES3_NS6_12zip_iteratorINS7_INS6_11hip_rocprim26transform_input_iterator_tIbNSD_35transform_pair_of_input_iterators_tIbNS6_6detail15normal_iteratorINS6_10device_ptrIKiEEEESL_NS6_8equal_toIiEEEENSG_9not_fun_tINSD_8identityEEEEENSD_19counting_iterator_tIlEES8_S8_S8_S8_S8_S8_S8_S8_EEEEPS9_S9_NSD_9__find_if7functorIS9_EEEE10hipError_tPvRmT1_T2_T3_mT4_P12ihipStream_tbEUlT_E0_NS1_11comp_targetILNS1_3genE2ELNS1_11target_archE906ELNS1_3gpuE6ELNS1_3repE0EEENS1_30default_config_static_selectorELNS0_4arch9wavefront6targetE0EEEvS14_.has_indirect_call, 0
	.section	.AMDGPU.csdata,"",@progbits
; Kernel info:
; codeLenInByte = 0
; TotalNumSgprs: 0
; NumVgprs: 0
; ScratchSize: 0
; MemoryBound: 0
; FloatMode: 240
; IeeeMode: 1
; LDSByteSize: 0 bytes/workgroup (compile time only)
; SGPRBlocks: 0
; VGPRBlocks: 0
; NumSGPRsForWavesPerEU: 1
; NumVGPRsForWavesPerEU: 1
; NamedBarCnt: 0
; Occupancy: 16
; WaveLimiterHint : 0
; COMPUTE_PGM_RSRC2:SCRATCH_EN: 0
; COMPUTE_PGM_RSRC2:USER_SGPR: 2
; COMPUTE_PGM_RSRC2:TRAP_HANDLER: 0
; COMPUTE_PGM_RSRC2:TGID_X_EN: 1
; COMPUTE_PGM_RSRC2:TGID_Y_EN: 0
; COMPUTE_PGM_RSRC2:TGID_Z_EN: 0
; COMPUTE_PGM_RSRC2:TIDIG_COMP_CNT: 0
	.section	.text._ZN7rocprim17ROCPRIM_400000_NS6detail17trampoline_kernelINS0_14default_configENS1_22reduce_config_selectorIN6thrust23THRUST_200600_302600_NS5tupleIblNS6_9null_typeES8_S8_S8_S8_S8_S8_S8_EEEEZNS1_11reduce_implILb1ES3_NS6_12zip_iteratorINS7_INS6_11hip_rocprim26transform_input_iterator_tIbNSD_35transform_pair_of_input_iterators_tIbNS6_6detail15normal_iteratorINS6_10device_ptrIKiEEEESL_NS6_8equal_toIiEEEENSG_9not_fun_tINSD_8identityEEEEENSD_19counting_iterator_tIlEES8_S8_S8_S8_S8_S8_S8_S8_EEEEPS9_S9_NSD_9__find_if7functorIS9_EEEE10hipError_tPvRmT1_T2_T3_mT4_P12ihipStream_tbEUlT_E0_NS1_11comp_targetILNS1_3genE10ELNS1_11target_archE1201ELNS1_3gpuE5ELNS1_3repE0EEENS1_30default_config_static_selectorELNS0_4arch9wavefront6targetE0EEEvS14_,"axG",@progbits,_ZN7rocprim17ROCPRIM_400000_NS6detail17trampoline_kernelINS0_14default_configENS1_22reduce_config_selectorIN6thrust23THRUST_200600_302600_NS5tupleIblNS6_9null_typeES8_S8_S8_S8_S8_S8_S8_EEEEZNS1_11reduce_implILb1ES3_NS6_12zip_iteratorINS7_INS6_11hip_rocprim26transform_input_iterator_tIbNSD_35transform_pair_of_input_iterators_tIbNS6_6detail15normal_iteratorINS6_10device_ptrIKiEEEESL_NS6_8equal_toIiEEEENSG_9not_fun_tINSD_8identityEEEEENSD_19counting_iterator_tIlEES8_S8_S8_S8_S8_S8_S8_S8_EEEEPS9_S9_NSD_9__find_if7functorIS9_EEEE10hipError_tPvRmT1_T2_T3_mT4_P12ihipStream_tbEUlT_E0_NS1_11comp_targetILNS1_3genE10ELNS1_11target_archE1201ELNS1_3gpuE5ELNS1_3repE0EEENS1_30default_config_static_selectorELNS0_4arch9wavefront6targetE0EEEvS14_,comdat
	.protected	_ZN7rocprim17ROCPRIM_400000_NS6detail17trampoline_kernelINS0_14default_configENS1_22reduce_config_selectorIN6thrust23THRUST_200600_302600_NS5tupleIblNS6_9null_typeES8_S8_S8_S8_S8_S8_S8_EEEEZNS1_11reduce_implILb1ES3_NS6_12zip_iteratorINS7_INS6_11hip_rocprim26transform_input_iterator_tIbNSD_35transform_pair_of_input_iterators_tIbNS6_6detail15normal_iteratorINS6_10device_ptrIKiEEEESL_NS6_8equal_toIiEEEENSG_9not_fun_tINSD_8identityEEEEENSD_19counting_iterator_tIlEES8_S8_S8_S8_S8_S8_S8_S8_EEEEPS9_S9_NSD_9__find_if7functorIS9_EEEE10hipError_tPvRmT1_T2_T3_mT4_P12ihipStream_tbEUlT_E0_NS1_11comp_targetILNS1_3genE10ELNS1_11target_archE1201ELNS1_3gpuE5ELNS1_3repE0EEENS1_30default_config_static_selectorELNS0_4arch9wavefront6targetE0EEEvS14_ ; -- Begin function _ZN7rocprim17ROCPRIM_400000_NS6detail17trampoline_kernelINS0_14default_configENS1_22reduce_config_selectorIN6thrust23THRUST_200600_302600_NS5tupleIblNS6_9null_typeES8_S8_S8_S8_S8_S8_S8_EEEEZNS1_11reduce_implILb1ES3_NS6_12zip_iteratorINS7_INS6_11hip_rocprim26transform_input_iterator_tIbNSD_35transform_pair_of_input_iterators_tIbNS6_6detail15normal_iteratorINS6_10device_ptrIKiEEEESL_NS6_8equal_toIiEEEENSG_9not_fun_tINSD_8identityEEEEENSD_19counting_iterator_tIlEES8_S8_S8_S8_S8_S8_S8_S8_EEEEPS9_S9_NSD_9__find_if7functorIS9_EEEE10hipError_tPvRmT1_T2_T3_mT4_P12ihipStream_tbEUlT_E0_NS1_11comp_targetILNS1_3genE10ELNS1_11target_archE1201ELNS1_3gpuE5ELNS1_3repE0EEENS1_30default_config_static_selectorELNS0_4arch9wavefront6targetE0EEEvS14_
	.globl	_ZN7rocprim17ROCPRIM_400000_NS6detail17trampoline_kernelINS0_14default_configENS1_22reduce_config_selectorIN6thrust23THRUST_200600_302600_NS5tupleIblNS6_9null_typeES8_S8_S8_S8_S8_S8_S8_EEEEZNS1_11reduce_implILb1ES3_NS6_12zip_iteratorINS7_INS6_11hip_rocprim26transform_input_iterator_tIbNSD_35transform_pair_of_input_iterators_tIbNS6_6detail15normal_iteratorINS6_10device_ptrIKiEEEESL_NS6_8equal_toIiEEEENSG_9not_fun_tINSD_8identityEEEEENSD_19counting_iterator_tIlEES8_S8_S8_S8_S8_S8_S8_S8_EEEEPS9_S9_NSD_9__find_if7functorIS9_EEEE10hipError_tPvRmT1_T2_T3_mT4_P12ihipStream_tbEUlT_E0_NS1_11comp_targetILNS1_3genE10ELNS1_11target_archE1201ELNS1_3gpuE5ELNS1_3repE0EEENS1_30default_config_static_selectorELNS0_4arch9wavefront6targetE0EEEvS14_
	.p2align	8
	.type	_ZN7rocprim17ROCPRIM_400000_NS6detail17trampoline_kernelINS0_14default_configENS1_22reduce_config_selectorIN6thrust23THRUST_200600_302600_NS5tupleIblNS6_9null_typeES8_S8_S8_S8_S8_S8_S8_EEEEZNS1_11reduce_implILb1ES3_NS6_12zip_iteratorINS7_INS6_11hip_rocprim26transform_input_iterator_tIbNSD_35transform_pair_of_input_iterators_tIbNS6_6detail15normal_iteratorINS6_10device_ptrIKiEEEESL_NS6_8equal_toIiEEEENSG_9not_fun_tINSD_8identityEEEEENSD_19counting_iterator_tIlEES8_S8_S8_S8_S8_S8_S8_S8_EEEEPS9_S9_NSD_9__find_if7functorIS9_EEEE10hipError_tPvRmT1_T2_T3_mT4_P12ihipStream_tbEUlT_E0_NS1_11comp_targetILNS1_3genE10ELNS1_11target_archE1201ELNS1_3gpuE5ELNS1_3repE0EEENS1_30default_config_static_selectorELNS0_4arch9wavefront6targetE0EEEvS14_,@function
_ZN7rocprim17ROCPRIM_400000_NS6detail17trampoline_kernelINS0_14default_configENS1_22reduce_config_selectorIN6thrust23THRUST_200600_302600_NS5tupleIblNS6_9null_typeES8_S8_S8_S8_S8_S8_S8_EEEEZNS1_11reduce_implILb1ES3_NS6_12zip_iteratorINS7_INS6_11hip_rocprim26transform_input_iterator_tIbNSD_35transform_pair_of_input_iterators_tIbNS6_6detail15normal_iteratorINS6_10device_ptrIKiEEEESL_NS6_8equal_toIiEEEENSG_9not_fun_tINSD_8identityEEEEENSD_19counting_iterator_tIlEES8_S8_S8_S8_S8_S8_S8_S8_EEEEPS9_S9_NSD_9__find_if7functorIS9_EEEE10hipError_tPvRmT1_T2_T3_mT4_P12ihipStream_tbEUlT_E0_NS1_11comp_targetILNS1_3genE10ELNS1_11target_archE1201ELNS1_3gpuE5ELNS1_3repE0EEENS1_30default_config_static_selectorELNS0_4arch9wavefront6targetE0EEEvS14_: ; @_ZN7rocprim17ROCPRIM_400000_NS6detail17trampoline_kernelINS0_14default_configENS1_22reduce_config_selectorIN6thrust23THRUST_200600_302600_NS5tupleIblNS6_9null_typeES8_S8_S8_S8_S8_S8_S8_EEEEZNS1_11reduce_implILb1ES3_NS6_12zip_iteratorINS7_INS6_11hip_rocprim26transform_input_iterator_tIbNSD_35transform_pair_of_input_iterators_tIbNS6_6detail15normal_iteratorINS6_10device_ptrIKiEEEESL_NS6_8equal_toIiEEEENSG_9not_fun_tINSD_8identityEEEEENSD_19counting_iterator_tIlEES8_S8_S8_S8_S8_S8_S8_S8_EEEEPS9_S9_NSD_9__find_if7functorIS9_EEEE10hipError_tPvRmT1_T2_T3_mT4_P12ihipStream_tbEUlT_E0_NS1_11comp_targetILNS1_3genE10ELNS1_11target_archE1201ELNS1_3gpuE5ELNS1_3repE0EEENS1_30default_config_static_selectorELNS0_4arch9wavefront6targetE0EEEvS14_
; %bb.0:
	.section	.rodata,"a",@progbits
	.p2align	6, 0x0
	.amdhsa_kernel _ZN7rocprim17ROCPRIM_400000_NS6detail17trampoline_kernelINS0_14default_configENS1_22reduce_config_selectorIN6thrust23THRUST_200600_302600_NS5tupleIblNS6_9null_typeES8_S8_S8_S8_S8_S8_S8_EEEEZNS1_11reduce_implILb1ES3_NS6_12zip_iteratorINS7_INS6_11hip_rocprim26transform_input_iterator_tIbNSD_35transform_pair_of_input_iterators_tIbNS6_6detail15normal_iteratorINS6_10device_ptrIKiEEEESL_NS6_8equal_toIiEEEENSG_9not_fun_tINSD_8identityEEEEENSD_19counting_iterator_tIlEES8_S8_S8_S8_S8_S8_S8_S8_EEEEPS9_S9_NSD_9__find_if7functorIS9_EEEE10hipError_tPvRmT1_T2_T3_mT4_P12ihipStream_tbEUlT_E0_NS1_11comp_targetILNS1_3genE10ELNS1_11target_archE1201ELNS1_3gpuE5ELNS1_3repE0EEENS1_30default_config_static_selectorELNS0_4arch9wavefront6targetE0EEEvS14_
		.amdhsa_group_segment_fixed_size 0
		.amdhsa_private_segment_fixed_size 0
		.amdhsa_kernarg_size 104
		.amdhsa_user_sgpr_count 2
		.amdhsa_user_sgpr_dispatch_ptr 0
		.amdhsa_user_sgpr_queue_ptr 0
		.amdhsa_user_sgpr_kernarg_segment_ptr 1
		.amdhsa_user_sgpr_dispatch_id 0
		.amdhsa_user_sgpr_kernarg_preload_length 0
		.amdhsa_user_sgpr_kernarg_preload_offset 0
		.amdhsa_user_sgpr_private_segment_size 0
		.amdhsa_wavefront_size32 1
		.amdhsa_uses_dynamic_stack 0
		.amdhsa_enable_private_segment 0
		.amdhsa_system_sgpr_workgroup_id_x 1
		.amdhsa_system_sgpr_workgroup_id_y 0
		.amdhsa_system_sgpr_workgroup_id_z 0
		.amdhsa_system_sgpr_workgroup_info 0
		.amdhsa_system_vgpr_workitem_id 0
		.amdhsa_next_free_vgpr 1
		.amdhsa_next_free_sgpr 1
		.amdhsa_named_barrier_count 0
		.amdhsa_reserve_vcc 0
		.amdhsa_float_round_mode_32 0
		.amdhsa_float_round_mode_16_64 0
		.amdhsa_float_denorm_mode_32 3
		.amdhsa_float_denorm_mode_16_64 3
		.amdhsa_fp16_overflow 0
		.amdhsa_memory_ordered 1
		.amdhsa_forward_progress 1
		.amdhsa_inst_pref_size 0
		.amdhsa_round_robin_scheduling 0
		.amdhsa_exception_fp_ieee_invalid_op 0
		.amdhsa_exception_fp_denorm_src 0
		.amdhsa_exception_fp_ieee_div_zero 0
		.amdhsa_exception_fp_ieee_overflow 0
		.amdhsa_exception_fp_ieee_underflow 0
		.amdhsa_exception_fp_ieee_inexact 0
		.amdhsa_exception_int_div_zero 0
	.end_amdhsa_kernel
	.section	.text._ZN7rocprim17ROCPRIM_400000_NS6detail17trampoline_kernelINS0_14default_configENS1_22reduce_config_selectorIN6thrust23THRUST_200600_302600_NS5tupleIblNS6_9null_typeES8_S8_S8_S8_S8_S8_S8_EEEEZNS1_11reduce_implILb1ES3_NS6_12zip_iteratorINS7_INS6_11hip_rocprim26transform_input_iterator_tIbNSD_35transform_pair_of_input_iterators_tIbNS6_6detail15normal_iteratorINS6_10device_ptrIKiEEEESL_NS6_8equal_toIiEEEENSG_9not_fun_tINSD_8identityEEEEENSD_19counting_iterator_tIlEES8_S8_S8_S8_S8_S8_S8_S8_EEEEPS9_S9_NSD_9__find_if7functorIS9_EEEE10hipError_tPvRmT1_T2_T3_mT4_P12ihipStream_tbEUlT_E0_NS1_11comp_targetILNS1_3genE10ELNS1_11target_archE1201ELNS1_3gpuE5ELNS1_3repE0EEENS1_30default_config_static_selectorELNS0_4arch9wavefront6targetE0EEEvS14_,"axG",@progbits,_ZN7rocprim17ROCPRIM_400000_NS6detail17trampoline_kernelINS0_14default_configENS1_22reduce_config_selectorIN6thrust23THRUST_200600_302600_NS5tupleIblNS6_9null_typeES8_S8_S8_S8_S8_S8_S8_EEEEZNS1_11reduce_implILb1ES3_NS6_12zip_iteratorINS7_INS6_11hip_rocprim26transform_input_iterator_tIbNSD_35transform_pair_of_input_iterators_tIbNS6_6detail15normal_iteratorINS6_10device_ptrIKiEEEESL_NS6_8equal_toIiEEEENSG_9not_fun_tINSD_8identityEEEEENSD_19counting_iterator_tIlEES8_S8_S8_S8_S8_S8_S8_S8_EEEEPS9_S9_NSD_9__find_if7functorIS9_EEEE10hipError_tPvRmT1_T2_T3_mT4_P12ihipStream_tbEUlT_E0_NS1_11comp_targetILNS1_3genE10ELNS1_11target_archE1201ELNS1_3gpuE5ELNS1_3repE0EEENS1_30default_config_static_selectorELNS0_4arch9wavefront6targetE0EEEvS14_,comdat
.Lfunc_end266:
	.size	_ZN7rocprim17ROCPRIM_400000_NS6detail17trampoline_kernelINS0_14default_configENS1_22reduce_config_selectorIN6thrust23THRUST_200600_302600_NS5tupleIblNS6_9null_typeES8_S8_S8_S8_S8_S8_S8_EEEEZNS1_11reduce_implILb1ES3_NS6_12zip_iteratorINS7_INS6_11hip_rocprim26transform_input_iterator_tIbNSD_35transform_pair_of_input_iterators_tIbNS6_6detail15normal_iteratorINS6_10device_ptrIKiEEEESL_NS6_8equal_toIiEEEENSG_9not_fun_tINSD_8identityEEEEENSD_19counting_iterator_tIlEES8_S8_S8_S8_S8_S8_S8_S8_EEEEPS9_S9_NSD_9__find_if7functorIS9_EEEE10hipError_tPvRmT1_T2_T3_mT4_P12ihipStream_tbEUlT_E0_NS1_11comp_targetILNS1_3genE10ELNS1_11target_archE1201ELNS1_3gpuE5ELNS1_3repE0EEENS1_30default_config_static_selectorELNS0_4arch9wavefront6targetE0EEEvS14_, .Lfunc_end266-_ZN7rocprim17ROCPRIM_400000_NS6detail17trampoline_kernelINS0_14default_configENS1_22reduce_config_selectorIN6thrust23THRUST_200600_302600_NS5tupleIblNS6_9null_typeES8_S8_S8_S8_S8_S8_S8_EEEEZNS1_11reduce_implILb1ES3_NS6_12zip_iteratorINS7_INS6_11hip_rocprim26transform_input_iterator_tIbNSD_35transform_pair_of_input_iterators_tIbNS6_6detail15normal_iteratorINS6_10device_ptrIKiEEEESL_NS6_8equal_toIiEEEENSG_9not_fun_tINSD_8identityEEEEENSD_19counting_iterator_tIlEES8_S8_S8_S8_S8_S8_S8_S8_EEEEPS9_S9_NSD_9__find_if7functorIS9_EEEE10hipError_tPvRmT1_T2_T3_mT4_P12ihipStream_tbEUlT_E0_NS1_11comp_targetILNS1_3genE10ELNS1_11target_archE1201ELNS1_3gpuE5ELNS1_3repE0EEENS1_30default_config_static_selectorELNS0_4arch9wavefront6targetE0EEEvS14_
                                        ; -- End function
	.set _ZN7rocprim17ROCPRIM_400000_NS6detail17trampoline_kernelINS0_14default_configENS1_22reduce_config_selectorIN6thrust23THRUST_200600_302600_NS5tupleIblNS6_9null_typeES8_S8_S8_S8_S8_S8_S8_EEEEZNS1_11reduce_implILb1ES3_NS6_12zip_iteratorINS7_INS6_11hip_rocprim26transform_input_iterator_tIbNSD_35transform_pair_of_input_iterators_tIbNS6_6detail15normal_iteratorINS6_10device_ptrIKiEEEESL_NS6_8equal_toIiEEEENSG_9not_fun_tINSD_8identityEEEEENSD_19counting_iterator_tIlEES8_S8_S8_S8_S8_S8_S8_S8_EEEEPS9_S9_NSD_9__find_if7functorIS9_EEEE10hipError_tPvRmT1_T2_T3_mT4_P12ihipStream_tbEUlT_E0_NS1_11comp_targetILNS1_3genE10ELNS1_11target_archE1201ELNS1_3gpuE5ELNS1_3repE0EEENS1_30default_config_static_selectorELNS0_4arch9wavefront6targetE0EEEvS14_.num_vgpr, 0
	.set _ZN7rocprim17ROCPRIM_400000_NS6detail17trampoline_kernelINS0_14default_configENS1_22reduce_config_selectorIN6thrust23THRUST_200600_302600_NS5tupleIblNS6_9null_typeES8_S8_S8_S8_S8_S8_S8_EEEEZNS1_11reduce_implILb1ES3_NS6_12zip_iteratorINS7_INS6_11hip_rocprim26transform_input_iterator_tIbNSD_35transform_pair_of_input_iterators_tIbNS6_6detail15normal_iteratorINS6_10device_ptrIKiEEEESL_NS6_8equal_toIiEEEENSG_9not_fun_tINSD_8identityEEEEENSD_19counting_iterator_tIlEES8_S8_S8_S8_S8_S8_S8_S8_EEEEPS9_S9_NSD_9__find_if7functorIS9_EEEE10hipError_tPvRmT1_T2_T3_mT4_P12ihipStream_tbEUlT_E0_NS1_11comp_targetILNS1_3genE10ELNS1_11target_archE1201ELNS1_3gpuE5ELNS1_3repE0EEENS1_30default_config_static_selectorELNS0_4arch9wavefront6targetE0EEEvS14_.num_agpr, 0
	.set _ZN7rocprim17ROCPRIM_400000_NS6detail17trampoline_kernelINS0_14default_configENS1_22reduce_config_selectorIN6thrust23THRUST_200600_302600_NS5tupleIblNS6_9null_typeES8_S8_S8_S8_S8_S8_S8_EEEEZNS1_11reduce_implILb1ES3_NS6_12zip_iteratorINS7_INS6_11hip_rocprim26transform_input_iterator_tIbNSD_35transform_pair_of_input_iterators_tIbNS6_6detail15normal_iteratorINS6_10device_ptrIKiEEEESL_NS6_8equal_toIiEEEENSG_9not_fun_tINSD_8identityEEEEENSD_19counting_iterator_tIlEES8_S8_S8_S8_S8_S8_S8_S8_EEEEPS9_S9_NSD_9__find_if7functorIS9_EEEE10hipError_tPvRmT1_T2_T3_mT4_P12ihipStream_tbEUlT_E0_NS1_11comp_targetILNS1_3genE10ELNS1_11target_archE1201ELNS1_3gpuE5ELNS1_3repE0EEENS1_30default_config_static_selectorELNS0_4arch9wavefront6targetE0EEEvS14_.numbered_sgpr, 0
	.set _ZN7rocprim17ROCPRIM_400000_NS6detail17trampoline_kernelINS0_14default_configENS1_22reduce_config_selectorIN6thrust23THRUST_200600_302600_NS5tupleIblNS6_9null_typeES8_S8_S8_S8_S8_S8_S8_EEEEZNS1_11reduce_implILb1ES3_NS6_12zip_iteratorINS7_INS6_11hip_rocprim26transform_input_iterator_tIbNSD_35transform_pair_of_input_iterators_tIbNS6_6detail15normal_iteratorINS6_10device_ptrIKiEEEESL_NS6_8equal_toIiEEEENSG_9not_fun_tINSD_8identityEEEEENSD_19counting_iterator_tIlEES8_S8_S8_S8_S8_S8_S8_S8_EEEEPS9_S9_NSD_9__find_if7functorIS9_EEEE10hipError_tPvRmT1_T2_T3_mT4_P12ihipStream_tbEUlT_E0_NS1_11comp_targetILNS1_3genE10ELNS1_11target_archE1201ELNS1_3gpuE5ELNS1_3repE0EEENS1_30default_config_static_selectorELNS0_4arch9wavefront6targetE0EEEvS14_.num_named_barrier, 0
	.set _ZN7rocprim17ROCPRIM_400000_NS6detail17trampoline_kernelINS0_14default_configENS1_22reduce_config_selectorIN6thrust23THRUST_200600_302600_NS5tupleIblNS6_9null_typeES8_S8_S8_S8_S8_S8_S8_EEEEZNS1_11reduce_implILb1ES3_NS6_12zip_iteratorINS7_INS6_11hip_rocprim26transform_input_iterator_tIbNSD_35transform_pair_of_input_iterators_tIbNS6_6detail15normal_iteratorINS6_10device_ptrIKiEEEESL_NS6_8equal_toIiEEEENSG_9not_fun_tINSD_8identityEEEEENSD_19counting_iterator_tIlEES8_S8_S8_S8_S8_S8_S8_S8_EEEEPS9_S9_NSD_9__find_if7functorIS9_EEEE10hipError_tPvRmT1_T2_T3_mT4_P12ihipStream_tbEUlT_E0_NS1_11comp_targetILNS1_3genE10ELNS1_11target_archE1201ELNS1_3gpuE5ELNS1_3repE0EEENS1_30default_config_static_selectorELNS0_4arch9wavefront6targetE0EEEvS14_.private_seg_size, 0
	.set _ZN7rocprim17ROCPRIM_400000_NS6detail17trampoline_kernelINS0_14default_configENS1_22reduce_config_selectorIN6thrust23THRUST_200600_302600_NS5tupleIblNS6_9null_typeES8_S8_S8_S8_S8_S8_S8_EEEEZNS1_11reduce_implILb1ES3_NS6_12zip_iteratorINS7_INS6_11hip_rocprim26transform_input_iterator_tIbNSD_35transform_pair_of_input_iterators_tIbNS6_6detail15normal_iteratorINS6_10device_ptrIKiEEEESL_NS6_8equal_toIiEEEENSG_9not_fun_tINSD_8identityEEEEENSD_19counting_iterator_tIlEES8_S8_S8_S8_S8_S8_S8_S8_EEEEPS9_S9_NSD_9__find_if7functorIS9_EEEE10hipError_tPvRmT1_T2_T3_mT4_P12ihipStream_tbEUlT_E0_NS1_11comp_targetILNS1_3genE10ELNS1_11target_archE1201ELNS1_3gpuE5ELNS1_3repE0EEENS1_30default_config_static_selectorELNS0_4arch9wavefront6targetE0EEEvS14_.uses_vcc, 0
	.set _ZN7rocprim17ROCPRIM_400000_NS6detail17trampoline_kernelINS0_14default_configENS1_22reduce_config_selectorIN6thrust23THRUST_200600_302600_NS5tupleIblNS6_9null_typeES8_S8_S8_S8_S8_S8_S8_EEEEZNS1_11reduce_implILb1ES3_NS6_12zip_iteratorINS7_INS6_11hip_rocprim26transform_input_iterator_tIbNSD_35transform_pair_of_input_iterators_tIbNS6_6detail15normal_iteratorINS6_10device_ptrIKiEEEESL_NS6_8equal_toIiEEEENSG_9not_fun_tINSD_8identityEEEEENSD_19counting_iterator_tIlEES8_S8_S8_S8_S8_S8_S8_S8_EEEEPS9_S9_NSD_9__find_if7functorIS9_EEEE10hipError_tPvRmT1_T2_T3_mT4_P12ihipStream_tbEUlT_E0_NS1_11comp_targetILNS1_3genE10ELNS1_11target_archE1201ELNS1_3gpuE5ELNS1_3repE0EEENS1_30default_config_static_selectorELNS0_4arch9wavefront6targetE0EEEvS14_.uses_flat_scratch, 0
	.set _ZN7rocprim17ROCPRIM_400000_NS6detail17trampoline_kernelINS0_14default_configENS1_22reduce_config_selectorIN6thrust23THRUST_200600_302600_NS5tupleIblNS6_9null_typeES8_S8_S8_S8_S8_S8_S8_EEEEZNS1_11reduce_implILb1ES3_NS6_12zip_iteratorINS7_INS6_11hip_rocprim26transform_input_iterator_tIbNSD_35transform_pair_of_input_iterators_tIbNS6_6detail15normal_iteratorINS6_10device_ptrIKiEEEESL_NS6_8equal_toIiEEEENSG_9not_fun_tINSD_8identityEEEEENSD_19counting_iterator_tIlEES8_S8_S8_S8_S8_S8_S8_S8_EEEEPS9_S9_NSD_9__find_if7functorIS9_EEEE10hipError_tPvRmT1_T2_T3_mT4_P12ihipStream_tbEUlT_E0_NS1_11comp_targetILNS1_3genE10ELNS1_11target_archE1201ELNS1_3gpuE5ELNS1_3repE0EEENS1_30default_config_static_selectorELNS0_4arch9wavefront6targetE0EEEvS14_.has_dyn_sized_stack, 0
	.set _ZN7rocprim17ROCPRIM_400000_NS6detail17trampoline_kernelINS0_14default_configENS1_22reduce_config_selectorIN6thrust23THRUST_200600_302600_NS5tupleIblNS6_9null_typeES8_S8_S8_S8_S8_S8_S8_EEEEZNS1_11reduce_implILb1ES3_NS6_12zip_iteratorINS7_INS6_11hip_rocprim26transform_input_iterator_tIbNSD_35transform_pair_of_input_iterators_tIbNS6_6detail15normal_iteratorINS6_10device_ptrIKiEEEESL_NS6_8equal_toIiEEEENSG_9not_fun_tINSD_8identityEEEEENSD_19counting_iterator_tIlEES8_S8_S8_S8_S8_S8_S8_S8_EEEEPS9_S9_NSD_9__find_if7functorIS9_EEEE10hipError_tPvRmT1_T2_T3_mT4_P12ihipStream_tbEUlT_E0_NS1_11comp_targetILNS1_3genE10ELNS1_11target_archE1201ELNS1_3gpuE5ELNS1_3repE0EEENS1_30default_config_static_selectorELNS0_4arch9wavefront6targetE0EEEvS14_.has_recursion, 0
	.set _ZN7rocprim17ROCPRIM_400000_NS6detail17trampoline_kernelINS0_14default_configENS1_22reduce_config_selectorIN6thrust23THRUST_200600_302600_NS5tupleIblNS6_9null_typeES8_S8_S8_S8_S8_S8_S8_EEEEZNS1_11reduce_implILb1ES3_NS6_12zip_iteratorINS7_INS6_11hip_rocprim26transform_input_iterator_tIbNSD_35transform_pair_of_input_iterators_tIbNS6_6detail15normal_iteratorINS6_10device_ptrIKiEEEESL_NS6_8equal_toIiEEEENSG_9not_fun_tINSD_8identityEEEEENSD_19counting_iterator_tIlEES8_S8_S8_S8_S8_S8_S8_S8_EEEEPS9_S9_NSD_9__find_if7functorIS9_EEEE10hipError_tPvRmT1_T2_T3_mT4_P12ihipStream_tbEUlT_E0_NS1_11comp_targetILNS1_3genE10ELNS1_11target_archE1201ELNS1_3gpuE5ELNS1_3repE0EEENS1_30default_config_static_selectorELNS0_4arch9wavefront6targetE0EEEvS14_.has_indirect_call, 0
	.section	.AMDGPU.csdata,"",@progbits
; Kernel info:
; codeLenInByte = 0
; TotalNumSgprs: 0
; NumVgprs: 0
; ScratchSize: 0
; MemoryBound: 0
; FloatMode: 240
; IeeeMode: 1
; LDSByteSize: 0 bytes/workgroup (compile time only)
; SGPRBlocks: 0
; VGPRBlocks: 0
; NumSGPRsForWavesPerEU: 1
; NumVGPRsForWavesPerEU: 1
; NamedBarCnt: 0
; Occupancy: 16
; WaveLimiterHint : 0
; COMPUTE_PGM_RSRC2:SCRATCH_EN: 0
; COMPUTE_PGM_RSRC2:USER_SGPR: 2
; COMPUTE_PGM_RSRC2:TRAP_HANDLER: 0
; COMPUTE_PGM_RSRC2:TGID_X_EN: 1
; COMPUTE_PGM_RSRC2:TGID_Y_EN: 0
; COMPUTE_PGM_RSRC2:TGID_Z_EN: 0
; COMPUTE_PGM_RSRC2:TIDIG_COMP_CNT: 0
	.section	.text._ZN7rocprim17ROCPRIM_400000_NS6detail17trampoline_kernelINS0_14default_configENS1_22reduce_config_selectorIN6thrust23THRUST_200600_302600_NS5tupleIblNS6_9null_typeES8_S8_S8_S8_S8_S8_S8_EEEEZNS1_11reduce_implILb1ES3_NS6_12zip_iteratorINS7_INS6_11hip_rocprim26transform_input_iterator_tIbNSD_35transform_pair_of_input_iterators_tIbNS6_6detail15normal_iteratorINS6_10device_ptrIKiEEEESL_NS6_8equal_toIiEEEENSG_9not_fun_tINSD_8identityEEEEENSD_19counting_iterator_tIlEES8_S8_S8_S8_S8_S8_S8_S8_EEEEPS9_S9_NSD_9__find_if7functorIS9_EEEE10hipError_tPvRmT1_T2_T3_mT4_P12ihipStream_tbEUlT_E0_NS1_11comp_targetILNS1_3genE10ELNS1_11target_archE1200ELNS1_3gpuE4ELNS1_3repE0EEENS1_30default_config_static_selectorELNS0_4arch9wavefront6targetE0EEEvS14_,"axG",@progbits,_ZN7rocprim17ROCPRIM_400000_NS6detail17trampoline_kernelINS0_14default_configENS1_22reduce_config_selectorIN6thrust23THRUST_200600_302600_NS5tupleIblNS6_9null_typeES8_S8_S8_S8_S8_S8_S8_EEEEZNS1_11reduce_implILb1ES3_NS6_12zip_iteratorINS7_INS6_11hip_rocprim26transform_input_iterator_tIbNSD_35transform_pair_of_input_iterators_tIbNS6_6detail15normal_iteratorINS6_10device_ptrIKiEEEESL_NS6_8equal_toIiEEEENSG_9not_fun_tINSD_8identityEEEEENSD_19counting_iterator_tIlEES8_S8_S8_S8_S8_S8_S8_S8_EEEEPS9_S9_NSD_9__find_if7functorIS9_EEEE10hipError_tPvRmT1_T2_T3_mT4_P12ihipStream_tbEUlT_E0_NS1_11comp_targetILNS1_3genE10ELNS1_11target_archE1200ELNS1_3gpuE4ELNS1_3repE0EEENS1_30default_config_static_selectorELNS0_4arch9wavefront6targetE0EEEvS14_,comdat
	.protected	_ZN7rocprim17ROCPRIM_400000_NS6detail17trampoline_kernelINS0_14default_configENS1_22reduce_config_selectorIN6thrust23THRUST_200600_302600_NS5tupleIblNS6_9null_typeES8_S8_S8_S8_S8_S8_S8_EEEEZNS1_11reduce_implILb1ES3_NS6_12zip_iteratorINS7_INS6_11hip_rocprim26transform_input_iterator_tIbNSD_35transform_pair_of_input_iterators_tIbNS6_6detail15normal_iteratorINS6_10device_ptrIKiEEEESL_NS6_8equal_toIiEEEENSG_9not_fun_tINSD_8identityEEEEENSD_19counting_iterator_tIlEES8_S8_S8_S8_S8_S8_S8_S8_EEEEPS9_S9_NSD_9__find_if7functorIS9_EEEE10hipError_tPvRmT1_T2_T3_mT4_P12ihipStream_tbEUlT_E0_NS1_11comp_targetILNS1_3genE10ELNS1_11target_archE1200ELNS1_3gpuE4ELNS1_3repE0EEENS1_30default_config_static_selectorELNS0_4arch9wavefront6targetE0EEEvS14_ ; -- Begin function _ZN7rocprim17ROCPRIM_400000_NS6detail17trampoline_kernelINS0_14default_configENS1_22reduce_config_selectorIN6thrust23THRUST_200600_302600_NS5tupleIblNS6_9null_typeES8_S8_S8_S8_S8_S8_S8_EEEEZNS1_11reduce_implILb1ES3_NS6_12zip_iteratorINS7_INS6_11hip_rocprim26transform_input_iterator_tIbNSD_35transform_pair_of_input_iterators_tIbNS6_6detail15normal_iteratorINS6_10device_ptrIKiEEEESL_NS6_8equal_toIiEEEENSG_9not_fun_tINSD_8identityEEEEENSD_19counting_iterator_tIlEES8_S8_S8_S8_S8_S8_S8_S8_EEEEPS9_S9_NSD_9__find_if7functorIS9_EEEE10hipError_tPvRmT1_T2_T3_mT4_P12ihipStream_tbEUlT_E0_NS1_11comp_targetILNS1_3genE10ELNS1_11target_archE1200ELNS1_3gpuE4ELNS1_3repE0EEENS1_30default_config_static_selectorELNS0_4arch9wavefront6targetE0EEEvS14_
	.globl	_ZN7rocprim17ROCPRIM_400000_NS6detail17trampoline_kernelINS0_14default_configENS1_22reduce_config_selectorIN6thrust23THRUST_200600_302600_NS5tupleIblNS6_9null_typeES8_S8_S8_S8_S8_S8_S8_EEEEZNS1_11reduce_implILb1ES3_NS6_12zip_iteratorINS7_INS6_11hip_rocprim26transform_input_iterator_tIbNSD_35transform_pair_of_input_iterators_tIbNS6_6detail15normal_iteratorINS6_10device_ptrIKiEEEESL_NS6_8equal_toIiEEEENSG_9not_fun_tINSD_8identityEEEEENSD_19counting_iterator_tIlEES8_S8_S8_S8_S8_S8_S8_S8_EEEEPS9_S9_NSD_9__find_if7functorIS9_EEEE10hipError_tPvRmT1_T2_T3_mT4_P12ihipStream_tbEUlT_E0_NS1_11comp_targetILNS1_3genE10ELNS1_11target_archE1200ELNS1_3gpuE4ELNS1_3repE0EEENS1_30default_config_static_selectorELNS0_4arch9wavefront6targetE0EEEvS14_
	.p2align	8
	.type	_ZN7rocprim17ROCPRIM_400000_NS6detail17trampoline_kernelINS0_14default_configENS1_22reduce_config_selectorIN6thrust23THRUST_200600_302600_NS5tupleIblNS6_9null_typeES8_S8_S8_S8_S8_S8_S8_EEEEZNS1_11reduce_implILb1ES3_NS6_12zip_iteratorINS7_INS6_11hip_rocprim26transform_input_iterator_tIbNSD_35transform_pair_of_input_iterators_tIbNS6_6detail15normal_iteratorINS6_10device_ptrIKiEEEESL_NS6_8equal_toIiEEEENSG_9not_fun_tINSD_8identityEEEEENSD_19counting_iterator_tIlEES8_S8_S8_S8_S8_S8_S8_S8_EEEEPS9_S9_NSD_9__find_if7functorIS9_EEEE10hipError_tPvRmT1_T2_T3_mT4_P12ihipStream_tbEUlT_E0_NS1_11comp_targetILNS1_3genE10ELNS1_11target_archE1200ELNS1_3gpuE4ELNS1_3repE0EEENS1_30default_config_static_selectorELNS0_4arch9wavefront6targetE0EEEvS14_,@function
_ZN7rocprim17ROCPRIM_400000_NS6detail17trampoline_kernelINS0_14default_configENS1_22reduce_config_selectorIN6thrust23THRUST_200600_302600_NS5tupleIblNS6_9null_typeES8_S8_S8_S8_S8_S8_S8_EEEEZNS1_11reduce_implILb1ES3_NS6_12zip_iteratorINS7_INS6_11hip_rocprim26transform_input_iterator_tIbNSD_35transform_pair_of_input_iterators_tIbNS6_6detail15normal_iteratorINS6_10device_ptrIKiEEEESL_NS6_8equal_toIiEEEENSG_9not_fun_tINSD_8identityEEEEENSD_19counting_iterator_tIlEES8_S8_S8_S8_S8_S8_S8_S8_EEEEPS9_S9_NSD_9__find_if7functorIS9_EEEE10hipError_tPvRmT1_T2_T3_mT4_P12ihipStream_tbEUlT_E0_NS1_11comp_targetILNS1_3genE10ELNS1_11target_archE1200ELNS1_3gpuE4ELNS1_3repE0EEENS1_30default_config_static_selectorELNS0_4arch9wavefront6targetE0EEEvS14_: ; @_ZN7rocprim17ROCPRIM_400000_NS6detail17trampoline_kernelINS0_14default_configENS1_22reduce_config_selectorIN6thrust23THRUST_200600_302600_NS5tupleIblNS6_9null_typeES8_S8_S8_S8_S8_S8_S8_EEEEZNS1_11reduce_implILb1ES3_NS6_12zip_iteratorINS7_INS6_11hip_rocprim26transform_input_iterator_tIbNSD_35transform_pair_of_input_iterators_tIbNS6_6detail15normal_iteratorINS6_10device_ptrIKiEEEESL_NS6_8equal_toIiEEEENSG_9not_fun_tINSD_8identityEEEEENSD_19counting_iterator_tIlEES8_S8_S8_S8_S8_S8_S8_S8_EEEEPS9_S9_NSD_9__find_if7functorIS9_EEEE10hipError_tPvRmT1_T2_T3_mT4_P12ihipStream_tbEUlT_E0_NS1_11comp_targetILNS1_3genE10ELNS1_11target_archE1200ELNS1_3gpuE4ELNS1_3repE0EEENS1_30default_config_static_selectorELNS0_4arch9wavefront6targetE0EEEvS14_
; %bb.0:
	.section	.rodata,"a",@progbits
	.p2align	6, 0x0
	.amdhsa_kernel _ZN7rocprim17ROCPRIM_400000_NS6detail17trampoline_kernelINS0_14default_configENS1_22reduce_config_selectorIN6thrust23THRUST_200600_302600_NS5tupleIblNS6_9null_typeES8_S8_S8_S8_S8_S8_S8_EEEEZNS1_11reduce_implILb1ES3_NS6_12zip_iteratorINS7_INS6_11hip_rocprim26transform_input_iterator_tIbNSD_35transform_pair_of_input_iterators_tIbNS6_6detail15normal_iteratorINS6_10device_ptrIKiEEEESL_NS6_8equal_toIiEEEENSG_9not_fun_tINSD_8identityEEEEENSD_19counting_iterator_tIlEES8_S8_S8_S8_S8_S8_S8_S8_EEEEPS9_S9_NSD_9__find_if7functorIS9_EEEE10hipError_tPvRmT1_T2_T3_mT4_P12ihipStream_tbEUlT_E0_NS1_11comp_targetILNS1_3genE10ELNS1_11target_archE1200ELNS1_3gpuE4ELNS1_3repE0EEENS1_30default_config_static_selectorELNS0_4arch9wavefront6targetE0EEEvS14_
		.amdhsa_group_segment_fixed_size 0
		.amdhsa_private_segment_fixed_size 0
		.amdhsa_kernarg_size 104
		.amdhsa_user_sgpr_count 2
		.amdhsa_user_sgpr_dispatch_ptr 0
		.amdhsa_user_sgpr_queue_ptr 0
		.amdhsa_user_sgpr_kernarg_segment_ptr 1
		.amdhsa_user_sgpr_dispatch_id 0
		.amdhsa_user_sgpr_kernarg_preload_length 0
		.amdhsa_user_sgpr_kernarg_preload_offset 0
		.amdhsa_user_sgpr_private_segment_size 0
		.amdhsa_wavefront_size32 1
		.amdhsa_uses_dynamic_stack 0
		.amdhsa_enable_private_segment 0
		.amdhsa_system_sgpr_workgroup_id_x 1
		.amdhsa_system_sgpr_workgroup_id_y 0
		.amdhsa_system_sgpr_workgroup_id_z 0
		.amdhsa_system_sgpr_workgroup_info 0
		.amdhsa_system_vgpr_workitem_id 0
		.amdhsa_next_free_vgpr 1
		.amdhsa_next_free_sgpr 1
		.amdhsa_named_barrier_count 0
		.amdhsa_reserve_vcc 0
		.amdhsa_float_round_mode_32 0
		.amdhsa_float_round_mode_16_64 0
		.amdhsa_float_denorm_mode_32 3
		.amdhsa_float_denorm_mode_16_64 3
		.amdhsa_fp16_overflow 0
		.amdhsa_memory_ordered 1
		.amdhsa_forward_progress 1
		.amdhsa_inst_pref_size 0
		.amdhsa_round_robin_scheduling 0
		.amdhsa_exception_fp_ieee_invalid_op 0
		.amdhsa_exception_fp_denorm_src 0
		.amdhsa_exception_fp_ieee_div_zero 0
		.amdhsa_exception_fp_ieee_overflow 0
		.amdhsa_exception_fp_ieee_underflow 0
		.amdhsa_exception_fp_ieee_inexact 0
		.amdhsa_exception_int_div_zero 0
	.end_amdhsa_kernel
	.section	.text._ZN7rocprim17ROCPRIM_400000_NS6detail17trampoline_kernelINS0_14default_configENS1_22reduce_config_selectorIN6thrust23THRUST_200600_302600_NS5tupleIblNS6_9null_typeES8_S8_S8_S8_S8_S8_S8_EEEEZNS1_11reduce_implILb1ES3_NS6_12zip_iteratorINS7_INS6_11hip_rocprim26transform_input_iterator_tIbNSD_35transform_pair_of_input_iterators_tIbNS6_6detail15normal_iteratorINS6_10device_ptrIKiEEEESL_NS6_8equal_toIiEEEENSG_9not_fun_tINSD_8identityEEEEENSD_19counting_iterator_tIlEES8_S8_S8_S8_S8_S8_S8_S8_EEEEPS9_S9_NSD_9__find_if7functorIS9_EEEE10hipError_tPvRmT1_T2_T3_mT4_P12ihipStream_tbEUlT_E0_NS1_11comp_targetILNS1_3genE10ELNS1_11target_archE1200ELNS1_3gpuE4ELNS1_3repE0EEENS1_30default_config_static_selectorELNS0_4arch9wavefront6targetE0EEEvS14_,"axG",@progbits,_ZN7rocprim17ROCPRIM_400000_NS6detail17trampoline_kernelINS0_14default_configENS1_22reduce_config_selectorIN6thrust23THRUST_200600_302600_NS5tupleIblNS6_9null_typeES8_S8_S8_S8_S8_S8_S8_EEEEZNS1_11reduce_implILb1ES3_NS6_12zip_iteratorINS7_INS6_11hip_rocprim26transform_input_iterator_tIbNSD_35transform_pair_of_input_iterators_tIbNS6_6detail15normal_iteratorINS6_10device_ptrIKiEEEESL_NS6_8equal_toIiEEEENSG_9not_fun_tINSD_8identityEEEEENSD_19counting_iterator_tIlEES8_S8_S8_S8_S8_S8_S8_S8_EEEEPS9_S9_NSD_9__find_if7functorIS9_EEEE10hipError_tPvRmT1_T2_T3_mT4_P12ihipStream_tbEUlT_E0_NS1_11comp_targetILNS1_3genE10ELNS1_11target_archE1200ELNS1_3gpuE4ELNS1_3repE0EEENS1_30default_config_static_selectorELNS0_4arch9wavefront6targetE0EEEvS14_,comdat
.Lfunc_end267:
	.size	_ZN7rocprim17ROCPRIM_400000_NS6detail17trampoline_kernelINS0_14default_configENS1_22reduce_config_selectorIN6thrust23THRUST_200600_302600_NS5tupleIblNS6_9null_typeES8_S8_S8_S8_S8_S8_S8_EEEEZNS1_11reduce_implILb1ES3_NS6_12zip_iteratorINS7_INS6_11hip_rocprim26transform_input_iterator_tIbNSD_35transform_pair_of_input_iterators_tIbNS6_6detail15normal_iteratorINS6_10device_ptrIKiEEEESL_NS6_8equal_toIiEEEENSG_9not_fun_tINSD_8identityEEEEENSD_19counting_iterator_tIlEES8_S8_S8_S8_S8_S8_S8_S8_EEEEPS9_S9_NSD_9__find_if7functorIS9_EEEE10hipError_tPvRmT1_T2_T3_mT4_P12ihipStream_tbEUlT_E0_NS1_11comp_targetILNS1_3genE10ELNS1_11target_archE1200ELNS1_3gpuE4ELNS1_3repE0EEENS1_30default_config_static_selectorELNS0_4arch9wavefront6targetE0EEEvS14_, .Lfunc_end267-_ZN7rocprim17ROCPRIM_400000_NS6detail17trampoline_kernelINS0_14default_configENS1_22reduce_config_selectorIN6thrust23THRUST_200600_302600_NS5tupleIblNS6_9null_typeES8_S8_S8_S8_S8_S8_S8_EEEEZNS1_11reduce_implILb1ES3_NS6_12zip_iteratorINS7_INS6_11hip_rocprim26transform_input_iterator_tIbNSD_35transform_pair_of_input_iterators_tIbNS6_6detail15normal_iteratorINS6_10device_ptrIKiEEEESL_NS6_8equal_toIiEEEENSG_9not_fun_tINSD_8identityEEEEENSD_19counting_iterator_tIlEES8_S8_S8_S8_S8_S8_S8_S8_EEEEPS9_S9_NSD_9__find_if7functorIS9_EEEE10hipError_tPvRmT1_T2_T3_mT4_P12ihipStream_tbEUlT_E0_NS1_11comp_targetILNS1_3genE10ELNS1_11target_archE1200ELNS1_3gpuE4ELNS1_3repE0EEENS1_30default_config_static_selectorELNS0_4arch9wavefront6targetE0EEEvS14_
                                        ; -- End function
	.set _ZN7rocprim17ROCPRIM_400000_NS6detail17trampoline_kernelINS0_14default_configENS1_22reduce_config_selectorIN6thrust23THRUST_200600_302600_NS5tupleIblNS6_9null_typeES8_S8_S8_S8_S8_S8_S8_EEEEZNS1_11reduce_implILb1ES3_NS6_12zip_iteratorINS7_INS6_11hip_rocprim26transform_input_iterator_tIbNSD_35transform_pair_of_input_iterators_tIbNS6_6detail15normal_iteratorINS6_10device_ptrIKiEEEESL_NS6_8equal_toIiEEEENSG_9not_fun_tINSD_8identityEEEEENSD_19counting_iterator_tIlEES8_S8_S8_S8_S8_S8_S8_S8_EEEEPS9_S9_NSD_9__find_if7functorIS9_EEEE10hipError_tPvRmT1_T2_T3_mT4_P12ihipStream_tbEUlT_E0_NS1_11comp_targetILNS1_3genE10ELNS1_11target_archE1200ELNS1_3gpuE4ELNS1_3repE0EEENS1_30default_config_static_selectorELNS0_4arch9wavefront6targetE0EEEvS14_.num_vgpr, 0
	.set _ZN7rocprim17ROCPRIM_400000_NS6detail17trampoline_kernelINS0_14default_configENS1_22reduce_config_selectorIN6thrust23THRUST_200600_302600_NS5tupleIblNS6_9null_typeES8_S8_S8_S8_S8_S8_S8_EEEEZNS1_11reduce_implILb1ES3_NS6_12zip_iteratorINS7_INS6_11hip_rocprim26transform_input_iterator_tIbNSD_35transform_pair_of_input_iterators_tIbNS6_6detail15normal_iteratorINS6_10device_ptrIKiEEEESL_NS6_8equal_toIiEEEENSG_9not_fun_tINSD_8identityEEEEENSD_19counting_iterator_tIlEES8_S8_S8_S8_S8_S8_S8_S8_EEEEPS9_S9_NSD_9__find_if7functorIS9_EEEE10hipError_tPvRmT1_T2_T3_mT4_P12ihipStream_tbEUlT_E0_NS1_11comp_targetILNS1_3genE10ELNS1_11target_archE1200ELNS1_3gpuE4ELNS1_3repE0EEENS1_30default_config_static_selectorELNS0_4arch9wavefront6targetE0EEEvS14_.num_agpr, 0
	.set _ZN7rocprim17ROCPRIM_400000_NS6detail17trampoline_kernelINS0_14default_configENS1_22reduce_config_selectorIN6thrust23THRUST_200600_302600_NS5tupleIblNS6_9null_typeES8_S8_S8_S8_S8_S8_S8_EEEEZNS1_11reduce_implILb1ES3_NS6_12zip_iteratorINS7_INS6_11hip_rocprim26transform_input_iterator_tIbNSD_35transform_pair_of_input_iterators_tIbNS6_6detail15normal_iteratorINS6_10device_ptrIKiEEEESL_NS6_8equal_toIiEEEENSG_9not_fun_tINSD_8identityEEEEENSD_19counting_iterator_tIlEES8_S8_S8_S8_S8_S8_S8_S8_EEEEPS9_S9_NSD_9__find_if7functorIS9_EEEE10hipError_tPvRmT1_T2_T3_mT4_P12ihipStream_tbEUlT_E0_NS1_11comp_targetILNS1_3genE10ELNS1_11target_archE1200ELNS1_3gpuE4ELNS1_3repE0EEENS1_30default_config_static_selectorELNS0_4arch9wavefront6targetE0EEEvS14_.numbered_sgpr, 0
	.set _ZN7rocprim17ROCPRIM_400000_NS6detail17trampoline_kernelINS0_14default_configENS1_22reduce_config_selectorIN6thrust23THRUST_200600_302600_NS5tupleIblNS6_9null_typeES8_S8_S8_S8_S8_S8_S8_EEEEZNS1_11reduce_implILb1ES3_NS6_12zip_iteratorINS7_INS6_11hip_rocprim26transform_input_iterator_tIbNSD_35transform_pair_of_input_iterators_tIbNS6_6detail15normal_iteratorINS6_10device_ptrIKiEEEESL_NS6_8equal_toIiEEEENSG_9not_fun_tINSD_8identityEEEEENSD_19counting_iterator_tIlEES8_S8_S8_S8_S8_S8_S8_S8_EEEEPS9_S9_NSD_9__find_if7functorIS9_EEEE10hipError_tPvRmT1_T2_T3_mT4_P12ihipStream_tbEUlT_E0_NS1_11comp_targetILNS1_3genE10ELNS1_11target_archE1200ELNS1_3gpuE4ELNS1_3repE0EEENS1_30default_config_static_selectorELNS0_4arch9wavefront6targetE0EEEvS14_.num_named_barrier, 0
	.set _ZN7rocprim17ROCPRIM_400000_NS6detail17trampoline_kernelINS0_14default_configENS1_22reduce_config_selectorIN6thrust23THRUST_200600_302600_NS5tupleIblNS6_9null_typeES8_S8_S8_S8_S8_S8_S8_EEEEZNS1_11reduce_implILb1ES3_NS6_12zip_iteratorINS7_INS6_11hip_rocprim26transform_input_iterator_tIbNSD_35transform_pair_of_input_iterators_tIbNS6_6detail15normal_iteratorINS6_10device_ptrIKiEEEESL_NS6_8equal_toIiEEEENSG_9not_fun_tINSD_8identityEEEEENSD_19counting_iterator_tIlEES8_S8_S8_S8_S8_S8_S8_S8_EEEEPS9_S9_NSD_9__find_if7functorIS9_EEEE10hipError_tPvRmT1_T2_T3_mT4_P12ihipStream_tbEUlT_E0_NS1_11comp_targetILNS1_3genE10ELNS1_11target_archE1200ELNS1_3gpuE4ELNS1_3repE0EEENS1_30default_config_static_selectorELNS0_4arch9wavefront6targetE0EEEvS14_.private_seg_size, 0
	.set _ZN7rocprim17ROCPRIM_400000_NS6detail17trampoline_kernelINS0_14default_configENS1_22reduce_config_selectorIN6thrust23THRUST_200600_302600_NS5tupleIblNS6_9null_typeES8_S8_S8_S8_S8_S8_S8_EEEEZNS1_11reduce_implILb1ES3_NS6_12zip_iteratorINS7_INS6_11hip_rocprim26transform_input_iterator_tIbNSD_35transform_pair_of_input_iterators_tIbNS6_6detail15normal_iteratorINS6_10device_ptrIKiEEEESL_NS6_8equal_toIiEEEENSG_9not_fun_tINSD_8identityEEEEENSD_19counting_iterator_tIlEES8_S8_S8_S8_S8_S8_S8_S8_EEEEPS9_S9_NSD_9__find_if7functorIS9_EEEE10hipError_tPvRmT1_T2_T3_mT4_P12ihipStream_tbEUlT_E0_NS1_11comp_targetILNS1_3genE10ELNS1_11target_archE1200ELNS1_3gpuE4ELNS1_3repE0EEENS1_30default_config_static_selectorELNS0_4arch9wavefront6targetE0EEEvS14_.uses_vcc, 0
	.set _ZN7rocprim17ROCPRIM_400000_NS6detail17trampoline_kernelINS0_14default_configENS1_22reduce_config_selectorIN6thrust23THRUST_200600_302600_NS5tupleIblNS6_9null_typeES8_S8_S8_S8_S8_S8_S8_EEEEZNS1_11reduce_implILb1ES3_NS6_12zip_iteratorINS7_INS6_11hip_rocprim26transform_input_iterator_tIbNSD_35transform_pair_of_input_iterators_tIbNS6_6detail15normal_iteratorINS6_10device_ptrIKiEEEESL_NS6_8equal_toIiEEEENSG_9not_fun_tINSD_8identityEEEEENSD_19counting_iterator_tIlEES8_S8_S8_S8_S8_S8_S8_S8_EEEEPS9_S9_NSD_9__find_if7functorIS9_EEEE10hipError_tPvRmT1_T2_T3_mT4_P12ihipStream_tbEUlT_E0_NS1_11comp_targetILNS1_3genE10ELNS1_11target_archE1200ELNS1_3gpuE4ELNS1_3repE0EEENS1_30default_config_static_selectorELNS0_4arch9wavefront6targetE0EEEvS14_.uses_flat_scratch, 0
	.set _ZN7rocprim17ROCPRIM_400000_NS6detail17trampoline_kernelINS0_14default_configENS1_22reduce_config_selectorIN6thrust23THRUST_200600_302600_NS5tupleIblNS6_9null_typeES8_S8_S8_S8_S8_S8_S8_EEEEZNS1_11reduce_implILb1ES3_NS6_12zip_iteratorINS7_INS6_11hip_rocprim26transform_input_iterator_tIbNSD_35transform_pair_of_input_iterators_tIbNS6_6detail15normal_iteratorINS6_10device_ptrIKiEEEESL_NS6_8equal_toIiEEEENSG_9not_fun_tINSD_8identityEEEEENSD_19counting_iterator_tIlEES8_S8_S8_S8_S8_S8_S8_S8_EEEEPS9_S9_NSD_9__find_if7functorIS9_EEEE10hipError_tPvRmT1_T2_T3_mT4_P12ihipStream_tbEUlT_E0_NS1_11comp_targetILNS1_3genE10ELNS1_11target_archE1200ELNS1_3gpuE4ELNS1_3repE0EEENS1_30default_config_static_selectorELNS0_4arch9wavefront6targetE0EEEvS14_.has_dyn_sized_stack, 0
	.set _ZN7rocprim17ROCPRIM_400000_NS6detail17trampoline_kernelINS0_14default_configENS1_22reduce_config_selectorIN6thrust23THRUST_200600_302600_NS5tupleIblNS6_9null_typeES8_S8_S8_S8_S8_S8_S8_EEEEZNS1_11reduce_implILb1ES3_NS6_12zip_iteratorINS7_INS6_11hip_rocprim26transform_input_iterator_tIbNSD_35transform_pair_of_input_iterators_tIbNS6_6detail15normal_iteratorINS6_10device_ptrIKiEEEESL_NS6_8equal_toIiEEEENSG_9not_fun_tINSD_8identityEEEEENSD_19counting_iterator_tIlEES8_S8_S8_S8_S8_S8_S8_S8_EEEEPS9_S9_NSD_9__find_if7functorIS9_EEEE10hipError_tPvRmT1_T2_T3_mT4_P12ihipStream_tbEUlT_E0_NS1_11comp_targetILNS1_3genE10ELNS1_11target_archE1200ELNS1_3gpuE4ELNS1_3repE0EEENS1_30default_config_static_selectorELNS0_4arch9wavefront6targetE0EEEvS14_.has_recursion, 0
	.set _ZN7rocprim17ROCPRIM_400000_NS6detail17trampoline_kernelINS0_14default_configENS1_22reduce_config_selectorIN6thrust23THRUST_200600_302600_NS5tupleIblNS6_9null_typeES8_S8_S8_S8_S8_S8_S8_EEEEZNS1_11reduce_implILb1ES3_NS6_12zip_iteratorINS7_INS6_11hip_rocprim26transform_input_iterator_tIbNSD_35transform_pair_of_input_iterators_tIbNS6_6detail15normal_iteratorINS6_10device_ptrIKiEEEESL_NS6_8equal_toIiEEEENSG_9not_fun_tINSD_8identityEEEEENSD_19counting_iterator_tIlEES8_S8_S8_S8_S8_S8_S8_S8_EEEEPS9_S9_NSD_9__find_if7functorIS9_EEEE10hipError_tPvRmT1_T2_T3_mT4_P12ihipStream_tbEUlT_E0_NS1_11comp_targetILNS1_3genE10ELNS1_11target_archE1200ELNS1_3gpuE4ELNS1_3repE0EEENS1_30default_config_static_selectorELNS0_4arch9wavefront6targetE0EEEvS14_.has_indirect_call, 0
	.section	.AMDGPU.csdata,"",@progbits
; Kernel info:
; codeLenInByte = 0
; TotalNumSgprs: 0
; NumVgprs: 0
; ScratchSize: 0
; MemoryBound: 0
; FloatMode: 240
; IeeeMode: 1
; LDSByteSize: 0 bytes/workgroup (compile time only)
; SGPRBlocks: 0
; VGPRBlocks: 0
; NumSGPRsForWavesPerEU: 1
; NumVGPRsForWavesPerEU: 1
; NamedBarCnt: 0
; Occupancy: 16
; WaveLimiterHint : 0
; COMPUTE_PGM_RSRC2:SCRATCH_EN: 0
; COMPUTE_PGM_RSRC2:USER_SGPR: 2
; COMPUTE_PGM_RSRC2:TRAP_HANDLER: 0
; COMPUTE_PGM_RSRC2:TGID_X_EN: 1
; COMPUTE_PGM_RSRC2:TGID_Y_EN: 0
; COMPUTE_PGM_RSRC2:TGID_Z_EN: 0
; COMPUTE_PGM_RSRC2:TIDIG_COMP_CNT: 0
	.section	.text._ZN7rocprim17ROCPRIM_400000_NS6detail17trampoline_kernelINS0_14default_configENS1_22reduce_config_selectorIN6thrust23THRUST_200600_302600_NS5tupleIblNS6_9null_typeES8_S8_S8_S8_S8_S8_S8_EEEEZNS1_11reduce_implILb1ES3_NS6_12zip_iteratorINS7_INS6_11hip_rocprim26transform_input_iterator_tIbNSD_35transform_pair_of_input_iterators_tIbNS6_6detail15normal_iteratorINS6_10device_ptrIKiEEEESL_NS6_8equal_toIiEEEENSG_9not_fun_tINSD_8identityEEEEENSD_19counting_iterator_tIlEES8_S8_S8_S8_S8_S8_S8_S8_EEEEPS9_S9_NSD_9__find_if7functorIS9_EEEE10hipError_tPvRmT1_T2_T3_mT4_P12ihipStream_tbEUlT_E0_NS1_11comp_targetILNS1_3genE9ELNS1_11target_archE1100ELNS1_3gpuE3ELNS1_3repE0EEENS1_30default_config_static_selectorELNS0_4arch9wavefront6targetE0EEEvS14_,"axG",@progbits,_ZN7rocprim17ROCPRIM_400000_NS6detail17trampoline_kernelINS0_14default_configENS1_22reduce_config_selectorIN6thrust23THRUST_200600_302600_NS5tupleIblNS6_9null_typeES8_S8_S8_S8_S8_S8_S8_EEEEZNS1_11reduce_implILb1ES3_NS6_12zip_iteratorINS7_INS6_11hip_rocprim26transform_input_iterator_tIbNSD_35transform_pair_of_input_iterators_tIbNS6_6detail15normal_iteratorINS6_10device_ptrIKiEEEESL_NS6_8equal_toIiEEEENSG_9not_fun_tINSD_8identityEEEEENSD_19counting_iterator_tIlEES8_S8_S8_S8_S8_S8_S8_S8_EEEEPS9_S9_NSD_9__find_if7functorIS9_EEEE10hipError_tPvRmT1_T2_T3_mT4_P12ihipStream_tbEUlT_E0_NS1_11comp_targetILNS1_3genE9ELNS1_11target_archE1100ELNS1_3gpuE3ELNS1_3repE0EEENS1_30default_config_static_selectorELNS0_4arch9wavefront6targetE0EEEvS14_,comdat
	.protected	_ZN7rocprim17ROCPRIM_400000_NS6detail17trampoline_kernelINS0_14default_configENS1_22reduce_config_selectorIN6thrust23THRUST_200600_302600_NS5tupleIblNS6_9null_typeES8_S8_S8_S8_S8_S8_S8_EEEEZNS1_11reduce_implILb1ES3_NS6_12zip_iteratorINS7_INS6_11hip_rocprim26transform_input_iterator_tIbNSD_35transform_pair_of_input_iterators_tIbNS6_6detail15normal_iteratorINS6_10device_ptrIKiEEEESL_NS6_8equal_toIiEEEENSG_9not_fun_tINSD_8identityEEEEENSD_19counting_iterator_tIlEES8_S8_S8_S8_S8_S8_S8_S8_EEEEPS9_S9_NSD_9__find_if7functorIS9_EEEE10hipError_tPvRmT1_T2_T3_mT4_P12ihipStream_tbEUlT_E0_NS1_11comp_targetILNS1_3genE9ELNS1_11target_archE1100ELNS1_3gpuE3ELNS1_3repE0EEENS1_30default_config_static_selectorELNS0_4arch9wavefront6targetE0EEEvS14_ ; -- Begin function _ZN7rocprim17ROCPRIM_400000_NS6detail17trampoline_kernelINS0_14default_configENS1_22reduce_config_selectorIN6thrust23THRUST_200600_302600_NS5tupleIblNS6_9null_typeES8_S8_S8_S8_S8_S8_S8_EEEEZNS1_11reduce_implILb1ES3_NS6_12zip_iteratorINS7_INS6_11hip_rocprim26transform_input_iterator_tIbNSD_35transform_pair_of_input_iterators_tIbNS6_6detail15normal_iteratorINS6_10device_ptrIKiEEEESL_NS6_8equal_toIiEEEENSG_9not_fun_tINSD_8identityEEEEENSD_19counting_iterator_tIlEES8_S8_S8_S8_S8_S8_S8_S8_EEEEPS9_S9_NSD_9__find_if7functorIS9_EEEE10hipError_tPvRmT1_T2_T3_mT4_P12ihipStream_tbEUlT_E0_NS1_11comp_targetILNS1_3genE9ELNS1_11target_archE1100ELNS1_3gpuE3ELNS1_3repE0EEENS1_30default_config_static_selectorELNS0_4arch9wavefront6targetE0EEEvS14_
	.globl	_ZN7rocprim17ROCPRIM_400000_NS6detail17trampoline_kernelINS0_14default_configENS1_22reduce_config_selectorIN6thrust23THRUST_200600_302600_NS5tupleIblNS6_9null_typeES8_S8_S8_S8_S8_S8_S8_EEEEZNS1_11reduce_implILb1ES3_NS6_12zip_iteratorINS7_INS6_11hip_rocprim26transform_input_iterator_tIbNSD_35transform_pair_of_input_iterators_tIbNS6_6detail15normal_iteratorINS6_10device_ptrIKiEEEESL_NS6_8equal_toIiEEEENSG_9not_fun_tINSD_8identityEEEEENSD_19counting_iterator_tIlEES8_S8_S8_S8_S8_S8_S8_S8_EEEEPS9_S9_NSD_9__find_if7functorIS9_EEEE10hipError_tPvRmT1_T2_T3_mT4_P12ihipStream_tbEUlT_E0_NS1_11comp_targetILNS1_3genE9ELNS1_11target_archE1100ELNS1_3gpuE3ELNS1_3repE0EEENS1_30default_config_static_selectorELNS0_4arch9wavefront6targetE0EEEvS14_
	.p2align	8
	.type	_ZN7rocprim17ROCPRIM_400000_NS6detail17trampoline_kernelINS0_14default_configENS1_22reduce_config_selectorIN6thrust23THRUST_200600_302600_NS5tupleIblNS6_9null_typeES8_S8_S8_S8_S8_S8_S8_EEEEZNS1_11reduce_implILb1ES3_NS6_12zip_iteratorINS7_INS6_11hip_rocprim26transform_input_iterator_tIbNSD_35transform_pair_of_input_iterators_tIbNS6_6detail15normal_iteratorINS6_10device_ptrIKiEEEESL_NS6_8equal_toIiEEEENSG_9not_fun_tINSD_8identityEEEEENSD_19counting_iterator_tIlEES8_S8_S8_S8_S8_S8_S8_S8_EEEEPS9_S9_NSD_9__find_if7functorIS9_EEEE10hipError_tPvRmT1_T2_T3_mT4_P12ihipStream_tbEUlT_E0_NS1_11comp_targetILNS1_3genE9ELNS1_11target_archE1100ELNS1_3gpuE3ELNS1_3repE0EEENS1_30default_config_static_selectorELNS0_4arch9wavefront6targetE0EEEvS14_,@function
_ZN7rocprim17ROCPRIM_400000_NS6detail17trampoline_kernelINS0_14default_configENS1_22reduce_config_selectorIN6thrust23THRUST_200600_302600_NS5tupleIblNS6_9null_typeES8_S8_S8_S8_S8_S8_S8_EEEEZNS1_11reduce_implILb1ES3_NS6_12zip_iteratorINS7_INS6_11hip_rocprim26transform_input_iterator_tIbNSD_35transform_pair_of_input_iterators_tIbNS6_6detail15normal_iteratorINS6_10device_ptrIKiEEEESL_NS6_8equal_toIiEEEENSG_9not_fun_tINSD_8identityEEEEENSD_19counting_iterator_tIlEES8_S8_S8_S8_S8_S8_S8_S8_EEEEPS9_S9_NSD_9__find_if7functorIS9_EEEE10hipError_tPvRmT1_T2_T3_mT4_P12ihipStream_tbEUlT_E0_NS1_11comp_targetILNS1_3genE9ELNS1_11target_archE1100ELNS1_3gpuE3ELNS1_3repE0EEENS1_30default_config_static_selectorELNS0_4arch9wavefront6targetE0EEEvS14_: ; @_ZN7rocprim17ROCPRIM_400000_NS6detail17trampoline_kernelINS0_14default_configENS1_22reduce_config_selectorIN6thrust23THRUST_200600_302600_NS5tupleIblNS6_9null_typeES8_S8_S8_S8_S8_S8_S8_EEEEZNS1_11reduce_implILb1ES3_NS6_12zip_iteratorINS7_INS6_11hip_rocprim26transform_input_iterator_tIbNSD_35transform_pair_of_input_iterators_tIbNS6_6detail15normal_iteratorINS6_10device_ptrIKiEEEESL_NS6_8equal_toIiEEEENSG_9not_fun_tINSD_8identityEEEEENSD_19counting_iterator_tIlEES8_S8_S8_S8_S8_S8_S8_S8_EEEEPS9_S9_NSD_9__find_if7functorIS9_EEEE10hipError_tPvRmT1_T2_T3_mT4_P12ihipStream_tbEUlT_E0_NS1_11comp_targetILNS1_3genE9ELNS1_11target_archE1100ELNS1_3gpuE3ELNS1_3repE0EEENS1_30default_config_static_selectorELNS0_4arch9wavefront6targetE0EEEvS14_
; %bb.0:
	.section	.rodata,"a",@progbits
	.p2align	6, 0x0
	.amdhsa_kernel _ZN7rocprim17ROCPRIM_400000_NS6detail17trampoline_kernelINS0_14default_configENS1_22reduce_config_selectorIN6thrust23THRUST_200600_302600_NS5tupleIblNS6_9null_typeES8_S8_S8_S8_S8_S8_S8_EEEEZNS1_11reduce_implILb1ES3_NS6_12zip_iteratorINS7_INS6_11hip_rocprim26transform_input_iterator_tIbNSD_35transform_pair_of_input_iterators_tIbNS6_6detail15normal_iteratorINS6_10device_ptrIKiEEEESL_NS6_8equal_toIiEEEENSG_9not_fun_tINSD_8identityEEEEENSD_19counting_iterator_tIlEES8_S8_S8_S8_S8_S8_S8_S8_EEEEPS9_S9_NSD_9__find_if7functorIS9_EEEE10hipError_tPvRmT1_T2_T3_mT4_P12ihipStream_tbEUlT_E0_NS1_11comp_targetILNS1_3genE9ELNS1_11target_archE1100ELNS1_3gpuE3ELNS1_3repE0EEENS1_30default_config_static_selectorELNS0_4arch9wavefront6targetE0EEEvS14_
		.amdhsa_group_segment_fixed_size 0
		.amdhsa_private_segment_fixed_size 0
		.amdhsa_kernarg_size 104
		.amdhsa_user_sgpr_count 2
		.amdhsa_user_sgpr_dispatch_ptr 0
		.amdhsa_user_sgpr_queue_ptr 0
		.amdhsa_user_sgpr_kernarg_segment_ptr 1
		.amdhsa_user_sgpr_dispatch_id 0
		.amdhsa_user_sgpr_kernarg_preload_length 0
		.amdhsa_user_sgpr_kernarg_preload_offset 0
		.amdhsa_user_sgpr_private_segment_size 0
		.amdhsa_wavefront_size32 1
		.amdhsa_uses_dynamic_stack 0
		.amdhsa_enable_private_segment 0
		.amdhsa_system_sgpr_workgroup_id_x 1
		.amdhsa_system_sgpr_workgroup_id_y 0
		.amdhsa_system_sgpr_workgroup_id_z 0
		.amdhsa_system_sgpr_workgroup_info 0
		.amdhsa_system_vgpr_workitem_id 0
		.amdhsa_next_free_vgpr 1
		.amdhsa_next_free_sgpr 1
		.amdhsa_named_barrier_count 0
		.amdhsa_reserve_vcc 0
		.amdhsa_float_round_mode_32 0
		.amdhsa_float_round_mode_16_64 0
		.amdhsa_float_denorm_mode_32 3
		.amdhsa_float_denorm_mode_16_64 3
		.amdhsa_fp16_overflow 0
		.amdhsa_memory_ordered 1
		.amdhsa_forward_progress 1
		.amdhsa_inst_pref_size 0
		.amdhsa_round_robin_scheduling 0
		.amdhsa_exception_fp_ieee_invalid_op 0
		.amdhsa_exception_fp_denorm_src 0
		.amdhsa_exception_fp_ieee_div_zero 0
		.amdhsa_exception_fp_ieee_overflow 0
		.amdhsa_exception_fp_ieee_underflow 0
		.amdhsa_exception_fp_ieee_inexact 0
		.amdhsa_exception_int_div_zero 0
	.end_amdhsa_kernel
	.section	.text._ZN7rocprim17ROCPRIM_400000_NS6detail17trampoline_kernelINS0_14default_configENS1_22reduce_config_selectorIN6thrust23THRUST_200600_302600_NS5tupleIblNS6_9null_typeES8_S8_S8_S8_S8_S8_S8_EEEEZNS1_11reduce_implILb1ES3_NS6_12zip_iteratorINS7_INS6_11hip_rocprim26transform_input_iterator_tIbNSD_35transform_pair_of_input_iterators_tIbNS6_6detail15normal_iteratorINS6_10device_ptrIKiEEEESL_NS6_8equal_toIiEEEENSG_9not_fun_tINSD_8identityEEEEENSD_19counting_iterator_tIlEES8_S8_S8_S8_S8_S8_S8_S8_EEEEPS9_S9_NSD_9__find_if7functorIS9_EEEE10hipError_tPvRmT1_T2_T3_mT4_P12ihipStream_tbEUlT_E0_NS1_11comp_targetILNS1_3genE9ELNS1_11target_archE1100ELNS1_3gpuE3ELNS1_3repE0EEENS1_30default_config_static_selectorELNS0_4arch9wavefront6targetE0EEEvS14_,"axG",@progbits,_ZN7rocprim17ROCPRIM_400000_NS6detail17trampoline_kernelINS0_14default_configENS1_22reduce_config_selectorIN6thrust23THRUST_200600_302600_NS5tupleIblNS6_9null_typeES8_S8_S8_S8_S8_S8_S8_EEEEZNS1_11reduce_implILb1ES3_NS6_12zip_iteratorINS7_INS6_11hip_rocprim26transform_input_iterator_tIbNSD_35transform_pair_of_input_iterators_tIbNS6_6detail15normal_iteratorINS6_10device_ptrIKiEEEESL_NS6_8equal_toIiEEEENSG_9not_fun_tINSD_8identityEEEEENSD_19counting_iterator_tIlEES8_S8_S8_S8_S8_S8_S8_S8_EEEEPS9_S9_NSD_9__find_if7functorIS9_EEEE10hipError_tPvRmT1_T2_T3_mT4_P12ihipStream_tbEUlT_E0_NS1_11comp_targetILNS1_3genE9ELNS1_11target_archE1100ELNS1_3gpuE3ELNS1_3repE0EEENS1_30default_config_static_selectorELNS0_4arch9wavefront6targetE0EEEvS14_,comdat
.Lfunc_end268:
	.size	_ZN7rocprim17ROCPRIM_400000_NS6detail17trampoline_kernelINS0_14default_configENS1_22reduce_config_selectorIN6thrust23THRUST_200600_302600_NS5tupleIblNS6_9null_typeES8_S8_S8_S8_S8_S8_S8_EEEEZNS1_11reduce_implILb1ES3_NS6_12zip_iteratorINS7_INS6_11hip_rocprim26transform_input_iterator_tIbNSD_35transform_pair_of_input_iterators_tIbNS6_6detail15normal_iteratorINS6_10device_ptrIKiEEEESL_NS6_8equal_toIiEEEENSG_9not_fun_tINSD_8identityEEEEENSD_19counting_iterator_tIlEES8_S8_S8_S8_S8_S8_S8_S8_EEEEPS9_S9_NSD_9__find_if7functorIS9_EEEE10hipError_tPvRmT1_T2_T3_mT4_P12ihipStream_tbEUlT_E0_NS1_11comp_targetILNS1_3genE9ELNS1_11target_archE1100ELNS1_3gpuE3ELNS1_3repE0EEENS1_30default_config_static_selectorELNS0_4arch9wavefront6targetE0EEEvS14_, .Lfunc_end268-_ZN7rocprim17ROCPRIM_400000_NS6detail17trampoline_kernelINS0_14default_configENS1_22reduce_config_selectorIN6thrust23THRUST_200600_302600_NS5tupleIblNS6_9null_typeES8_S8_S8_S8_S8_S8_S8_EEEEZNS1_11reduce_implILb1ES3_NS6_12zip_iteratorINS7_INS6_11hip_rocprim26transform_input_iterator_tIbNSD_35transform_pair_of_input_iterators_tIbNS6_6detail15normal_iteratorINS6_10device_ptrIKiEEEESL_NS6_8equal_toIiEEEENSG_9not_fun_tINSD_8identityEEEEENSD_19counting_iterator_tIlEES8_S8_S8_S8_S8_S8_S8_S8_EEEEPS9_S9_NSD_9__find_if7functorIS9_EEEE10hipError_tPvRmT1_T2_T3_mT4_P12ihipStream_tbEUlT_E0_NS1_11comp_targetILNS1_3genE9ELNS1_11target_archE1100ELNS1_3gpuE3ELNS1_3repE0EEENS1_30default_config_static_selectorELNS0_4arch9wavefront6targetE0EEEvS14_
                                        ; -- End function
	.set _ZN7rocprim17ROCPRIM_400000_NS6detail17trampoline_kernelINS0_14default_configENS1_22reduce_config_selectorIN6thrust23THRUST_200600_302600_NS5tupleIblNS6_9null_typeES8_S8_S8_S8_S8_S8_S8_EEEEZNS1_11reduce_implILb1ES3_NS6_12zip_iteratorINS7_INS6_11hip_rocprim26transform_input_iterator_tIbNSD_35transform_pair_of_input_iterators_tIbNS6_6detail15normal_iteratorINS6_10device_ptrIKiEEEESL_NS6_8equal_toIiEEEENSG_9not_fun_tINSD_8identityEEEEENSD_19counting_iterator_tIlEES8_S8_S8_S8_S8_S8_S8_S8_EEEEPS9_S9_NSD_9__find_if7functorIS9_EEEE10hipError_tPvRmT1_T2_T3_mT4_P12ihipStream_tbEUlT_E0_NS1_11comp_targetILNS1_3genE9ELNS1_11target_archE1100ELNS1_3gpuE3ELNS1_3repE0EEENS1_30default_config_static_selectorELNS0_4arch9wavefront6targetE0EEEvS14_.num_vgpr, 0
	.set _ZN7rocprim17ROCPRIM_400000_NS6detail17trampoline_kernelINS0_14default_configENS1_22reduce_config_selectorIN6thrust23THRUST_200600_302600_NS5tupleIblNS6_9null_typeES8_S8_S8_S8_S8_S8_S8_EEEEZNS1_11reduce_implILb1ES3_NS6_12zip_iteratorINS7_INS6_11hip_rocprim26transform_input_iterator_tIbNSD_35transform_pair_of_input_iterators_tIbNS6_6detail15normal_iteratorINS6_10device_ptrIKiEEEESL_NS6_8equal_toIiEEEENSG_9not_fun_tINSD_8identityEEEEENSD_19counting_iterator_tIlEES8_S8_S8_S8_S8_S8_S8_S8_EEEEPS9_S9_NSD_9__find_if7functorIS9_EEEE10hipError_tPvRmT1_T2_T3_mT4_P12ihipStream_tbEUlT_E0_NS1_11comp_targetILNS1_3genE9ELNS1_11target_archE1100ELNS1_3gpuE3ELNS1_3repE0EEENS1_30default_config_static_selectorELNS0_4arch9wavefront6targetE0EEEvS14_.num_agpr, 0
	.set _ZN7rocprim17ROCPRIM_400000_NS6detail17trampoline_kernelINS0_14default_configENS1_22reduce_config_selectorIN6thrust23THRUST_200600_302600_NS5tupleIblNS6_9null_typeES8_S8_S8_S8_S8_S8_S8_EEEEZNS1_11reduce_implILb1ES3_NS6_12zip_iteratorINS7_INS6_11hip_rocprim26transform_input_iterator_tIbNSD_35transform_pair_of_input_iterators_tIbNS6_6detail15normal_iteratorINS6_10device_ptrIKiEEEESL_NS6_8equal_toIiEEEENSG_9not_fun_tINSD_8identityEEEEENSD_19counting_iterator_tIlEES8_S8_S8_S8_S8_S8_S8_S8_EEEEPS9_S9_NSD_9__find_if7functorIS9_EEEE10hipError_tPvRmT1_T2_T3_mT4_P12ihipStream_tbEUlT_E0_NS1_11comp_targetILNS1_3genE9ELNS1_11target_archE1100ELNS1_3gpuE3ELNS1_3repE0EEENS1_30default_config_static_selectorELNS0_4arch9wavefront6targetE0EEEvS14_.numbered_sgpr, 0
	.set _ZN7rocprim17ROCPRIM_400000_NS6detail17trampoline_kernelINS0_14default_configENS1_22reduce_config_selectorIN6thrust23THRUST_200600_302600_NS5tupleIblNS6_9null_typeES8_S8_S8_S8_S8_S8_S8_EEEEZNS1_11reduce_implILb1ES3_NS6_12zip_iteratorINS7_INS6_11hip_rocprim26transform_input_iterator_tIbNSD_35transform_pair_of_input_iterators_tIbNS6_6detail15normal_iteratorINS6_10device_ptrIKiEEEESL_NS6_8equal_toIiEEEENSG_9not_fun_tINSD_8identityEEEEENSD_19counting_iterator_tIlEES8_S8_S8_S8_S8_S8_S8_S8_EEEEPS9_S9_NSD_9__find_if7functorIS9_EEEE10hipError_tPvRmT1_T2_T3_mT4_P12ihipStream_tbEUlT_E0_NS1_11comp_targetILNS1_3genE9ELNS1_11target_archE1100ELNS1_3gpuE3ELNS1_3repE0EEENS1_30default_config_static_selectorELNS0_4arch9wavefront6targetE0EEEvS14_.num_named_barrier, 0
	.set _ZN7rocprim17ROCPRIM_400000_NS6detail17trampoline_kernelINS0_14default_configENS1_22reduce_config_selectorIN6thrust23THRUST_200600_302600_NS5tupleIblNS6_9null_typeES8_S8_S8_S8_S8_S8_S8_EEEEZNS1_11reduce_implILb1ES3_NS6_12zip_iteratorINS7_INS6_11hip_rocprim26transform_input_iterator_tIbNSD_35transform_pair_of_input_iterators_tIbNS6_6detail15normal_iteratorINS6_10device_ptrIKiEEEESL_NS6_8equal_toIiEEEENSG_9not_fun_tINSD_8identityEEEEENSD_19counting_iterator_tIlEES8_S8_S8_S8_S8_S8_S8_S8_EEEEPS9_S9_NSD_9__find_if7functorIS9_EEEE10hipError_tPvRmT1_T2_T3_mT4_P12ihipStream_tbEUlT_E0_NS1_11comp_targetILNS1_3genE9ELNS1_11target_archE1100ELNS1_3gpuE3ELNS1_3repE0EEENS1_30default_config_static_selectorELNS0_4arch9wavefront6targetE0EEEvS14_.private_seg_size, 0
	.set _ZN7rocprim17ROCPRIM_400000_NS6detail17trampoline_kernelINS0_14default_configENS1_22reduce_config_selectorIN6thrust23THRUST_200600_302600_NS5tupleIblNS6_9null_typeES8_S8_S8_S8_S8_S8_S8_EEEEZNS1_11reduce_implILb1ES3_NS6_12zip_iteratorINS7_INS6_11hip_rocprim26transform_input_iterator_tIbNSD_35transform_pair_of_input_iterators_tIbNS6_6detail15normal_iteratorINS6_10device_ptrIKiEEEESL_NS6_8equal_toIiEEEENSG_9not_fun_tINSD_8identityEEEEENSD_19counting_iterator_tIlEES8_S8_S8_S8_S8_S8_S8_S8_EEEEPS9_S9_NSD_9__find_if7functorIS9_EEEE10hipError_tPvRmT1_T2_T3_mT4_P12ihipStream_tbEUlT_E0_NS1_11comp_targetILNS1_3genE9ELNS1_11target_archE1100ELNS1_3gpuE3ELNS1_3repE0EEENS1_30default_config_static_selectorELNS0_4arch9wavefront6targetE0EEEvS14_.uses_vcc, 0
	.set _ZN7rocprim17ROCPRIM_400000_NS6detail17trampoline_kernelINS0_14default_configENS1_22reduce_config_selectorIN6thrust23THRUST_200600_302600_NS5tupleIblNS6_9null_typeES8_S8_S8_S8_S8_S8_S8_EEEEZNS1_11reduce_implILb1ES3_NS6_12zip_iteratorINS7_INS6_11hip_rocprim26transform_input_iterator_tIbNSD_35transform_pair_of_input_iterators_tIbNS6_6detail15normal_iteratorINS6_10device_ptrIKiEEEESL_NS6_8equal_toIiEEEENSG_9not_fun_tINSD_8identityEEEEENSD_19counting_iterator_tIlEES8_S8_S8_S8_S8_S8_S8_S8_EEEEPS9_S9_NSD_9__find_if7functorIS9_EEEE10hipError_tPvRmT1_T2_T3_mT4_P12ihipStream_tbEUlT_E0_NS1_11comp_targetILNS1_3genE9ELNS1_11target_archE1100ELNS1_3gpuE3ELNS1_3repE0EEENS1_30default_config_static_selectorELNS0_4arch9wavefront6targetE0EEEvS14_.uses_flat_scratch, 0
	.set _ZN7rocprim17ROCPRIM_400000_NS6detail17trampoline_kernelINS0_14default_configENS1_22reduce_config_selectorIN6thrust23THRUST_200600_302600_NS5tupleIblNS6_9null_typeES8_S8_S8_S8_S8_S8_S8_EEEEZNS1_11reduce_implILb1ES3_NS6_12zip_iteratorINS7_INS6_11hip_rocprim26transform_input_iterator_tIbNSD_35transform_pair_of_input_iterators_tIbNS6_6detail15normal_iteratorINS6_10device_ptrIKiEEEESL_NS6_8equal_toIiEEEENSG_9not_fun_tINSD_8identityEEEEENSD_19counting_iterator_tIlEES8_S8_S8_S8_S8_S8_S8_S8_EEEEPS9_S9_NSD_9__find_if7functorIS9_EEEE10hipError_tPvRmT1_T2_T3_mT4_P12ihipStream_tbEUlT_E0_NS1_11comp_targetILNS1_3genE9ELNS1_11target_archE1100ELNS1_3gpuE3ELNS1_3repE0EEENS1_30default_config_static_selectorELNS0_4arch9wavefront6targetE0EEEvS14_.has_dyn_sized_stack, 0
	.set _ZN7rocprim17ROCPRIM_400000_NS6detail17trampoline_kernelINS0_14default_configENS1_22reduce_config_selectorIN6thrust23THRUST_200600_302600_NS5tupleIblNS6_9null_typeES8_S8_S8_S8_S8_S8_S8_EEEEZNS1_11reduce_implILb1ES3_NS6_12zip_iteratorINS7_INS6_11hip_rocprim26transform_input_iterator_tIbNSD_35transform_pair_of_input_iterators_tIbNS6_6detail15normal_iteratorINS6_10device_ptrIKiEEEESL_NS6_8equal_toIiEEEENSG_9not_fun_tINSD_8identityEEEEENSD_19counting_iterator_tIlEES8_S8_S8_S8_S8_S8_S8_S8_EEEEPS9_S9_NSD_9__find_if7functorIS9_EEEE10hipError_tPvRmT1_T2_T3_mT4_P12ihipStream_tbEUlT_E0_NS1_11comp_targetILNS1_3genE9ELNS1_11target_archE1100ELNS1_3gpuE3ELNS1_3repE0EEENS1_30default_config_static_selectorELNS0_4arch9wavefront6targetE0EEEvS14_.has_recursion, 0
	.set _ZN7rocprim17ROCPRIM_400000_NS6detail17trampoline_kernelINS0_14default_configENS1_22reduce_config_selectorIN6thrust23THRUST_200600_302600_NS5tupleIblNS6_9null_typeES8_S8_S8_S8_S8_S8_S8_EEEEZNS1_11reduce_implILb1ES3_NS6_12zip_iteratorINS7_INS6_11hip_rocprim26transform_input_iterator_tIbNSD_35transform_pair_of_input_iterators_tIbNS6_6detail15normal_iteratorINS6_10device_ptrIKiEEEESL_NS6_8equal_toIiEEEENSG_9not_fun_tINSD_8identityEEEEENSD_19counting_iterator_tIlEES8_S8_S8_S8_S8_S8_S8_S8_EEEEPS9_S9_NSD_9__find_if7functorIS9_EEEE10hipError_tPvRmT1_T2_T3_mT4_P12ihipStream_tbEUlT_E0_NS1_11comp_targetILNS1_3genE9ELNS1_11target_archE1100ELNS1_3gpuE3ELNS1_3repE0EEENS1_30default_config_static_selectorELNS0_4arch9wavefront6targetE0EEEvS14_.has_indirect_call, 0
	.section	.AMDGPU.csdata,"",@progbits
; Kernel info:
; codeLenInByte = 0
; TotalNumSgprs: 0
; NumVgprs: 0
; ScratchSize: 0
; MemoryBound: 0
; FloatMode: 240
; IeeeMode: 1
; LDSByteSize: 0 bytes/workgroup (compile time only)
; SGPRBlocks: 0
; VGPRBlocks: 0
; NumSGPRsForWavesPerEU: 1
; NumVGPRsForWavesPerEU: 1
; NamedBarCnt: 0
; Occupancy: 16
; WaveLimiterHint : 0
; COMPUTE_PGM_RSRC2:SCRATCH_EN: 0
; COMPUTE_PGM_RSRC2:USER_SGPR: 2
; COMPUTE_PGM_RSRC2:TRAP_HANDLER: 0
; COMPUTE_PGM_RSRC2:TGID_X_EN: 1
; COMPUTE_PGM_RSRC2:TGID_Y_EN: 0
; COMPUTE_PGM_RSRC2:TGID_Z_EN: 0
; COMPUTE_PGM_RSRC2:TIDIG_COMP_CNT: 0
	.section	.text._ZN7rocprim17ROCPRIM_400000_NS6detail17trampoline_kernelINS0_14default_configENS1_22reduce_config_selectorIN6thrust23THRUST_200600_302600_NS5tupleIblNS6_9null_typeES8_S8_S8_S8_S8_S8_S8_EEEEZNS1_11reduce_implILb1ES3_NS6_12zip_iteratorINS7_INS6_11hip_rocprim26transform_input_iterator_tIbNSD_35transform_pair_of_input_iterators_tIbNS6_6detail15normal_iteratorINS6_10device_ptrIKiEEEESL_NS6_8equal_toIiEEEENSG_9not_fun_tINSD_8identityEEEEENSD_19counting_iterator_tIlEES8_S8_S8_S8_S8_S8_S8_S8_EEEEPS9_S9_NSD_9__find_if7functorIS9_EEEE10hipError_tPvRmT1_T2_T3_mT4_P12ihipStream_tbEUlT_E0_NS1_11comp_targetILNS1_3genE8ELNS1_11target_archE1030ELNS1_3gpuE2ELNS1_3repE0EEENS1_30default_config_static_selectorELNS0_4arch9wavefront6targetE0EEEvS14_,"axG",@progbits,_ZN7rocprim17ROCPRIM_400000_NS6detail17trampoline_kernelINS0_14default_configENS1_22reduce_config_selectorIN6thrust23THRUST_200600_302600_NS5tupleIblNS6_9null_typeES8_S8_S8_S8_S8_S8_S8_EEEEZNS1_11reduce_implILb1ES3_NS6_12zip_iteratorINS7_INS6_11hip_rocprim26transform_input_iterator_tIbNSD_35transform_pair_of_input_iterators_tIbNS6_6detail15normal_iteratorINS6_10device_ptrIKiEEEESL_NS6_8equal_toIiEEEENSG_9not_fun_tINSD_8identityEEEEENSD_19counting_iterator_tIlEES8_S8_S8_S8_S8_S8_S8_S8_EEEEPS9_S9_NSD_9__find_if7functorIS9_EEEE10hipError_tPvRmT1_T2_T3_mT4_P12ihipStream_tbEUlT_E0_NS1_11comp_targetILNS1_3genE8ELNS1_11target_archE1030ELNS1_3gpuE2ELNS1_3repE0EEENS1_30default_config_static_selectorELNS0_4arch9wavefront6targetE0EEEvS14_,comdat
	.protected	_ZN7rocprim17ROCPRIM_400000_NS6detail17trampoline_kernelINS0_14default_configENS1_22reduce_config_selectorIN6thrust23THRUST_200600_302600_NS5tupleIblNS6_9null_typeES8_S8_S8_S8_S8_S8_S8_EEEEZNS1_11reduce_implILb1ES3_NS6_12zip_iteratorINS7_INS6_11hip_rocprim26transform_input_iterator_tIbNSD_35transform_pair_of_input_iterators_tIbNS6_6detail15normal_iteratorINS6_10device_ptrIKiEEEESL_NS6_8equal_toIiEEEENSG_9not_fun_tINSD_8identityEEEEENSD_19counting_iterator_tIlEES8_S8_S8_S8_S8_S8_S8_S8_EEEEPS9_S9_NSD_9__find_if7functorIS9_EEEE10hipError_tPvRmT1_T2_T3_mT4_P12ihipStream_tbEUlT_E0_NS1_11comp_targetILNS1_3genE8ELNS1_11target_archE1030ELNS1_3gpuE2ELNS1_3repE0EEENS1_30default_config_static_selectorELNS0_4arch9wavefront6targetE0EEEvS14_ ; -- Begin function _ZN7rocprim17ROCPRIM_400000_NS6detail17trampoline_kernelINS0_14default_configENS1_22reduce_config_selectorIN6thrust23THRUST_200600_302600_NS5tupleIblNS6_9null_typeES8_S8_S8_S8_S8_S8_S8_EEEEZNS1_11reduce_implILb1ES3_NS6_12zip_iteratorINS7_INS6_11hip_rocprim26transform_input_iterator_tIbNSD_35transform_pair_of_input_iterators_tIbNS6_6detail15normal_iteratorINS6_10device_ptrIKiEEEESL_NS6_8equal_toIiEEEENSG_9not_fun_tINSD_8identityEEEEENSD_19counting_iterator_tIlEES8_S8_S8_S8_S8_S8_S8_S8_EEEEPS9_S9_NSD_9__find_if7functorIS9_EEEE10hipError_tPvRmT1_T2_T3_mT4_P12ihipStream_tbEUlT_E0_NS1_11comp_targetILNS1_3genE8ELNS1_11target_archE1030ELNS1_3gpuE2ELNS1_3repE0EEENS1_30default_config_static_selectorELNS0_4arch9wavefront6targetE0EEEvS14_
	.globl	_ZN7rocprim17ROCPRIM_400000_NS6detail17trampoline_kernelINS0_14default_configENS1_22reduce_config_selectorIN6thrust23THRUST_200600_302600_NS5tupleIblNS6_9null_typeES8_S8_S8_S8_S8_S8_S8_EEEEZNS1_11reduce_implILb1ES3_NS6_12zip_iteratorINS7_INS6_11hip_rocprim26transform_input_iterator_tIbNSD_35transform_pair_of_input_iterators_tIbNS6_6detail15normal_iteratorINS6_10device_ptrIKiEEEESL_NS6_8equal_toIiEEEENSG_9not_fun_tINSD_8identityEEEEENSD_19counting_iterator_tIlEES8_S8_S8_S8_S8_S8_S8_S8_EEEEPS9_S9_NSD_9__find_if7functorIS9_EEEE10hipError_tPvRmT1_T2_T3_mT4_P12ihipStream_tbEUlT_E0_NS1_11comp_targetILNS1_3genE8ELNS1_11target_archE1030ELNS1_3gpuE2ELNS1_3repE0EEENS1_30default_config_static_selectorELNS0_4arch9wavefront6targetE0EEEvS14_
	.p2align	8
	.type	_ZN7rocprim17ROCPRIM_400000_NS6detail17trampoline_kernelINS0_14default_configENS1_22reduce_config_selectorIN6thrust23THRUST_200600_302600_NS5tupleIblNS6_9null_typeES8_S8_S8_S8_S8_S8_S8_EEEEZNS1_11reduce_implILb1ES3_NS6_12zip_iteratorINS7_INS6_11hip_rocprim26transform_input_iterator_tIbNSD_35transform_pair_of_input_iterators_tIbNS6_6detail15normal_iteratorINS6_10device_ptrIKiEEEESL_NS6_8equal_toIiEEEENSG_9not_fun_tINSD_8identityEEEEENSD_19counting_iterator_tIlEES8_S8_S8_S8_S8_S8_S8_S8_EEEEPS9_S9_NSD_9__find_if7functorIS9_EEEE10hipError_tPvRmT1_T2_T3_mT4_P12ihipStream_tbEUlT_E0_NS1_11comp_targetILNS1_3genE8ELNS1_11target_archE1030ELNS1_3gpuE2ELNS1_3repE0EEENS1_30default_config_static_selectorELNS0_4arch9wavefront6targetE0EEEvS14_,@function
_ZN7rocprim17ROCPRIM_400000_NS6detail17trampoline_kernelINS0_14default_configENS1_22reduce_config_selectorIN6thrust23THRUST_200600_302600_NS5tupleIblNS6_9null_typeES8_S8_S8_S8_S8_S8_S8_EEEEZNS1_11reduce_implILb1ES3_NS6_12zip_iteratorINS7_INS6_11hip_rocprim26transform_input_iterator_tIbNSD_35transform_pair_of_input_iterators_tIbNS6_6detail15normal_iteratorINS6_10device_ptrIKiEEEESL_NS6_8equal_toIiEEEENSG_9not_fun_tINSD_8identityEEEEENSD_19counting_iterator_tIlEES8_S8_S8_S8_S8_S8_S8_S8_EEEEPS9_S9_NSD_9__find_if7functorIS9_EEEE10hipError_tPvRmT1_T2_T3_mT4_P12ihipStream_tbEUlT_E0_NS1_11comp_targetILNS1_3genE8ELNS1_11target_archE1030ELNS1_3gpuE2ELNS1_3repE0EEENS1_30default_config_static_selectorELNS0_4arch9wavefront6targetE0EEEvS14_: ; @_ZN7rocprim17ROCPRIM_400000_NS6detail17trampoline_kernelINS0_14default_configENS1_22reduce_config_selectorIN6thrust23THRUST_200600_302600_NS5tupleIblNS6_9null_typeES8_S8_S8_S8_S8_S8_S8_EEEEZNS1_11reduce_implILb1ES3_NS6_12zip_iteratorINS7_INS6_11hip_rocprim26transform_input_iterator_tIbNSD_35transform_pair_of_input_iterators_tIbNS6_6detail15normal_iteratorINS6_10device_ptrIKiEEEESL_NS6_8equal_toIiEEEENSG_9not_fun_tINSD_8identityEEEEENSD_19counting_iterator_tIlEES8_S8_S8_S8_S8_S8_S8_S8_EEEEPS9_S9_NSD_9__find_if7functorIS9_EEEE10hipError_tPvRmT1_T2_T3_mT4_P12ihipStream_tbEUlT_E0_NS1_11comp_targetILNS1_3genE8ELNS1_11target_archE1030ELNS1_3gpuE2ELNS1_3repE0EEENS1_30default_config_static_selectorELNS0_4arch9wavefront6targetE0EEEvS14_
; %bb.0:
	.section	.rodata,"a",@progbits
	.p2align	6, 0x0
	.amdhsa_kernel _ZN7rocprim17ROCPRIM_400000_NS6detail17trampoline_kernelINS0_14default_configENS1_22reduce_config_selectorIN6thrust23THRUST_200600_302600_NS5tupleIblNS6_9null_typeES8_S8_S8_S8_S8_S8_S8_EEEEZNS1_11reduce_implILb1ES3_NS6_12zip_iteratorINS7_INS6_11hip_rocprim26transform_input_iterator_tIbNSD_35transform_pair_of_input_iterators_tIbNS6_6detail15normal_iteratorINS6_10device_ptrIKiEEEESL_NS6_8equal_toIiEEEENSG_9not_fun_tINSD_8identityEEEEENSD_19counting_iterator_tIlEES8_S8_S8_S8_S8_S8_S8_S8_EEEEPS9_S9_NSD_9__find_if7functorIS9_EEEE10hipError_tPvRmT1_T2_T3_mT4_P12ihipStream_tbEUlT_E0_NS1_11comp_targetILNS1_3genE8ELNS1_11target_archE1030ELNS1_3gpuE2ELNS1_3repE0EEENS1_30default_config_static_selectorELNS0_4arch9wavefront6targetE0EEEvS14_
		.amdhsa_group_segment_fixed_size 0
		.amdhsa_private_segment_fixed_size 0
		.amdhsa_kernarg_size 104
		.amdhsa_user_sgpr_count 2
		.amdhsa_user_sgpr_dispatch_ptr 0
		.amdhsa_user_sgpr_queue_ptr 0
		.amdhsa_user_sgpr_kernarg_segment_ptr 1
		.amdhsa_user_sgpr_dispatch_id 0
		.amdhsa_user_sgpr_kernarg_preload_length 0
		.amdhsa_user_sgpr_kernarg_preload_offset 0
		.amdhsa_user_sgpr_private_segment_size 0
		.amdhsa_wavefront_size32 1
		.amdhsa_uses_dynamic_stack 0
		.amdhsa_enable_private_segment 0
		.amdhsa_system_sgpr_workgroup_id_x 1
		.amdhsa_system_sgpr_workgroup_id_y 0
		.amdhsa_system_sgpr_workgroup_id_z 0
		.amdhsa_system_sgpr_workgroup_info 0
		.amdhsa_system_vgpr_workitem_id 0
		.amdhsa_next_free_vgpr 1
		.amdhsa_next_free_sgpr 1
		.amdhsa_named_barrier_count 0
		.amdhsa_reserve_vcc 0
		.amdhsa_float_round_mode_32 0
		.amdhsa_float_round_mode_16_64 0
		.amdhsa_float_denorm_mode_32 3
		.amdhsa_float_denorm_mode_16_64 3
		.amdhsa_fp16_overflow 0
		.amdhsa_memory_ordered 1
		.amdhsa_forward_progress 1
		.amdhsa_inst_pref_size 0
		.amdhsa_round_robin_scheduling 0
		.amdhsa_exception_fp_ieee_invalid_op 0
		.amdhsa_exception_fp_denorm_src 0
		.amdhsa_exception_fp_ieee_div_zero 0
		.amdhsa_exception_fp_ieee_overflow 0
		.amdhsa_exception_fp_ieee_underflow 0
		.amdhsa_exception_fp_ieee_inexact 0
		.amdhsa_exception_int_div_zero 0
	.end_amdhsa_kernel
	.section	.text._ZN7rocprim17ROCPRIM_400000_NS6detail17trampoline_kernelINS0_14default_configENS1_22reduce_config_selectorIN6thrust23THRUST_200600_302600_NS5tupleIblNS6_9null_typeES8_S8_S8_S8_S8_S8_S8_EEEEZNS1_11reduce_implILb1ES3_NS6_12zip_iteratorINS7_INS6_11hip_rocprim26transform_input_iterator_tIbNSD_35transform_pair_of_input_iterators_tIbNS6_6detail15normal_iteratorINS6_10device_ptrIKiEEEESL_NS6_8equal_toIiEEEENSG_9not_fun_tINSD_8identityEEEEENSD_19counting_iterator_tIlEES8_S8_S8_S8_S8_S8_S8_S8_EEEEPS9_S9_NSD_9__find_if7functorIS9_EEEE10hipError_tPvRmT1_T2_T3_mT4_P12ihipStream_tbEUlT_E0_NS1_11comp_targetILNS1_3genE8ELNS1_11target_archE1030ELNS1_3gpuE2ELNS1_3repE0EEENS1_30default_config_static_selectorELNS0_4arch9wavefront6targetE0EEEvS14_,"axG",@progbits,_ZN7rocprim17ROCPRIM_400000_NS6detail17trampoline_kernelINS0_14default_configENS1_22reduce_config_selectorIN6thrust23THRUST_200600_302600_NS5tupleIblNS6_9null_typeES8_S8_S8_S8_S8_S8_S8_EEEEZNS1_11reduce_implILb1ES3_NS6_12zip_iteratorINS7_INS6_11hip_rocprim26transform_input_iterator_tIbNSD_35transform_pair_of_input_iterators_tIbNS6_6detail15normal_iteratorINS6_10device_ptrIKiEEEESL_NS6_8equal_toIiEEEENSG_9not_fun_tINSD_8identityEEEEENSD_19counting_iterator_tIlEES8_S8_S8_S8_S8_S8_S8_S8_EEEEPS9_S9_NSD_9__find_if7functorIS9_EEEE10hipError_tPvRmT1_T2_T3_mT4_P12ihipStream_tbEUlT_E0_NS1_11comp_targetILNS1_3genE8ELNS1_11target_archE1030ELNS1_3gpuE2ELNS1_3repE0EEENS1_30default_config_static_selectorELNS0_4arch9wavefront6targetE0EEEvS14_,comdat
.Lfunc_end269:
	.size	_ZN7rocprim17ROCPRIM_400000_NS6detail17trampoline_kernelINS0_14default_configENS1_22reduce_config_selectorIN6thrust23THRUST_200600_302600_NS5tupleIblNS6_9null_typeES8_S8_S8_S8_S8_S8_S8_EEEEZNS1_11reduce_implILb1ES3_NS6_12zip_iteratorINS7_INS6_11hip_rocprim26transform_input_iterator_tIbNSD_35transform_pair_of_input_iterators_tIbNS6_6detail15normal_iteratorINS6_10device_ptrIKiEEEESL_NS6_8equal_toIiEEEENSG_9not_fun_tINSD_8identityEEEEENSD_19counting_iterator_tIlEES8_S8_S8_S8_S8_S8_S8_S8_EEEEPS9_S9_NSD_9__find_if7functorIS9_EEEE10hipError_tPvRmT1_T2_T3_mT4_P12ihipStream_tbEUlT_E0_NS1_11comp_targetILNS1_3genE8ELNS1_11target_archE1030ELNS1_3gpuE2ELNS1_3repE0EEENS1_30default_config_static_selectorELNS0_4arch9wavefront6targetE0EEEvS14_, .Lfunc_end269-_ZN7rocprim17ROCPRIM_400000_NS6detail17trampoline_kernelINS0_14default_configENS1_22reduce_config_selectorIN6thrust23THRUST_200600_302600_NS5tupleIblNS6_9null_typeES8_S8_S8_S8_S8_S8_S8_EEEEZNS1_11reduce_implILb1ES3_NS6_12zip_iteratorINS7_INS6_11hip_rocprim26transform_input_iterator_tIbNSD_35transform_pair_of_input_iterators_tIbNS6_6detail15normal_iteratorINS6_10device_ptrIKiEEEESL_NS6_8equal_toIiEEEENSG_9not_fun_tINSD_8identityEEEEENSD_19counting_iterator_tIlEES8_S8_S8_S8_S8_S8_S8_S8_EEEEPS9_S9_NSD_9__find_if7functorIS9_EEEE10hipError_tPvRmT1_T2_T3_mT4_P12ihipStream_tbEUlT_E0_NS1_11comp_targetILNS1_3genE8ELNS1_11target_archE1030ELNS1_3gpuE2ELNS1_3repE0EEENS1_30default_config_static_selectorELNS0_4arch9wavefront6targetE0EEEvS14_
                                        ; -- End function
	.set _ZN7rocprim17ROCPRIM_400000_NS6detail17trampoline_kernelINS0_14default_configENS1_22reduce_config_selectorIN6thrust23THRUST_200600_302600_NS5tupleIblNS6_9null_typeES8_S8_S8_S8_S8_S8_S8_EEEEZNS1_11reduce_implILb1ES3_NS6_12zip_iteratorINS7_INS6_11hip_rocprim26transform_input_iterator_tIbNSD_35transform_pair_of_input_iterators_tIbNS6_6detail15normal_iteratorINS6_10device_ptrIKiEEEESL_NS6_8equal_toIiEEEENSG_9not_fun_tINSD_8identityEEEEENSD_19counting_iterator_tIlEES8_S8_S8_S8_S8_S8_S8_S8_EEEEPS9_S9_NSD_9__find_if7functorIS9_EEEE10hipError_tPvRmT1_T2_T3_mT4_P12ihipStream_tbEUlT_E0_NS1_11comp_targetILNS1_3genE8ELNS1_11target_archE1030ELNS1_3gpuE2ELNS1_3repE0EEENS1_30default_config_static_selectorELNS0_4arch9wavefront6targetE0EEEvS14_.num_vgpr, 0
	.set _ZN7rocprim17ROCPRIM_400000_NS6detail17trampoline_kernelINS0_14default_configENS1_22reduce_config_selectorIN6thrust23THRUST_200600_302600_NS5tupleIblNS6_9null_typeES8_S8_S8_S8_S8_S8_S8_EEEEZNS1_11reduce_implILb1ES3_NS6_12zip_iteratorINS7_INS6_11hip_rocprim26transform_input_iterator_tIbNSD_35transform_pair_of_input_iterators_tIbNS6_6detail15normal_iteratorINS6_10device_ptrIKiEEEESL_NS6_8equal_toIiEEEENSG_9not_fun_tINSD_8identityEEEEENSD_19counting_iterator_tIlEES8_S8_S8_S8_S8_S8_S8_S8_EEEEPS9_S9_NSD_9__find_if7functorIS9_EEEE10hipError_tPvRmT1_T2_T3_mT4_P12ihipStream_tbEUlT_E0_NS1_11comp_targetILNS1_3genE8ELNS1_11target_archE1030ELNS1_3gpuE2ELNS1_3repE0EEENS1_30default_config_static_selectorELNS0_4arch9wavefront6targetE0EEEvS14_.num_agpr, 0
	.set _ZN7rocprim17ROCPRIM_400000_NS6detail17trampoline_kernelINS0_14default_configENS1_22reduce_config_selectorIN6thrust23THRUST_200600_302600_NS5tupleIblNS6_9null_typeES8_S8_S8_S8_S8_S8_S8_EEEEZNS1_11reduce_implILb1ES3_NS6_12zip_iteratorINS7_INS6_11hip_rocprim26transform_input_iterator_tIbNSD_35transform_pair_of_input_iterators_tIbNS6_6detail15normal_iteratorINS6_10device_ptrIKiEEEESL_NS6_8equal_toIiEEEENSG_9not_fun_tINSD_8identityEEEEENSD_19counting_iterator_tIlEES8_S8_S8_S8_S8_S8_S8_S8_EEEEPS9_S9_NSD_9__find_if7functorIS9_EEEE10hipError_tPvRmT1_T2_T3_mT4_P12ihipStream_tbEUlT_E0_NS1_11comp_targetILNS1_3genE8ELNS1_11target_archE1030ELNS1_3gpuE2ELNS1_3repE0EEENS1_30default_config_static_selectorELNS0_4arch9wavefront6targetE0EEEvS14_.numbered_sgpr, 0
	.set _ZN7rocprim17ROCPRIM_400000_NS6detail17trampoline_kernelINS0_14default_configENS1_22reduce_config_selectorIN6thrust23THRUST_200600_302600_NS5tupleIblNS6_9null_typeES8_S8_S8_S8_S8_S8_S8_EEEEZNS1_11reduce_implILb1ES3_NS6_12zip_iteratorINS7_INS6_11hip_rocprim26transform_input_iterator_tIbNSD_35transform_pair_of_input_iterators_tIbNS6_6detail15normal_iteratorINS6_10device_ptrIKiEEEESL_NS6_8equal_toIiEEEENSG_9not_fun_tINSD_8identityEEEEENSD_19counting_iterator_tIlEES8_S8_S8_S8_S8_S8_S8_S8_EEEEPS9_S9_NSD_9__find_if7functorIS9_EEEE10hipError_tPvRmT1_T2_T3_mT4_P12ihipStream_tbEUlT_E0_NS1_11comp_targetILNS1_3genE8ELNS1_11target_archE1030ELNS1_3gpuE2ELNS1_3repE0EEENS1_30default_config_static_selectorELNS0_4arch9wavefront6targetE0EEEvS14_.num_named_barrier, 0
	.set _ZN7rocprim17ROCPRIM_400000_NS6detail17trampoline_kernelINS0_14default_configENS1_22reduce_config_selectorIN6thrust23THRUST_200600_302600_NS5tupleIblNS6_9null_typeES8_S8_S8_S8_S8_S8_S8_EEEEZNS1_11reduce_implILb1ES3_NS6_12zip_iteratorINS7_INS6_11hip_rocprim26transform_input_iterator_tIbNSD_35transform_pair_of_input_iterators_tIbNS6_6detail15normal_iteratorINS6_10device_ptrIKiEEEESL_NS6_8equal_toIiEEEENSG_9not_fun_tINSD_8identityEEEEENSD_19counting_iterator_tIlEES8_S8_S8_S8_S8_S8_S8_S8_EEEEPS9_S9_NSD_9__find_if7functorIS9_EEEE10hipError_tPvRmT1_T2_T3_mT4_P12ihipStream_tbEUlT_E0_NS1_11comp_targetILNS1_3genE8ELNS1_11target_archE1030ELNS1_3gpuE2ELNS1_3repE0EEENS1_30default_config_static_selectorELNS0_4arch9wavefront6targetE0EEEvS14_.private_seg_size, 0
	.set _ZN7rocprim17ROCPRIM_400000_NS6detail17trampoline_kernelINS0_14default_configENS1_22reduce_config_selectorIN6thrust23THRUST_200600_302600_NS5tupleIblNS6_9null_typeES8_S8_S8_S8_S8_S8_S8_EEEEZNS1_11reduce_implILb1ES3_NS6_12zip_iteratorINS7_INS6_11hip_rocprim26transform_input_iterator_tIbNSD_35transform_pair_of_input_iterators_tIbNS6_6detail15normal_iteratorINS6_10device_ptrIKiEEEESL_NS6_8equal_toIiEEEENSG_9not_fun_tINSD_8identityEEEEENSD_19counting_iterator_tIlEES8_S8_S8_S8_S8_S8_S8_S8_EEEEPS9_S9_NSD_9__find_if7functorIS9_EEEE10hipError_tPvRmT1_T2_T3_mT4_P12ihipStream_tbEUlT_E0_NS1_11comp_targetILNS1_3genE8ELNS1_11target_archE1030ELNS1_3gpuE2ELNS1_3repE0EEENS1_30default_config_static_selectorELNS0_4arch9wavefront6targetE0EEEvS14_.uses_vcc, 0
	.set _ZN7rocprim17ROCPRIM_400000_NS6detail17trampoline_kernelINS0_14default_configENS1_22reduce_config_selectorIN6thrust23THRUST_200600_302600_NS5tupleIblNS6_9null_typeES8_S8_S8_S8_S8_S8_S8_EEEEZNS1_11reduce_implILb1ES3_NS6_12zip_iteratorINS7_INS6_11hip_rocprim26transform_input_iterator_tIbNSD_35transform_pair_of_input_iterators_tIbNS6_6detail15normal_iteratorINS6_10device_ptrIKiEEEESL_NS6_8equal_toIiEEEENSG_9not_fun_tINSD_8identityEEEEENSD_19counting_iterator_tIlEES8_S8_S8_S8_S8_S8_S8_S8_EEEEPS9_S9_NSD_9__find_if7functorIS9_EEEE10hipError_tPvRmT1_T2_T3_mT4_P12ihipStream_tbEUlT_E0_NS1_11comp_targetILNS1_3genE8ELNS1_11target_archE1030ELNS1_3gpuE2ELNS1_3repE0EEENS1_30default_config_static_selectorELNS0_4arch9wavefront6targetE0EEEvS14_.uses_flat_scratch, 0
	.set _ZN7rocprim17ROCPRIM_400000_NS6detail17trampoline_kernelINS0_14default_configENS1_22reduce_config_selectorIN6thrust23THRUST_200600_302600_NS5tupleIblNS6_9null_typeES8_S8_S8_S8_S8_S8_S8_EEEEZNS1_11reduce_implILb1ES3_NS6_12zip_iteratorINS7_INS6_11hip_rocprim26transform_input_iterator_tIbNSD_35transform_pair_of_input_iterators_tIbNS6_6detail15normal_iteratorINS6_10device_ptrIKiEEEESL_NS6_8equal_toIiEEEENSG_9not_fun_tINSD_8identityEEEEENSD_19counting_iterator_tIlEES8_S8_S8_S8_S8_S8_S8_S8_EEEEPS9_S9_NSD_9__find_if7functorIS9_EEEE10hipError_tPvRmT1_T2_T3_mT4_P12ihipStream_tbEUlT_E0_NS1_11comp_targetILNS1_3genE8ELNS1_11target_archE1030ELNS1_3gpuE2ELNS1_3repE0EEENS1_30default_config_static_selectorELNS0_4arch9wavefront6targetE0EEEvS14_.has_dyn_sized_stack, 0
	.set _ZN7rocprim17ROCPRIM_400000_NS6detail17trampoline_kernelINS0_14default_configENS1_22reduce_config_selectorIN6thrust23THRUST_200600_302600_NS5tupleIblNS6_9null_typeES8_S8_S8_S8_S8_S8_S8_EEEEZNS1_11reduce_implILb1ES3_NS6_12zip_iteratorINS7_INS6_11hip_rocprim26transform_input_iterator_tIbNSD_35transform_pair_of_input_iterators_tIbNS6_6detail15normal_iteratorINS6_10device_ptrIKiEEEESL_NS6_8equal_toIiEEEENSG_9not_fun_tINSD_8identityEEEEENSD_19counting_iterator_tIlEES8_S8_S8_S8_S8_S8_S8_S8_EEEEPS9_S9_NSD_9__find_if7functorIS9_EEEE10hipError_tPvRmT1_T2_T3_mT4_P12ihipStream_tbEUlT_E0_NS1_11comp_targetILNS1_3genE8ELNS1_11target_archE1030ELNS1_3gpuE2ELNS1_3repE0EEENS1_30default_config_static_selectorELNS0_4arch9wavefront6targetE0EEEvS14_.has_recursion, 0
	.set _ZN7rocprim17ROCPRIM_400000_NS6detail17trampoline_kernelINS0_14default_configENS1_22reduce_config_selectorIN6thrust23THRUST_200600_302600_NS5tupleIblNS6_9null_typeES8_S8_S8_S8_S8_S8_S8_EEEEZNS1_11reduce_implILb1ES3_NS6_12zip_iteratorINS7_INS6_11hip_rocprim26transform_input_iterator_tIbNSD_35transform_pair_of_input_iterators_tIbNS6_6detail15normal_iteratorINS6_10device_ptrIKiEEEESL_NS6_8equal_toIiEEEENSG_9not_fun_tINSD_8identityEEEEENSD_19counting_iterator_tIlEES8_S8_S8_S8_S8_S8_S8_S8_EEEEPS9_S9_NSD_9__find_if7functorIS9_EEEE10hipError_tPvRmT1_T2_T3_mT4_P12ihipStream_tbEUlT_E0_NS1_11comp_targetILNS1_3genE8ELNS1_11target_archE1030ELNS1_3gpuE2ELNS1_3repE0EEENS1_30default_config_static_selectorELNS0_4arch9wavefront6targetE0EEEvS14_.has_indirect_call, 0
	.section	.AMDGPU.csdata,"",@progbits
; Kernel info:
; codeLenInByte = 0
; TotalNumSgprs: 0
; NumVgprs: 0
; ScratchSize: 0
; MemoryBound: 0
; FloatMode: 240
; IeeeMode: 1
; LDSByteSize: 0 bytes/workgroup (compile time only)
; SGPRBlocks: 0
; VGPRBlocks: 0
; NumSGPRsForWavesPerEU: 1
; NumVGPRsForWavesPerEU: 1
; NamedBarCnt: 0
; Occupancy: 16
; WaveLimiterHint : 0
; COMPUTE_PGM_RSRC2:SCRATCH_EN: 0
; COMPUTE_PGM_RSRC2:USER_SGPR: 2
; COMPUTE_PGM_RSRC2:TRAP_HANDLER: 0
; COMPUTE_PGM_RSRC2:TGID_X_EN: 1
; COMPUTE_PGM_RSRC2:TGID_Y_EN: 0
; COMPUTE_PGM_RSRC2:TGID_Z_EN: 0
; COMPUTE_PGM_RSRC2:TIDIG_COMP_CNT: 0
	.section	.text._ZN7rocprim17ROCPRIM_400000_NS6detail17trampoline_kernelINS0_14default_configENS1_22reduce_config_selectorIN6thrust23THRUST_200600_302600_NS5tupleIblNS6_9null_typeES8_S8_S8_S8_S8_S8_S8_EEEEZNS1_11reduce_implILb1ES3_NS6_12zip_iteratorINS7_INS6_11hip_rocprim26transform_input_iterator_tIbNSD_35transform_pair_of_input_iterators_tIbNS6_6detail15normal_iteratorINS6_10device_ptrIKiEEEESL_NS6_8equal_toIiEEEENSG_9not_fun_tINSD_8identityEEEEENSD_19counting_iterator_tIlEES8_S8_S8_S8_S8_S8_S8_S8_EEEEPS9_S9_NSD_9__find_if7functorIS9_EEEE10hipError_tPvRmT1_T2_T3_mT4_P12ihipStream_tbEUlT_E1_NS1_11comp_targetILNS1_3genE0ELNS1_11target_archE4294967295ELNS1_3gpuE0ELNS1_3repE0EEENS1_30default_config_static_selectorELNS0_4arch9wavefront6targetE0EEEvS14_,"axG",@progbits,_ZN7rocprim17ROCPRIM_400000_NS6detail17trampoline_kernelINS0_14default_configENS1_22reduce_config_selectorIN6thrust23THRUST_200600_302600_NS5tupleIblNS6_9null_typeES8_S8_S8_S8_S8_S8_S8_EEEEZNS1_11reduce_implILb1ES3_NS6_12zip_iteratorINS7_INS6_11hip_rocprim26transform_input_iterator_tIbNSD_35transform_pair_of_input_iterators_tIbNS6_6detail15normal_iteratorINS6_10device_ptrIKiEEEESL_NS6_8equal_toIiEEEENSG_9not_fun_tINSD_8identityEEEEENSD_19counting_iterator_tIlEES8_S8_S8_S8_S8_S8_S8_S8_EEEEPS9_S9_NSD_9__find_if7functorIS9_EEEE10hipError_tPvRmT1_T2_T3_mT4_P12ihipStream_tbEUlT_E1_NS1_11comp_targetILNS1_3genE0ELNS1_11target_archE4294967295ELNS1_3gpuE0ELNS1_3repE0EEENS1_30default_config_static_selectorELNS0_4arch9wavefront6targetE0EEEvS14_,comdat
	.protected	_ZN7rocprim17ROCPRIM_400000_NS6detail17trampoline_kernelINS0_14default_configENS1_22reduce_config_selectorIN6thrust23THRUST_200600_302600_NS5tupleIblNS6_9null_typeES8_S8_S8_S8_S8_S8_S8_EEEEZNS1_11reduce_implILb1ES3_NS6_12zip_iteratorINS7_INS6_11hip_rocprim26transform_input_iterator_tIbNSD_35transform_pair_of_input_iterators_tIbNS6_6detail15normal_iteratorINS6_10device_ptrIKiEEEESL_NS6_8equal_toIiEEEENSG_9not_fun_tINSD_8identityEEEEENSD_19counting_iterator_tIlEES8_S8_S8_S8_S8_S8_S8_S8_EEEEPS9_S9_NSD_9__find_if7functorIS9_EEEE10hipError_tPvRmT1_T2_T3_mT4_P12ihipStream_tbEUlT_E1_NS1_11comp_targetILNS1_3genE0ELNS1_11target_archE4294967295ELNS1_3gpuE0ELNS1_3repE0EEENS1_30default_config_static_selectorELNS0_4arch9wavefront6targetE0EEEvS14_ ; -- Begin function _ZN7rocprim17ROCPRIM_400000_NS6detail17trampoline_kernelINS0_14default_configENS1_22reduce_config_selectorIN6thrust23THRUST_200600_302600_NS5tupleIblNS6_9null_typeES8_S8_S8_S8_S8_S8_S8_EEEEZNS1_11reduce_implILb1ES3_NS6_12zip_iteratorINS7_INS6_11hip_rocprim26transform_input_iterator_tIbNSD_35transform_pair_of_input_iterators_tIbNS6_6detail15normal_iteratorINS6_10device_ptrIKiEEEESL_NS6_8equal_toIiEEEENSG_9not_fun_tINSD_8identityEEEEENSD_19counting_iterator_tIlEES8_S8_S8_S8_S8_S8_S8_S8_EEEEPS9_S9_NSD_9__find_if7functorIS9_EEEE10hipError_tPvRmT1_T2_T3_mT4_P12ihipStream_tbEUlT_E1_NS1_11comp_targetILNS1_3genE0ELNS1_11target_archE4294967295ELNS1_3gpuE0ELNS1_3repE0EEENS1_30default_config_static_selectorELNS0_4arch9wavefront6targetE0EEEvS14_
	.globl	_ZN7rocprim17ROCPRIM_400000_NS6detail17trampoline_kernelINS0_14default_configENS1_22reduce_config_selectorIN6thrust23THRUST_200600_302600_NS5tupleIblNS6_9null_typeES8_S8_S8_S8_S8_S8_S8_EEEEZNS1_11reduce_implILb1ES3_NS6_12zip_iteratorINS7_INS6_11hip_rocprim26transform_input_iterator_tIbNSD_35transform_pair_of_input_iterators_tIbNS6_6detail15normal_iteratorINS6_10device_ptrIKiEEEESL_NS6_8equal_toIiEEEENSG_9not_fun_tINSD_8identityEEEEENSD_19counting_iterator_tIlEES8_S8_S8_S8_S8_S8_S8_S8_EEEEPS9_S9_NSD_9__find_if7functorIS9_EEEE10hipError_tPvRmT1_T2_T3_mT4_P12ihipStream_tbEUlT_E1_NS1_11comp_targetILNS1_3genE0ELNS1_11target_archE4294967295ELNS1_3gpuE0ELNS1_3repE0EEENS1_30default_config_static_selectorELNS0_4arch9wavefront6targetE0EEEvS14_
	.p2align	8
	.type	_ZN7rocprim17ROCPRIM_400000_NS6detail17trampoline_kernelINS0_14default_configENS1_22reduce_config_selectorIN6thrust23THRUST_200600_302600_NS5tupleIblNS6_9null_typeES8_S8_S8_S8_S8_S8_S8_EEEEZNS1_11reduce_implILb1ES3_NS6_12zip_iteratorINS7_INS6_11hip_rocprim26transform_input_iterator_tIbNSD_35transform_pair_of_input_iterators_tIbNS6_6detail15normal_iteratorINS6_10device_ptrIKiEEEESL_NS6_8equal_toIiEEEENSG_9not_fun_tINSD_8identityEEEEENSD_19counting_iterator_tIlEES8_S8_S8_S8_S8_S8_S8_S8_EEEEPS9_S9_NSD_9__find_if7functorIS9_EEEE10hipError_tPvRmT1_T2_T3_mT4_P12ihipStream_tbEUlT_E1_NS1_11comp_targetILNS1_3genE0ELNS1_11target_archE4294967295ELNS1_3gpuE0ELNS1_3repE0EEENS1_30default_config_static_selectorELNS0_4arch9wavefront6targetE0EEEvS14_,@function
_ZN7rocprim17ROCPRIM_400000_NS6detail17trampoline_kernelINS0_14default_configENS1_22reduce_config_selectorIN6thrust23THRUST_200600_302600_NS5tupleIblNS6_9null_typeES8_S8_S8_S8_S8_S8_S8_EEEEZNS1_11reduce_implILb1ES3_NS6_12zip_iteratorINS7_INS6_11hip_rocprim26transform_input_iterator_tIbNSD_35transform_pair_of_input_iterators_tIbNS6_6detail15normal_iteratorINS6_10device_ptrIKiEEEESL_NS6_8equal_toIiEEEENSG_9not_fun_tINSD_8identityEEEEENSD_19counting_iterator_tIlEES8_S8_S8_S8_S8_S8_S8_S8_EEEEPS9_S9_NSD_9__find_if7functorIS9_EEEE10hipError_tPvRmT1_T2_T3_mT4_P12ihipStream_tbEUlT_E1_NS1_11comp_targetILNS1_3genE0ELNS1_11target_archE4294967295ELNS1_3gpuE0ELNS1_3repE0EEENS1_30default_config_static_selectorELNS0_4arch9wavefront6targetE0EEEvS14_: ; @_ZN7rocprim17ROCPRIM_400000_NS6detail17trampoline_kernelINS0_14default_configENS1_22reduce_config_selectorIN6thrust23THRUST_200600_302600_NS5tupleIblNS6_9null_typeES8_S8_S8_S8_S8_S8_S8_EEEEZNS1_11reduce_implILb1ES3_NS6_12zip_iteratorINS7_INS6_11hip_rocprim26transform_input_iterator_tIbNSD_35transform_pair_of_input_iterators_tIbNS6_6detail15normal_iteratorINS6_10device_ptrIKiEEEESL_NS6_8equal_toIiEEEENSG_9not_fun_tINSD_8identityEEEEENSD_19counting_iterator_tIlEES8_S8_S8_S8_S8_S8_S8_S8_EEEEPS9_S9_NSD_9__find_if7functorIS9_EEEE10hipError_tPvRmT1_T2_T3_mT4_P12ihipStream_tbEUlT_E1_NS1_11comp_targetILNS1_3genE0ELNS1_11target_archE4294967295ELNS1_3gpuE0ELNS1_3repE0EEENS1_30default_config_static_selectorELNS0_4arch9wavefront6targetE0EEEvS14_
; %bb.0:
	s_clause 0x2
	s_load_b32 s24, s[0:1], 0x4
	s_load_b128 s[16:19], s[0:1], 0x8
	s_load_b128 s[12:15], s[0:1], 0x28
	s_wait_kmcnt 0x0
	s_cmp_lt_i32 s24, 4
	s_cbranch_scc1 .LBB270_14
; %bb.1:
	s_cmp_gt_i32 s24, 7
	s_cbranch_scc0 .LBB270_15
; %bb.2:
	s_cmp_eq_u32 s24, 8
	s_mov_b32 s25, 0
	s_cbranch_scc0 .LBB270_16
; %bb.3:
	s_bfe_u32 s2, ttmp6, 0x4000c
	s_and_b32 s3, ttmp6, 15
	s_add_co_i32 s2, s2, 1
	s_getreg_b32 s4, hwreg(HW_REG_IB_STS2, 6, 4)
	s_mul_i32 s2, ttmp9, s2
	s_mov_b32 s11, 0
	s_add_co_i32 s3, s3, s2
	s_cmp_eq_u32 s4, 0
	s_mov_b32 s7, s11
	s_cselect_b32 s10, ttmp9, s3
	s_lshr_b64 s[2:3], s[14:15], 10
	s_lshl_b32 s6, s10, 10
	s_delay_alu instid0(SALU_CYCLE_1)
	s_lshl_b64 s[4:5], s[6:7], 2
	s_cmp_lg_u64 s[2:3], s[10:11]
	s_add_nc_u64 s[8:9], s[16:17], s[4:5]
	s_add_nc_u64 s[22:23], s[18:19], s[4:5]
	;; [unrolled: 1-line block ×3, first 2 shown]
	s_cbranch_scc0 .LBB270_29
; %bb.4:
	s_clause 0xf
	global_load_b32 v1, v0, s[8:9] offset:512 scale_offset
	global_load_b32 v2, v0, s[22:23] scale_offset
	global_load_b32 v3, v0, s[22:23] offset:512 scale_offset
	global_load_b32 v4, v0, s[22:23] offset:1024 scale_offset
	;; [unrolled: 1-line block ×4, first 2 shown]
	global_load_b32 v7, v0, s[8:9] scale_offset
	global_load_b32 v8, v0, s[8:9] offset:1024 scale_offset
	global_load_b32 v9, v0, s[8:9] offset:2048 scale_offset
	;; [unrolled: 1-line block ×9, first 2 shown]
	v_mov_b32_e32 v17, 0x80
	v_mov_b32_e32 v18, 0x180
	;; [unrolled: 1-line block ×3, first 2 shown]
	s_wait_loadcnt 0xd
	v_cmp_ne_u32_e32 vcc_lo, v1, v3
	s_wait_loadcnt 0x9
	v_cmp_ne_u32_e64 s2, v7, v2
	v_cndmask_b32_e32 v1, 0x100, v17, vcc_lo
	s_wait_loadcnt 0x8
	v_cmp_ne_u32_e64 s3, v8, v4
	s_wait_loadcnt 0x6
	v_cmp_ne_u32_e64 s5, v10, v5
	v_cmp_ne_u32_e64 s4, v9, v6
	v_cndmask_b32_e64 v1, v1, 0, s2
	s_or_b32 s2, s2, vcc_lo
	v_cndmask_b32_e64 v2, 0x200, v18, s5
	s_wait_loadcnt 0x4
	v_cmp_ne_u32_e32 vcc_lo, v11, v12
	s_or_b32 s2, s2, s3
	s_delay_alu instid0(SALU_CYCLE_1)
	s_or_b32 s3, s2, s5
	v_cndmask_b32_e64 v2, v2, v1, s2
	v_cndmask_b32_e32 v3, 0x300, v19, vcc_lo
	v_mov_b32_e32 v1, 0
	s_wait_loadcnt 0x2
	v_cmp_ne_u32_e64 s2, v14, v13
	s_or_b32 s3, s3, s4
	s_delay_alu instid0(SALU_CYCLE_1)
	v_dual_mov_b32 v5, v1 :: v_dual_cndmask_b32 v4, v3, v2, s3
	s_or_b32 s3, s3, vcc_lo
	v_add_nc_u64_e32 v[2:3], s[20:21], v[0:1]
	s_or_b32 vcc_lo, s3, s2
	s_wait_loadcnt 0x0
	v_cmp_ne_u32_e64 s2, v15, v16
	v_cndmask_b32_e32 v4, 0x380, v4, vcc_lo
	s_or_b32 vcc_lo, vcc_lo, s2
	s_delay_alu instid0(VALU_DEP_1) | instskip(SKIP_2) | instid1(VALU_DEP_1)
	v_add_nc_u64_e32 v[2:3], v[2:3], v[4:5]
	v_cndmask_b32_e64 v8, 0, 1, vcc_lo
	s_mov_b32 s2, exec_lo
	v_mov_b32_dpp v9, v8 quad_perm:[1,0,3,2] row_mask:0xf bank_mask:0xf
	s_delay_alu instid0(VALU_DEP_3) | instskip(NEXT) | instid1(VALU_DEP_4)
	v_mov_b32_dpp v4, v2 quad_perm:[1,0,3,2] row_mask:0xf bank_mask:0xf
	v_mov_b32_dpp v5, v3 quad_perm:[1,0,3,2] row_mask:0xf bank_mask:0xf
	s_delay_alu instid0(VALU_DEP_3) | instskip(NEXT) | instid1(VALU_DEP_2)
	v_and_b32_e32 v9, 1, v9
	v_min_i64 v[6:7], v[2:3], v[4:5]
	s_delay_alu instid0(VALU_DEP_1) | instskip(NEXT) | instid1(VALU_DEP_3)
	v_dual_cndmask_b32 v4, v4, v6 :: v_dual_cndmask_b32 v5, v5, v7
	v_cmp_eq_u32_e32 vcc_lo, 1, v9
	v_cndmask_b32_e64 v8, v8, 1, vcc_lo
	s_delay_alu instid0(VALU_DEP_3) | instskip(NEXT) | instid1(VALU_DEP_2)
	v_cndmask_b32_e32 v2, v2, v4, vcc_lo
	v_and_b32_e32 v9, 1, v8
	v_mov_b32_dpp v10, v8 quad_perm:[2,3,0,1] row_mask:0xf bank_mask:0xf
	v_cndmask_b32_e32 v3, v3, v5, vcc_lo
	s_delay_alu instid0(VALU_DEP_4) | instskip(NEXT) | instid1(VALU_DEP_4)
	v_mov_b32_dpp v4, v2 quad_perm:[2,3,0,1] row_mask:0xf bank_mask:0xf
	v_cmp_eq_u32_e32 vcc_lo, 1, v9
	s_delay_alu instid0(VALU_DEP_4) | instskip(NEXT) | instid1(VALU_DEP_4)
	v_and_b32_e32 v9, 1, v10
	v_mov_b32_dpp v5, v3 quad_perm:[2,3,0,1] row_mask:0xf bank_mask:0xf
	s_delay_alu instid0(VALU_DEP_1) | instskip(NEXT) | instid1(VALU_DEP_1)
	v_min_i64 v[6:7], v[2:3], v[4:5]
	v_dual_cndmask_b32 v4, v4, v6 :: v_dual_cndmask_b32 v5, v5, v7
	s_delay_alu instid0(VALU_DEP_4) | instskip(NEXT) | instid1(VALU_DEP_2)
	v_cmp_eq_u32_e32 vcc_lo, 1, v9
	v_dual_cndmask_b32 v3, v3, v5 :: v_dual_cndmask_b32 v2, v2, v4
	v_cndmask_b32_e64 v8, v8, 1, vcc_lo
	s_delay_alu instid0(VALU_DEP_2) | instskip(NEXT) | instid1(VALU_DEP_3)
	v_mov_b32_dpp v5, v3 row_ror:4 row_mask:0xf bank_mask:0xf
	v_mov_b32_dpp v4, v2 row_ror:4 row_mask:0xf bank_mask:0xf
	s_delay_alu instid0(VALU_DEP_3) | instskip(NEXT) | instid1(VALU_DEP_2)
	v_mov_b32_dpp v10, v8 row_ror:4 row_mask:0xf bank_mask:0xf
	v_min_i64 v[6:7], v[2:3], v[4:5]
	v_and_b32_e32 v9, 1, v8
	s_delay_alu instid0(VALU_DEP_1) | instskip(NEXT) | instid1(VALU_DEP_3)
	v_cmp_eq_u32_e32 vcc_lo, 1, v9
	v_dual_cndmask_b32 v5, v5, v7, vcc_lo :: v_dual_bitop2_b32 v9, 1, v10 bitop3:0x40
	s_delay_alu instid0(VALU_DEP_4) | instskip(NEXT) | instid1(VALU_DEP_2)
	v_cndmask_b32_e32 v4, v4, v6, vcc_lo
	v_cmp_eq_u32_e32 vcc_lo, 1, v9
	s_delay_alu instid0(VALU_DEP_2) | instskip(SKIP_1) | instid1(VALU_DEP_2)
	v_dual_cndmask_b32 v3, v3, v5 :: v_dual_cndmask_b32 v2, v2, v4
	v_cndmask_b32_e64 v8, v8, 1, vcc_lo
	v_mov_b32_dpp v5, v3 row_ror:8 row_mask:0xf bank_mask:0xf
	s_delay_alu instid0(VALU_DEP_3) | instskip(NEXT) | instid1(VALU_DEP_3)
	v_mov_b32_dpp v4, v2 row_ror:8 row_mask:0xf bank_mask:0xf
	v_mov_b32_dpp v10, v8 row_ror:8 row_mask:0xf bank_mask:0xf
	s_delay_alu instid0(VALU_DEP_2) | instskip(SKIP_1) | instid1(VALU_DEP_1)
	v_min_i64 v[6:7], v[2:3], v[4:5]
	v_and_b32_e32 v9, 1, v8
	v_cmp_eq_u32_e32 vcc_lo, 1, v9
	s_delay_alu instid0(VALU_DEP_3) | instskip(NEXT) | instid1(VALU_DEP_4)
	v_dual_cndmask_b32 v5, v5, v7, vcc_lo :: v_dual_bitop2_b32 v9, 1, v10 bitop3:0x40
	v_cndmask_b32_e32 v4, v4, v6, vcc_lo
	s_delay_alu instid0(VALU_DEP_2) | instskip(NEXT) | instid1(VALU_DEP_2)
	v_cmp_eq_u32_e32 vcc_lo, 1, v9
	v_dual_cndmask_b32 v3, v3, v5 :: v_dual_cndmask_b32 v2, v2, v4
	v_cndmask_b32_e64 v8, v8, 1, vcc_lo
	ds_swizzle_b32 v5, v3 offset:swizzle(BROADCAST,32,15)
	ds_swizzle_b32 v4, v2 offset:swizzle(BROADCAST,32,15)
	;; [unrolled: 1-line block ×3, first 2 shown]
	s_wait_dscnt 0x1
	v_min_i64 v[6:7], v[2:3], v[4:5]
	v_and_b32_e32 v10, 1, v8
	s_delay_alu instid0(VALU_DEP_1) | instskip(SKIP_1) | instid1(VALU_DEP_3)
	v_cmp_eq_u32_e32 vcc_lo, 1, v10
	s_wait_dscnt 0x0
	v_dual_cndmask_b32 v5, v5, v7, vcc_lo :: v_dual_bitop2_b32 v9, 1, v9 bitop3:0x40
	s_delay_alu instid0(VALU_DEP_4) | instskip(NEXT) | instid1(VALU_DEP_2)
	v_cndmask_b32_e32 v4, v4, v6, vcc_lo
	v_cmp_eq_u32_e32 vcc_lo, 1, v9
	s_delay_alu instid0(VALU_DEP_2)
	v_dual_cndmask_b32 v3, v3, v5 :: v_dual_cndmask_b32 v2, v2, v4
	v_cndmask_b32_e64 v5, v8, 1, vcc_lo
	ds_bpermute_b32 v3, v1, v3 offset:124
	ds_bpermute_b32 v2, v1, v2 offset:124
	;; [unrolled: 1-line block ×3, first 2 shown]
	v_mbcnt_lo_u32_b32 v1, -1, 0
	s_delay_alu instid0(VALU_DEP_1)
	v_cmpx_eq_u32_e32 0, v1
	s_cbranch_execz .LBB270_6
; %bb.5:
	v_lshrrev_b32_e32 v4, 1, v0
	s_delay_alu instid0(VALU_DEP_1)
	v_and_b32_e32 v4, 48, v4
	s_wait_dscnt 0x0
	ds_store_b8 v4, v20 offset:192
	ds_store_b64 v4, v[2:3] offset:200
.LBB270_6:
	s_or_b32 exec_lo, exec_lo, s2
	s_delay_alu instid0(SALU_CYCLE_1)
	s_mov_b32 s2, exec_lo
	s_wait_dscnt 0x0
	s_barrier_signal -1
	s_barrier_wait -1
	v_cmpx_gt_u32_e32 32, v0
	s_cbranch_execz .LBB270_12
; %bb.7:
	v_and_b32_e32 v2, 3, v1
	s_delay_alu instid0(VALU_DEP_1) | instskip(SKIP_2) | instid1(VALU_DEP_1)
	v_cmp_ne_u32_e32 vcc_lo, 3, v2
	v_lshlrev_b32_e32 v3, 4, v2
	v_add_co_ci_u32_e64 v2, null, 0, v1, vcc_lo
	v_lshlrev_b32_e32 v2, 2, v2
	ds_load_u8 v8, v3 offset:192
	ds_load_b64 v[4:5], v3 offset:200
	s_wait_dscnt 0x1
	v_and_b32_e32 v3, 0xff, v8
	s_wait_dscnt 0x0
	ds_bpermute_b32 v6, v2, v4
	ds_bpermute_b32 v7, v2, v5
	;; [unrolled: 1-line block ×3, first 2 shown]
	s_wait_dscnt 0x0
	v_and_b32_e32 v2, v8, v9
	s_delay_alu instid0(VALU_DEP_1) | instskip(NEXT) | instid1(VALU_DEP_1)
	v_and_b32_e32 v2, 1, v2
	v_cmp_eq_u32_e32 vcc_lo, 1, v2
                                        ; implicit-def: $vgpr2_vgpr3
	s_and_saveexec_b32 s3, vcc_lo
	s_delay_alu instid0(SALU_CYCLE_1)
	s_xor_b32 s3, exec_lo, s3
; %bb.8:
	v_min_i64 v[2:3], v[6:7], v[4:5]
                                        ; implicit-def: $vgpr8
                                        ; implicit-def: $vgpr6_vgpr7
                                        ; implicit-def: $vgpr4_vgpr5
                                        ; implicit-def: $vgpr9
; %bb.9:
	s_or_saveexec_b32 s3, s3
	v_dual_mov_b32 v10, 1 :: v_dual_lshlrev_b32 v1, 2, v1
	s_xor_b32 exec_lo, exec_lo, s3
; %bb.10:
	v_and_b32_e32 v2, 1, v8
	v_and_b32_e32 v8, 0xff, v9
	s_delay_alu instid0(VALU_DEP_2) | instskip(SKIP_1) | instid1(VALU_DEP_3)
	v_cmp_eq_u32_e32 vcc_lo, 1, v2
	v_dual_cndmask_b32 v3, v7, v5 :: v_dual_cndmask_b32 v2, v6, v4
	v_cndmask_b32_e64 v10, v8, 1, vcc_lo
; %bb.11:
	s_or_b32 exec_lo, exec_lo, s3
	s_delay_alu instid0(VALU_DEP_1) | instskip(NEXT) | instid1(VALU_DEP_1)
	v_and_b32_e32 v8, 1, v10
	v_cmp_eq_u32_e32 vcc_lo, 1, v8
	v_or_b32_e32 v1, 8, v1
	ds_bpermute_b32 v4, v1, v2
	ds_bpermute_b32 v5, v1, v3
	s_wait_dscnt 0x0
	v_min_i64 v[6:7], v[4:5], v[2:3]
	v_cndmask_b32_e32 v2, v4, v2, vcc_lo
	ds_bpermute_b32 v1, v1, v10
	v_cndmask_b32_e32 v3, v5, v3, vcc_lo
	s_wait_dscnt 0x0
	v_bitop3_b32 v8, v10, 1, v1 bitop3:0x80
	v_cndmask_b32_e64 v1, v1, 1, vcc_lo
	s_delay_alu instid0(VALU_DEP_2) | instskip(NEXT) | instid1(VALU_DEP_2)
	v_cmp_eq_u32_e32 vcc_lo, 0, v8
	v_dual_cndmask_b32 v20, 1, v1 :: v_dual_cndmask_b32 v3, v7, v3
	v_cndmask_b32_e32 v2, v6, v2, vcc_lo
.LBB270_12:
	s_or_b32 exec_lo, exec_lo, s2
.LBB270_13:
	v_cmp_eq_u32_e64 s2, 0, v0
	s_and_b32 vcc_lo, exec_lo, s25
	s_cbranch_vccnz .LBB270_17
	s_branch .LBB270_118
.LBB270_14:
	s_mov_b32 s2, 0
                                        ; implicit-def: $sgpr10_sgpr11
                                        ; implicit-def: $vgpr2_vgpr3
                                        ; implicit-def: $vgpr20
	s_cbranch_execnz .LBB270_155
	s_branch .LBB270_211
.LBB270_15:
	s_mov_b32 s25, -1
.LBB270_16:
	s_mov_b32 s2, 0
                                        ; implicit-def: $sgpr10_sgpr11
                                        ; implicit-def: $vgpr2_vgpr3
                                        ; implicit-def: $vgpr20
	s_and_b32 vcc_lo, exec_lo, s25
	s_cbranch_vccz .LBB270_118
.LBB270_17:
	s_cmp_eq_u32 s24, 4
	s_cbranch_scc0 .LBB270_28
; %bb.18:
	s_bfe_u32 s2, ttmp6, 0x4000c
	s_and_b32 s3, ttmp6, 15
	s_add_co_i32 s2, s2, 1
	s_getreg_b32 s4, hwreg(HW_REG_IB_STS2, 6, 4)
	s_mul_i32 s2, ttmp9, s2
	s_mov_b32 s11, 0
	s_add_co_i32 s3, s3, s2
	s_cmp_eq_u32 s4, 0
	s_mov_b32 s21, s11
	s_cselect_b32 s10, ttmp9, s3
	s_lshr_b64 s[2:3], s[14:15], 9
	s_lshl_b32 s20, s10, 9
	s_delay_alu instid0(SALU_CYCLE_1)
	s_lshl_b64 s[4:5], s[20:21], 2
	s_cmp_lg_u64 s[2:3], s[10:11]
	s_add_nc_u64 s[6:7], s[16:17], s[4:5]
	s_add_nc_u64 s[8:9], s[18:19], s[4:5]
	;; [unrolled: 1-line block ×3, first 2 shown]
	s_cbranch_scc0 .LBB270_52
; %bb.19:
	s_wait_dscnt 0x2
	s_clause 0x2
	global_load_b32 v1, v0, s[6:7] offset:512 scale_offset
	global_load_b32 v2, v0, s[8:9] offset:512 scale_offset
	global_load_b32 v3, v0, s[6:7] scale_offset
	s_wait_dscnt 0x1
	global_load_b32 v4, v0, s[8:9] scale_offset
	s_wait_dscnt 0x0
	s_clause 0x3
	global_load_b32 v5, v0, s[6:7] offset:1024 scale_offset
	global_load_b32 v6, v0, s[8:9] offset:1024 scale_offset
	;; [unrolled: 1-line block ×4, first 2 shown]
	v_mov_b32_e32 v7, 0x80
	s_wait_loadcnt 0x6
	v_cmp_ne_u32_e32 vcc_lo, v1, v2
	v_mov_b32_e32 v1, 0
	s_wait_loadcnt 0x4
	v_cmp_ne_u32_e64 s2, v3, v4
	s_wait_loadcnt 0x2
	v_cmp_ne_u32_e64 s3, v5, v6
	v_cndmask_b32_e32 v2, 0x100, v7, vcc_lo
	s_delay_alu instid0(VALU_DEP_1) | instskip(SKIP_3) | instid1(VALU_DEP_2)
	v_cndmask_b32_e64 v4, v2, 0, s2
	s_or_b32 s2, s2, vcc_lo
	v_add_nc_u64_e32 v[2:3], s[4:5], v[0:1]
	s_or_b32 vcc_lo, s2, s3
	v_dual_mov_b32 v5, v1 :: v_dual_cndmask_b32 v4, 0x180, v4
	s_wait_loadcnt 0x0
	v_cmp_ne_u32_e64 s2, v9, v8
	s_delay_alu instid0(VALU_DEP_2) | instskip(SKIP_3) | instid1(VALU_DEP_2)
	v_add_nc_u64_e32 v[2:3], v[2:3], v[4:5]
	s_or_b32 vcc_lo, vcc_lo, s2
	s_mov_b32 s2, exec_lo
	v_cndmask_b32_e64 v8, 0, 1, vcc_lo
	v_mov_b32_dpp v4, v2 quad_perm:[1,0,3,2] row_mask:0xf bank_mask:0xf
	s_delay_alu instid0(VALU_DEP_3) | instskip(NEXT) | instid1(VALU_DEP_3)
	v_mov_b32_dpp v5, v3 quad_perm:[1,0,3,2] row_mask:0xf bank_mask:0xf
	v_mov_b32_dpp v9, v8 quad_perm:[1,0,3,2] row_mask:0xf bank_mask:0xf
	s_delay_alu instid0(VALU_DEP_2) | instskip(NEXT) | instid1(VALU_DEP_1)
	v_min_i64 v[6:7], v[2:3], v[4:5]
	v_dual_cndmask_b32 v5, v5, v7, vcc_lo :: v_dual_bitop2_b32 v9, 1, v9 bitop3:0x40
	s_delay_alu instid0(VALU_DEP_2) | instskip(NEXT) | instid1(VALU_DEP_2)
	v_cndmask_b32_e32 v4, v4, v6, vcc_lo
	v_cmp_eq_u32_e32 vcc_lo, 1, v9
	s_delay_alu instid0(VALU_DEP_2) | instskip(SKIP_1) | instid1(VALU_DEP_2)
	v_dual_cndmask_b32 v3, v3, v5 :: v_dual_cndmask_b32 v2, v2, v4
	v_cndmask_b32_e64 v8, v8, 1, vcc_lo
	v_mov_b32_dpp v5, v3 quad_perm:[2,3,0,1] row_mask:0xf bank_mask:0xf
	s_delay_alu instid0(VALU_DEP_3) | instskip(NEXT) | instid1(VALU_DEP_3)
	v_mov_b32_dpp v4, v2 quad_perm:[2,3,0,1] row_mask:0xf bank_mask:0xf
	v_mov_b32_dpp v10, v8 quad_perm:[2,3,0,1] row_mask:0xf bank_mask:0xf
	s_delay_alu instid0(VALU_DEP_2) | instskip(SKIP_1) | instid1(VALU_DEP_1)
	v_min_i64 v[6:7], v[2:3], v[4:5]
	v_and_b32_e32 v9, 1, v8
	v_cmp_eq_u32_e32 vcc_lo, 1, v9
	s_delay_alu instid0(VALU_DEP_3) | instskip(NEXT) | instid1(VALU_DEP_4)
	v_dual_cndmask_b32 v5, v5, v7, vcc_lo :: v_dual_bitop2_b32 v9, 1, v10 bitop3:0x40
	v_cndmask_b32_e32 v4, v4, v6, vcc_lo
	s_delay_alu instid0(VALU_DEP_2) | instskip(NEXT) | instid1(VALU_DEP_2)
	v_cmp_eq_u32_e32 vcc_lo, 1, v9
	v_dual_cndmask_b32 v3, v3, v5 :: v_dual_cndmask_b32 v2, v2, v4
	v_cndmask_b32_e64 v8, v8, 1, vcc_lo
	s_delay_alu instid0(VALU_DEP_2) | instskip(NEXT) | instid1(VALU_DEP_3)
	v_mov_b32_dpp v5, v3 row_ror:4 row_mask:0xf bank_mask:0xf
	v_mov_b32_dpp v4, v2 row_ror:4 row_mask:0xf bank_mask:0xf
	s_delay_alu instid0(VALU_DEP_3) | instskip(NEXT) | instid1(VALU_DEP_2)
	v_mov_b32_dpp v10, v8 row_ror:4 row_mask:0xf bank_mask:0xf
	v_min_i64 v[6:7], v[2:3], v[4:5]
	v_and_b32_e32 v9, 1, v8
	s_delay_alu instid0(VALU_DEP_1) | instskip(NEXT) | instid1(VALU_DEP_3)
	v_cmp_eq_u32_e32 vcc_lo, 1, v9
	v_dual_cndmask_b32 v5, v5, v7, vcc_lo :: v_dual_bitop2_b32 v9, 1, v10 bitop3:0x40
	s_delay_alu instid0(VALU_DEP_4) | instskip(NEXT) | instid1(VALU_DEP_2)
	v_cndmask_b32_e32 v4, v4, v6, vcc_lo
	v_cmp_eq_u32_e32 vcc_lo, 1, v9
	s_delay_alu instid0(VALU_DEP_2) | instskip(SKIP_1) | instid1(VALU_DEP_2)
	v_dual_cndmask_b32 v3, v3, v5 :: v_dual_cndmask_b32 v2, v2, v4
	v_cndmask_b32_e64 v8, v8, 1, vcc_lo
	v_mov_b32_dpp v5, v3 row_ror:8 row_mask:0xf bank_mask:0xf
	s_delay_alu instid0(VALU_DEP_3) | instskip(NEXT) | instid1(VALU_DEP_3)
	v_mov_b32_dpp v4, v2 row_ror:8 row_mask:0xf bank_mask:0xf
	v_mov_b32_dpp v10, v8 row_ror:8 row_mask:0xf bank_mask:0xf
	s_delay_alu instid0(VALU_DEP_2) | instskip(SKIP_1) | instid1(VALU_DEP_1)
	v_min_i64 v[6:7], v[2:3], v[4:5]
	v_and_b32_e32 v9, 1, v8
	v_cmp_eq_u32_e32 vcc_lo, 1, v9
	s_delay_alu instid0(VALU_DEP_3) | instskip(NEXT) | instid1(VALU_DEP_4)
	v_dual_cndmask_b32 v5, v5, v7, vcc_lo :: v_dual_bitop2_b32 v9, 1, v10 bitop3:0x40
	v_cndmask_b32_e32 v4, v4, v6, vcc_lo
	s_delay_alu instid0(VALU_DEP_2) | instskip(NEXT) | instid1(VALU_DEP_2)
	v_cmp_eq_u32_e32 vcc_lo, 1, v9
	v_dual_cndmask_b32 v3, v3, v5 :: v_dual_cndmask_b32 v2, v2, v4
	v_cndmask_b32_e64 v8, v8, 1, vcc_lo
	ds_swizzle_b32 v5, v3 offset:swizzle(BROADCAST,32,15)
	ds_swizzle_b32 v4, v2 offset:swizzle(BROADCAST,32,15)
	;; [unrolled: 1-line block ×3, first 2 shown]
	s_wait_dscnt 0x1
	v_min_i64 v[6:7], v[2:3], v[4:5]
	v_and_b32_e32 v10, 1, v8
	s_delay_alu instid0(VALU_DEP_1) | instskip(SKIP_1) | instid1(VALU_DEP_3)
	v_cmp_eq_u32_e32 vcc_lo, 1, v10
	s_wait_dscnt 0x0
	v_dual_cndmask_b32 v5, v5, v7, vcc_lo :: v_dual_bitop2_b32 v9, 1, v9 bitop3:0x40
	s_delay_alu instid0(VALU_DEP_4) | instskip(NEXT) | instid1(VALU_DEP_2)
	v_cndmask_b32_e32 v4, v4, v6, vcc_lo
	v_cmp_eq_u32_e32 vcc_lo, 1, v9
	s_delay_alu instid0(VALU_DEP_2)
	v_dual_cndmask_b32 v3, v3, v5 :: v_dual_cndmask_b32 v2, v2, v4
	v_cndmask_b32_e64 v5, v8, 1, vcc_lo
	ds_bpermute_b32 v3, v1, v3 offset:124
	ds_bpermute_b32 v2, v1, v2 offset:124
	;; [unrolled: 1-line block ×3, first 2 shown]
	v_mbcnt_lo_u32_b32 v1, -1, 0
	s_delay_alu instid0(VALU_DEP_1)
	v_cmpx_eq_u32_e32 0, v1
	s_cbranch_execz .LBB270_21
; %bb.20:
	v_lshrrev_b32_e32 v4, 1, v0
	s_delay_alu instid0(VALU_DEP_1)
	v_and_b32_e32 v4, 48, v4
	s_wait_dscnt 0x0
	ds_store_b8 v4, v20 offset:128
	ds_store_b64 v4, v[2:3] offset:136
.LBB270_21:
	s_or_b32 exec_lo, exec_lo, s2
	s_delay_alu instid0(SALU_CYCLE_1)
	s_mov_b32 s2, exec_lo
	s_wait_dscnt 0x0
	s_barrier_signal -1
	s_barrier_wait -1
	v_cmpx_gt_u32_e32 32, v0
	s_cbranch_execz .LBB270_27
; %bb.22:
	v_and_b32_e32 v2, 3, v1
	s_delay_alu instid0(VALU_DEP_1) | instskip(SKIP_2) | instid1(VALU_DEP_1)
	v_cmp_ne_u32_e32 vcc_lo, 3, v2
	v_lshlrev_b32_e32 v3, 4, v2
	v_add_co_ci_u32_e64 v2, null, 0, v1, vcc_lo
	v_lshlrev_b32_e32 v2, 2, v2
	ds_load_u8 v8, v3 offset:128
	ds_load_b64 v[4:5], v3 offset:136
	s_wait_dscnt 0x1
	v_and_b32_e32 v3, 0xff, v8
	s_wait_dscnt 0x0
	ds_bpermute_b32 v6, v2, v4
	ds_bpermute_b32 v7, v2, v5
	;; [unrolled: 1-line block ×3, first 2 shown]
	s_wait_dscnt 0x0
	v_and_b32_e32 v2, v8, v9
	s_delay_alu instid0(VALU_DEP_1) | instskip(NEXT) | instid1(VALU_DEP_1)
	v_and_b32_e32 v2, 1, v2
	v_cmp_eq_u32_e32 vcc_lo, 1, v2
                                        ; implicit-def: $vgpr2_vgpr3
	s_and_saveexec_b32 s3, vcc_lo
	s_delay_alu instid0(SALU_CYCLE_1)
	s_xor_b32 s3, exec_lo, s3
; %bb.23:
	v_min_i64 v[2:3], v[6:7], v[4:5]
                                        ; implicit-def: $vgpr8
                                        ; implicit-def: $vgpr6_vgpr7
                                        ; implicit-def: $vgpr4_vgpr5
                                        ; implicit-def: $vgpr9
; %bb.24:
	s_or_saveexec_b32 s3, s3
	v_dual_mov_b32 v10, 1 :: v_dual_lshlrev_b32 v1, 2, v1
	s_xor_b32 exec_lo, exec_lo, s3
; %bb.25:
	v_and_b32_e32 v2, 1, v8
	v_and_b32_e32 v8, 0xff, v9
	s_delay_alu instid0(VALU_DEP_2) | instskip(SKIP_1) | instid1(VALU_DEP_3)
	v_cmp_eq_u32_e32 vcc_lo, 1, v2
	v_dual_cndmask_b32 v3, v7, v5 :: v_dual_cndmask_b32 v2, v6, v4
	v_cndmask_b32_e64 v10, v8, 1, vcc_lo
; %bb.26:
	s_or_b32 exec_lo, exec_lo, s3
	s_delay_alu instid0(VALU_DEP_1) | instskip(NEXT) | instid1(VALU_DEP_1)
	v_and_b32_e32 v8, 1, v10
	v_cmp_eq_u32_e32 vcc_lo, 1, v8
	v_or_b32_e32 v1, 8, v1
	ds_bpermute_b32 v4, v1, v2
	ds_bpermute_b32 v5, v1, v3
	s_wait_dscnt 0x0
	v_min_i64 v[6:7], v[4:5], v[2:3]
	v_cndmask_b32_e32 v2, v4, v2, vcc_lo
	ds_bpermute_b32 v1, v1, v10
	v_cndmask_b32_e32 v3, v5, v3, vcc_lo
	s_wait_dscnt 0x0
	v_bitop3_b32 v8, v10, 1, v1 bitop3:0x80
	v_cndmask_b32_e64 v1, v1, 1, vcc_lo
	s_delay_alu instid0(VALU_DEP_2) | instskip(NEXT) | instid1(VALU_DEP_2)
	v_cmp_eq_u32_e32 vcc_lo, 0, v8
	v_dual_cndmask_b32 v20, 1, v1 :: v_dual_cndmask_b32 v3, v7, v3
	v_cndmask_b32_e32 v2, v6, v2, vcc_lo
.LBB270_27:
	s_or_b32 exec_lo, exec_lo, s2
	s_branch .LBB270_154
.LBB270_28:
                                        ; implicit-def: $sgpr10_sgpr11
                                        ; implicit-def: $vgpr2_vgpr3
                                        ; implicit-def: $vgpr20
	s_branch .LBB270_211
.LBB270_29:
                                        ; implicit-def: $vgpr2_vgpr3
                                        ; implicit-def: $vgpr20
	s_cbranch_execz .LBB270_13
; %bb.30:
	v_mov_b64_e32 v[16:17], 0
	v_mov_b64_e32 v[2:3], 0
	v_dual_mov_b32 v26, 0 :: v_dual_mov_b32 v20, 0
	s_sub_co_i32 s26, s14, s6
	s_mov_b32 s2, exec_lo
	v_cmpx_gt_u32_e64 s26, v0
	s_cbranch_execz .LBB270_32
; %bb.31:
	s_clause 0x1
	global_load_b32 v4, v0, s[8:9] scale_offset
	global_load_b32 v5, v0, s[22:23] scale_offset
	v_mov_b32_e32 v1, 0
	s_delay_alu instid0(VALU_DEP_1)
	v_add_nc_u64_e32 v[2:3], s[20:21], v[0:1]
	s_wait_loadcnt 0x0
	v_cmp_ne_u32_e32 vcc_lo, v4, v5
	v_cndmask_b32_e64 v20, 0, 1, vcc_lo
.LBB270_32:
	s_or_b32 exec_lo, exec_lo, s2
	v_or_b32_e32 v4, 0x80, v0
	s_delay_alu instid0(VALU_DEP_1)
	v_cmp_gt_u32_e64 s7, s26, v4
	s_and_saveexec_b32 s2, s7
	s_cbranch_execz .LBB270_34
; %bb.33:
	s_clause 0x1
	global_load_b32 v1, v0, s[8:9] offset:512 scale_offset
	global_load_b32 v6, v0, s[22:23] offset:512 scale_offset
	v_mov_b32_e32 v5, 0
	s_delay_alu instid0(VALU_DEP_1)
	v_add_nc_u64_e32 v[16:17], s[20:21], v[4:5]
	s_wait_loadcnt 0x0
	v_cmp_ne_u32_e32 vcc_lo, v1, v6
	v_cndmask_b32_e64 v26, 0, 1, vcc_lo
.LBB270_34:
	s_or_b32 exec_lo, exec_lo, s2
	v_or_b32_e32 v4, 0x100, v0
	v_mov_b64_e32 v[12:13], 0
	v_mov_b64_e32 v[14:15], 0
	v_dual_mov_b32 v24, 0 :: v_dual_mov_b32 v25, 0
	s_delay_alu instid0(VALU_DEP_4)
	v_cmp_gt_u32_e64 s6, s26, v4
	s_and_saveexec_b32 s2, s6
	s_cbranch_execz .LBB270_36
; %bb.35:
	s_clause 0x1
	global_load_b32 v1, v0, s[8:9] offset:1024 scale_offset
	global_load_b32 v6, v0, s[22:23] offset:1024 scale_offset
	v_mov_b32_e32 v5, 0
	s_delay_alu instid0(VALU_DEP_1)
	v_add_nc_u64_e32 v[14:15], s[20:21], v[4:5]
	s_wait_loadcnt 0x0
	v_cmp_ne_u32_e32 vcc_lo, v1, v6
	v_cndmask_b32_e64 v25, 0, 1, vcc_lo
.LBB270_36:
	s_or_b32 exec_lo, exec_lo, s2
	v_or_b32_e32 v4, 0x180, v0
	s_delay_alu instid0(VALU_DEP_1)
	v_cmp_gt_u32_e64 s5, s26, v4
	s_and_saveexec_b32 s2, s5
	s_cbranch_execz .LBB270_38
; %bb.37:
	s_clause 0x1
	global_load_b32 v1, v0, s[8:9] offset:1536 scale_offset
	global_load_b32 v6, v0, s[22:23] offset:1536 scale_offset
	v_mov_b32_e32 v5, 0
	s_delay_alu instid0(VALU_DEP_1)
	v_add_nc_u64_e32 v[12:13], s[20:21], v[4:5]
	s_wait_loadcnt 0x0
	v_cmp_ne_u32_e32 vcc_lo, v1, v6
	v_cndmask_b32_e64 v24, 0, 1, vcc_lo
.LBB270_38:
	s_or_b32 exec_lo, exec_lo, s2
	v_or_b32_e32 v4, 0x200, v0
	v_mov_b64_e32 v[8:9], 0
	v_mov_b64_e32 v[10:11], 0
	v_dual_mov_b32 v22, 0 :: v_dual_mov_b32 v23, 0
	s_delay_alu instid0(VALU_DEP_4)
	v_cmp_gt_u32_e64 s4, s26, v4
	s_and_saveexec_b32 s2, s4
	s_cbranch_execz .LBB270_40
; %bb.39:
	s_clause 0x1
	global_load_b32 v1, v0, s[8:9] offset:2048 scale_offset
	global_load_b32 v6, v0, s[22:23] offset:2048 scale_offset
	v_mov_b32_e32 v5, 0
	s_delay_alu instid0(VALU_DEP_1)
	v_add_nc_u64_e32 v[10:11], s[20:21], v[4:5]
	s_wait_loadcnt 0x0
	v_cmp_ne_u32_e32 vcc_lo, v1, v6
	v_cndmask_b32_e64 v23, 0, 1, vcc_lo
.LBB270_40:
	s_or_b32 exec_lo, exec_lo, s2
	v_or_b32_e32 v4, 0x280, v0
	s_delay_alu instid0(VALU_DEP_1)
	v_cmp_gt_u32_e64 s3, s26, v4
	s_and_saveexec_b32 s2, s3
	s_cbranch_execz .LBB270_42
; %bb.41:
	s_clause 0x1
	global_load_b32 v1, v0, s[8:9] offset:2560 scale_offset
	global_load_b32 v6, v0, s[22:23] offset:2560 scale_offset
	v_mov_b32_e32 v5, 0
	s_delay_alu instid0(VALU_DEP_1)
	v_add_nc_u64_e32 v[8:9], s[20:21], v[4:5]
	s_wait_loadcnt 0x0
	v_cmp_ne_u32_e32 vcc_lo, v1, v6
	v_cndmask_b32_e64 v22, 0, 1, vcc_lo
.LBB270_42:
	s_or_b32 exec_lo, exec_lo, s2
	v_or_b32_e32 v18, 0x300, v0
	v_mov_b64_e32 v[4:5], 0
	v_mov_b64_e32 v[6:7], 0
	v_dual_mov_b32 v1, 0 :: v_dual_mov_b32 v21, 0
	s_delay_alu instid0(VALU_DEP_4)
	v_cmp_gt_u32_e64 s2, s26, v18
	s_and_saveexec_b32 s27, s2
	s_cbranch_execz .LBB270_44
; %bb.43:
	s_clause 0x1
	global_load_b32 v21, v0, s[8:9] offset:3072 scale_offset
	global_load_b32 v27, v0, s[22:23] offset:3072 scale_offset
	v_mov_b32_e32 v19, 0
	s_delay_alu instid0(VALU_DEP_1)
	v_add_nc_u64_e32 v[6:7], s[20:21], v[18:19]
	s_wait_loadcnt 0x0
	v_cmp_ne_u32_e32 vcc_lo, v21, v27
	v_cndmask_b32_e64 v21, 0, 1, vcc_lo
.LBB270_44:
	s_or_b32 exec_lo, exec_lo, s27
	v_or_b32_e32 v18, 0x380, v0
	s_delay_alu instid0(VALU_DEP_1)
	v_cmp_gt_u32_e32 vcc_lo, s26, v18
	s_and_saveexec_b32 s27, vcc_lo
	s_cbranch_execnz .LBB270_63
; %bb.45:
	s_or_b32 exec_lo, exec_lo, s27
	s_and_saveexec_b32 s9, s7
	s_cbranch_execnz .LBB270_64
.LBB270_46:
	s_or_b32 exec_lo, exec_lo, s9
	s_and_saveexec_b32 s8, s6
	s_cbranch_execnz .LBB270_69
.LBB270_47:
	s_or_b32 exec_lo, exec_lo, s8
	s_and_saveexec_b32 s7, s5
	s_cbranch_execnz .LBB270_74
.LBB270_48:
	s_or_b32 exec_lo, exec_lo, s7
	s_and_saveexec_b32 s6, s4
	s_cbranch_execnz .LBB270_79
.LBB270_49:
	s_or_b32 exec_lo, exec_lo, s6
	s_and_saveexec_b32 s5, s3
	s_cbranch_execnz .LBB270_84
.LBB270_50:
	s_or_b32 exec_lo, exec_lo, s5
	s_and_saveexec_b32 s4, s2
	s_cbranch_execnz .LBB270_89
.LBB270_51:
	s_or_b32 exec_lo, exec_lo, s4
	s_and_saveexec_b32 s3, vcc_lo
	s_cbranch_execnz .LBB270_94
	s_branch .LBB270_99
.LBB270_52:
                                        ; implicit-def: $vgpr2_vgpr3
                                        ; implicit-def: $vgpr20
	s_cbranch_execz .LBB270_154
; %bb.53:
	v_mov_b64_e32 v[8:9], 0
	v_mov_b64_e32 v[2:3], 0
	v_dual_mov_b32 v13, 0 :: v_dual_mov_b32 v20, 0
	s_sub_co_i32 s20, s14, s20
	s_mov_b32 s2, exec_lo
	v_cmpx_gt_u32_e64 s20, v0
	s_cbranch_execz .LBB270_55
; %bb.54:
	s_wait_dscnt 0x1
	global_load_b32 v4, v0, s[6:7] scale_offset
	s_wait_dscnt 0x0
	global_load_b32 v5, v0, s[8:9] scale_offset
	v_mov_b32_e32 v1, 0
	s_delay_alu instid0(VALU_DEP_1)
	v_add_nc_u64_e32 v[2:3], s[4:5], v[0:1]
	s_wait_loadcnt 0x0
	v_cmp_ne_u32_e32 vcc_lo, v4, v5
	v_cndmask_b32_e64 v20, 0, 1, vcc_lo
.LBB270_55:
	s_or_b32 exec_lo, exec_lo, s2
	s_wait_dscnt 0x1
	v_or_b32_e32 v4, 0x80, v0
	s_delay_alu instid0(VALU_DEP_1)
	v_cmp_gt_u32_e64 s3, s20, v4
	s_and_saveexec_b32 s2, s3
	s_cbranch_execz .LBB270_57
; %bb.56:
	s_clause 0x1
	global_load_b32 v1, v0, s[6:7] offset:512 scale_offset
	global_load_b32 v6, v0, s[8:9] offset:512 scale_offset
	s_wait_dscnt 0x0
	v_mov_b32_e32 v5, 0
	s_delay_alu instid0(VALU_DEP_1)
	v_add_nc_u64_e32 v[8:9], s[4:5], v[4:5]
	s_wait_loadcnt 0x0
	v_cmp_ne_u32_e32 vcc_lo, v1, v6
	v_cndmask_b32_e64 v13, 0, 1, vcc_lo
.LBB270_57:
	s_or_b32 exec_lo, exec_lo, s2
	v_or_b32_e32 v10, 0x100, v0
	s_wait_dscnt 0x0
	v_mov_b64_e32 v[4:5], 0
	v_mov_b64_e32 v[6:7], 0
	v_dual_mov_b32 v1, 0 :: v_dual_mov_b32 v12, 0
	v_cmp_gt_u32_e64 s2, s20, v10
	s_and_saveexec_b32 s21, s2
	s_cbranch_execz .LBB270_59
; %bb.58:
	s_clause 0x1
	global_load_b32 v12, v0, s[6:7] offset:1024 scale_offset
	global_load_b32 v14, v0, s[8:9] offset:1024 scale_offset
	v_mov_b32_e32 v11, 0
	s_delay_alu instid0(VALU_DEP_1)
	v_add_nc_u64_e32 v[6:7], s[4:5], v[10:11]
	s_wait_loadcnt 0x0
	v_cmp_ne_u32_e32 vcc_lo, v12, v14
	v_cndmask_b32_e64 v12, 0, 1, vcc_lo
.LBB270_59:
	s_or_b32 exec_lo, exec_lo, s21
	v_or_b32_e32 v10, 0x180, v0
	s_delay_alu instid0(VALU_DEP_1)
	v_cmp_gt_u32_e32 vcc_lo, s20, v10
	s_and_saveexec_b32 s21, vcc_lo
	s_cbranch_execnz .LBB270_119
; %bb.60:
	s_or_b32 exec_lo, exec_lo, s21
	s_and_saveexec_b32 s5, s3
	s_cbranch_execnz .LBB270_120
.LBB270_61:
	s_or_b32 exec_lo, exec_lo, s5
	s_and_saveexec_b32 s4, s2
	s_cbranch_execnz .LBB270_125
.LBB270_62:
	s_or_b32 exec_lo, exec_lo, s4
	s_and_saveexec_b32 s3, vcc_lo
	s_cbranch_execnz .LBB270_130
	s_branch .LBB270_135
.LBB270_63:
	s_clause 0x1
	global_load_b32 v1, v0, s[8:9] offset:3584 scale_offset
	global_load_b32 v27, v0, s[22:23] offset:3584 scale_offset
	v_mov_b32_e32 v19, 0
	s_delay_alu instid0(VALU_DEP_1) | instskip(SKIP_2) | instid1(VALU_DEP_1)
	v_add_nc_u64_e32 v[4:5], s[20:21], v[18:19]
	s_wait_loadcnt 0x0
	v_cmp_ne_u32_e64 s8, v1, v27
	v_cndmask_b32_e64 v1, 0, 1, s8
	s_or_b32 exec_lo, exec_lo, s27
	s_and_saveexec_b32 s9, s7
	s_cbranch_execz .LBB270_46
.LBB270_64:
	v_and_b32_e32 v18, 1, v20
	v_and_b32_e32 v19, 1, v26
                                        ; implicit-def: $vgpr20
	s_delay_alu instid0(VALU_DEP_2) | instskip(NEXT) | instid1(VALU_DEP_2)
	v_cmp_eq_u32_e64 s7, 1, v18
	v_cmp_eq_u32_e64 s8, 1, v19
	s_and_b32 s8, s7, s8
	s_delay_alu instid0(SALU_CYCLE_1) | instskip(NEXT) | instid1(SALU_CYCLE_1)
	s_xor_b32 s8, s8, -1
	s_and_saveexec_b32 s20, s8
	s_delay_alu instid0(SALU_CYCLE_1)
	s_xor_b32 s8, exec_lo, s20
; %bb.65:
	v_and_b32_e32 v18, 0xffff, v26
	v_dual_cndmask_b32 v3, v17, v3, s7 :: v_dual_cndmask_b32 v2, v16, v2, s7
                                        ; implicit-def: $vgpr16_vgpr17
	s_delay_alu instid0(VALU_DEP_2)
	v_cndmask_b32_e64 v20, v18, 1, s7
; %bb.66:
	s_and_not1_saveexec_b32 s7, s8
	s_cbranch_execz .LBB270_68
; %bb.67:
	s_delay_alu instid0(VALU_DEP_2)
	v_min_i64 v[2:3], v[16:17], v[2:3]
	v_mov_b32_e32 v20, 1
.LBB270_68:
	s_or_b32 exec_lo, exec_lo, s7
	s_delay_alu instid0(SALU_CYCLE_1)
	s_or_b32 exec_lo, exec_lo, s9
	s_and_saveexec_b32 s8, s6
	s_cbranch_execz .LBB270_47
.LBB270_69:
	v_and_b32_e32 v16, 1, v20
	v_and_b32_e32 v17, 1, v25
                                        ; implicit-def: $vgpr20
	s_delay_alu instid0(VALU_DEP_2) | instskip(NEXT) | instid1(VALU_DEP_2)
	v_cmp_eq_u32_e64 s6, 1, v16
	v_cmp_eq_u32_e64 s7, 1, v17
	s_and_b32 s7, s6, s7
	s_delay_alu instid0(SALU_CYCLE_1) | instskip(NEXT) | instid1(SALU_CYCLE_1)
	s_xor_b32 s7, s7, -1
	s_and_saveexec_b32 s9, s7
	s_delay_alu instid0(SALU_CYCLE_1)
	s_xor_b32 s7, exec_lo, s9
; %bb.70:
	v_and_b32_e32 v16, 0xffff, v25
	v_dual_cndmask_b32 v3, v15, v3, s6 :: v_dual_cndmask_b32 v2, v14, v2, s6
                                        ; implicit-def: $vgpr14_vgpr15
	s_delay_alu instid0(VALU_DEP_2)
	v_cndmask_b32_e64 v20, v16, 1, s6
; %bb.71:
	s_and_not1_saveexec_b32 s6, s7
	s_cbranch_execz .LBB270_73
; %bb.72:
	s_delay_alu instid0(VALU_DEP_2)
	v_min_i64 v[2:3], v[14:15], v[2:3]
	v_mov_b32_e32 v20, 1
.LBB270_73:
	s_or_b32 exec_lo, exec_lo, s6
	s_delay_alu instid0(SALU_CYCLE_1)
	s_or_b32 exec_lo, exec_lo, s8
	s_and_saveexec_b32 s7, s5
	s_cbranch_execz .LBB270_48
.LBB270_74:
	v_and_b32_e32 v14, 1, v20
	v_and_b32_e32 v15, 1, v24
                                        ; implicit-def: $vgpr20
	s_delay_alu instid0(VALU_DEP_2) | instskip(NEXT) | instid1(VALU_DEP_2)
	v_cmp_eq_u32_e64 s5, 1, v14
	v_cmp_eq_u32_e64 s6, 1, v15
	s_and_b32 s6, s5, s6
	s_delay_alu instid0(SALU_CYCLE_1) | instskip(NEXT) | instid1(SALU_CYCLE_1)
	s_xor_b32 s6, s6, -1
	s_and_saveexec_b32 s8, s6
	s_delay_alu instid0(SALU_CYCLE_1)
	s_xor_b32 s6, exec_lo, s8
; %bb.75:
	v_and_b32_e32 v14, 0xffff, v24
	v_dual_cndmask_b32 v3, v13, v3, s5 :: v_dual_cndmask_b32 v2, v12, v2, s5
                                        ; implicit-def: $vgpr12_vgpr13
	s_delay_alu instid0(VALU_DEP_2)
	v_cndmask_b32_e64 v20, v14, 1, s5
; %bb.76:
	s_and_not1_saveexec_b32 s5, s6
	s_cbranch_execz .LBB270_78
; %bb.77:
	s_delay_alu instid0(VALU_DEP_2)
	v_min_i64 v[2:3], v[12:13], v[2:3]
	v_mov_b32_e32 v20, 1
.LBB270_78:
	s_or_b32 exec_lo, exec_lo, s5
	s_delay_alu instid0(SALU_CYCLE_1)
	s_or_b32 exec_lo, exec_lo, s7
	s_and_saveexec_b32 s6, s4
	s_cbranch_execz .LBB270_49
.LBB270_79:
	v_and_b32_e32 v12, 1, v20
	v_and_b32_e32 v13, 1, v23
                                        ; implicit-def: $vgpr20
	s_delay_alu instid0(VALU_DEP_2) | instskip(NEXT) | instid1(VALU_DEP_2)
	v_cmp_eq_u32_e64 s4, 1, v12
	v_cmp_eq_u32_e64 s5, 1, v13
	s_and_b32 s5, s4, s5
	s_delay_alu instid0(SALU_CYCLE_1) | instskip(NEXT) | instid1(SALU_CYCLE_1)
	s_xor_b32 s5, s5, -1
	s_and_saveexec_b32 s7, s5
	s_delay_alu instid0(SALU_CYCLE_1)
	s_xor_b32 s5, exec_lo, s7
; %bb.80:
	v_and_b32_e32 v12, 0xffff, v23
	v_dual_cndmask_b32 v3, v11, v3, s4 :: v_dual_cndmask_b32 v2, v10, v2, s4
                                        ; implicit-def: $vgpr10_vgpr11
	s_delay_alu instid0(VALU_DEP_2)
	v_cndmask_b32_e64 v20, v12, 1, s4
; %bb.81:
	s_and_not1_saveexec_b32 s4, s5
	s_cbranch_execz .LBB270_83
; %bb.82:
	s_delay_alu instid0(VALU_DEP_2)
	v_min_i64 v[2:3], v[10:11], v[2:3]
	v_mov_b32_e32 v20, 1
.LBB270_83:
	s_or_b32 exec_lo, exec_lo, s4
	s_delay_alu instid0(SALU_CYCLE_1)
	s_or_b32 exec_lo, exec_lo, s6
	s_and_saveexec_b32 s5, s3
	s_cbranch_execz .LBB270_50
.LBB270_84:
	v_and_b32_e32 v10, 1, v20
	v_and_b32_e32 v11, 1, v22
                                        ; implicit-def: $vgpr20
	s_delay_alu instid0(VALU_DEP_2) | instskip(NEXT) | instid1(VALU_DEP_2)
	v_cmp_eq_u32_e64 s3, 1, v10
	v_cmp_eq_u32_e64 s4, 1, v11
	s_and_b32 s4, s3, s4
	s_delay_alu instid0(SALU_CYCLE_1) | instskip(NEXT) | instid1(SALU_CYCLE_1)
	s_xor_b32 s4, s4, -1
	s_and_saveexec_b32 s6, s4
	s_delay_alu instid0(SALU_CYCLE_1)
	s_xor_b32 s4, exec_lo, s6
; %bb.85:
	v_and_b32_e32 v10, 0xffff, v22
	v_dual_cndmask_b32 v3, v9, v3, s3 :: v_dual_cndmask_b32 v2, v8, v2, s3
                                        ; implicit-def: $vgpr8_vgpr9
	s_delay_alu instid0(VALU_DEP_2)
	v_cndmask_b32_e64 v20, v10, 1, s3
; %bb.86:
	s_and_not1_saveexec_b32 s3, s4
	s_cbranch_execz .LBB270_88
; %bb.87:
	s_delay_alu instid0(VALU_DEP_2)
	v_min_i64 v[2:3], v[8:9], v[2:3]
	v_mov_b32_e32 v20, 1
.LBB270_88:
	s_or_b32 exec_lo, exec_lo, s3
	s_delay_alu instid0(SALU_CYCLE_1)
	s_or_b32 exec_lo, exec_lo, s5
	s_and_saveexec_b32 s4, s2
	s_cbranch_execz .LBB270_51
.LBB270_89:
	v_and_b32_e32 v8, 1, v20
	v_and_b32_e32 v9, 1, v21
                                        ; implicit-def: $vgpr20
	s_delay_alu instid0(VALU_DEP_2) | instskip(NEXT) | instid1(VALU_DEP_2)
	v_cmp_eq_u32_e64 s2, 1, v8
	v_cmp_eq_u32_e64 s3, 1, v9
	s_and_b32 s3, s2, s3
	s_delay_alu instid0(SALU_CYCLE_1) | instskip(NEXT) | instid1(SALU_CYCLE_1)
	s_xor_b32 s3, s3, -1
	s_and_saveexec_b32 s5, s3
	s_delay_alu instid0(SALU_CYCLE_1)
	s_xor_b32 s3, exec_lo, s5
; %bb.90:
	v_and_b32_e32 v8, 0xffff, v21
	v_dual_cndmask_b32 v3, v7, v3, s2 :: v_dual_cndmask_b32 v2, v6, v2, s2
                                        ; implicit-def: $vgpr6_vgpr7
	s_delay_alu instid0(VALU_DEP_2)
	v_cndmask_b32_e64 v20, v8, 1, s2
; %bb.91:
	s_and_not1_saveexec_b32 s2, s3
	s_cbranch_execz .LBB270_93
; %bb.92:
	s_delay_alu instid0(VALU_DEP_2)
	v_min_i64 v[2:3], v[6:7], v[2:3]
	v_mov_b32_e32 v20, 1
.LBB270_93:
	s_or_b32 exec_lo, exec_lo, s2
	s_delay_alu instid0(SALU_CYCLE_1)
	s_or_b32 exec_lo, exec_lo, s4
	s_and_saveexec_b32 s3, vcc_lo
	s_cbranch_execz .LBB270_99
.LBB270_94:
	v_and_b32_e32 v6, 1, v20
	v_and_b32_e32 v7, 1, v1
                                        ; implicit-def: $vgpr20
	s_delay_alu instid0(VALU_DEP_2) | instskip(NEXT) | instid1(VALU_DEP_2)
	v_cmp_eq_u32_e32 vcc_lo, 1, v6
	v_cmp_eq_u32_e64 s2, 1, v7
	s_and_b32 s2, vcc_lo, s2
	s_delay_alu instid0(SALU_CYCLE_1) | instskip(NEXT) | instid1(SALU_CYCLE_1)
	s_xor_b32 s2, s2, -1
	s_and_saveexec_b32 s4, s2
	s_delay_alu instid0(SALU_CYCLE_1)
	s_xor_b32 s2, exec_lo, s4
; %bb.95:
	v_and_b32_e32 v1, 0xffff, v1
	v_dual_cndmask_b32 v3, v5, v3 :: v_dual_cndmask_b32 v2, v4, v2
                                        ; implicit-def: $vgpr4_vgpr5
	s_delay_alu instid0(VALU_DEP_2)
	v_cndmask_b32_e64 v20, v1, 1, vcc_lo
; %bb.96:
	s_and_not1_saveexec_b32 s2, s2
	s_cbranch_execz .LBB270_98
; %bb.97:
	s_delay_alu instid0(VALU_DEP_2)
	v_min_i64 v[2:3], v[4:5], v[2:3]
	v_mov_b32_e32 v20, 1
.LBB270_98:
	s_or_b32 exec_lo, exec_lo, s2
.LBB270_99:
	s_delay_alu instid0(SALU_CYCLE_1) | instskip(SKIP_4) | instid1(VALU_DEP_2)
	s_or_b32 exec_lo, exec_lo, s3
	v_mbcnt_lo_u32_b32 v1, -1, 0
	v_and_b32_e32 v6, 0x60, v0
	s_min_u32 s3, s26, 0x80
	s_mov_b32 s2, exec_lo
	v_cmp_ne_u32_e32 vcc_lo, 31, v1
	s_delay_alu instid0(VALU_DEP_2) | instskip(SKIP_2) | instid1(VALU_DEP_1)
	v_sub_nc_u32_e64 v6, s3, v6 clamp
	v_add_nc_u32_e32 v8, 1, v1
	v_add_co_ci_u32_e64 v4, null, 0, v1, vcc_lo
	v_lshlrev_b32_e32 v5, 2, v4
	ds_bpermute_b32 v7, v5, v20
	ds_bpermute_b32 v4, v5, v2
	;; [unrolled: 1-line block ×3, first 2 shown]
	v_cmpx_lt_u32_e64 v8, v6
	s_xor_b32 s4, exec_lo, s2
	s_cbranch_execz .LBB270_101
; %bb.100:
	s_wait_dscnt 0x0
	v_min_i64 v[8:9], v[4:5], v[2:3]
	v_and_b32_e32 v10, 1, v20
	s_delay_alu instid0(VALU_DEP_1) | instskip(SKIP_3) | instid1(VALU_DEP_3)
	v_cmp_eq_u32_e32 vcc_lo, 1, v10
	v_and_b32_e32 v10, v7, v20
	v_and_b32_e32 v7, 0xff, v7
	v_dual_cndmask_b32 v2, v4, v2 :: v_dual_cndmask_b32 v3, v5, v3
	v_cmp_eq_u32_e64 s2, 0, v10
	s_delay_alu instid0(VALU_DEP_3) | instskip(NEXT) | instid1(VALU_DEP_1)
	v_cndmask_b32_e64 v4, v7, 1, vcc_lo
	v_dual_cndmask_b32 v20, 1, v4, s2 :: v_dual_cndmask_b32 v3, v9, v3, s2
	s_delay_alu instid0(VALU_DEP_4)
	v_cndmask_b32_e64 v2, v8, v2, s2
.LBB270_101:
	s_or_b32 exec_lo, exec_lo, s4
	v_cmp_gt_u32_e32 vcc_lo, 30, v1
	v_add_nc_u32_e32 v8, 2, v1
	s_mov_b32 s4, exec_lo
	s_wait_dscnt 0x1
	v_cndmask_b32_e64 v4, 0, 2, vcc_lo
	s_wait_dscnt 0x0
	s_delay_alu instid0(VALU_DEP_1)
	v_add_lshl_u32 v5, v4, v1, 2
	ds_bpermute_b32 v7, v5, v20
	ds_bpermute_b32 v4, v5, v2
	ds_bpermute_b32 v5, v5, v3
	v_cmpx_lt_u32_e64 v8, v6
	s_cbranch_execz .LBB270_103
; %bb.102:
	s_wait_dscnt 0x0
	v_min_i64 v[8:9], v[4:5], v[2:3]
	v_and_b32_e32 v10, 1, v20
	s_delay_alu instid0(VALU_DEP_1) | instskip(SKIP_3) | instid1(VALU_DEP_3)
	v_cmp_eq_u32_e32 vcc_lo, 1, v10
	v_bitop3_b32 v10, v20, 1, v7 bitop3:0x80
	v_and_b32_e32 v7, 0xff, v7
	v_cndmask_b32_e32 v2, v4, v2, vcc_lo
	v_cmp_eq_u32_e64 s2, 0, v10
	v_cndmask_b32_e32 v3, v5, v3, vcc_lo
	s_delay_alu instid0(VALU_DEP_4) | instskip(NEXT) | instid1(VALU_DEP_1)
	v_cndmask_b32_e64 v4, v7, 1, vcc_lo
	v_dual_cndmask_b32 v20, 1, v4, s2 :: v_dual_cndmask_b32 v2, v8, v2, s2
	s_delay_alu instid0(VALU_DEP_3)
	v_cndmask_b32_e64 v3, v9, v3, s2
.LBB270_103:
	s_or_b32 exec_lo, exec_lo, s4
	v_cmp_gt_u32_e32 vcc_lo, 28, v1
	v_add_nc_u32_e32 v8, 4, v1
	s_mov_b32 s4, exec_lo
	s_wait_dscnt 0x1
	v_cndmask_b32_e64 v4, 0, 4, vcc_lo
	s_wait_dscnt 0x0
	s_delay_alu instid0(VALU_DEP_1)
	v_add_lshl_u32 v5, v4, v1, 2
	ds_bpermute_b32 v7, v5, v20
	ds_bpermute_b32 v4, v5, v2
	ds_bpermute_b32 v5, v5, v3
	v_cmpx_lt_u32_e64 v8, v6
	s_cbranch_execz .LBB270_105
; %bb.104:
	s_wait_dscnt 0x0
	v_min_i64 v[8:9], v[4:5], v[2:3]
	v_and_b32_e32 v10, 1, v20
	s_delay_alu instid0(VALU_DEP_1) | instskip(SKIP_3) | instid1(VALU_DEP_3)
	v_cmp_eq_u32_e32 vcc_lo, 1, v10
	v_bitop3_b32 v10, v20, 1, v7 bitop3:0x80
	v_and_b32_e32 v7, 0xff, v7
	v_cndmask_b32_e32 v2, v4, v2, vcc_lo
	v_cmp_eq_u32_e64 s2, 0, v10
	v_cndmask_b32_e32 v3, v5, v3, vcc_lo
	s_delay_alu instid0(VALU_DEP_4) | instskip(NEXT) | instid1(VALU_DEP_1)
	v_cndmask_b32_e64 v4, v7, 1, vcc_lo
	v_dual_cndmask_b32 v20, 1, v4, s2 :: v_dual_cndmask_b32 v2, v8, v2, s2
	s_delay_alu instid0(VALU_DEP_3)
	v_cndmask_b32_e64 v3, v9, v3, s2
.LBB270_105:
	;; [unrolled: 31-line block ×3, first 2 shown]
	s_or_b32 exec_lo, exec_lo, s4
	s_wait_dscnt 0x2
	v_dual_lshlrev_b32 v7, 2, v1 :: v_dual_add_nc_u32 v9, 16, v1
	s_wait_dscnt 0x0
	s_delay_alu instid0(VALU_DEP_1) | instskip(NEXT) | instid1(VALU_DEP_2)
	v_or_b32_e32 v5, 64, v7
	v_cmp_lt_u32_e32 vcc_lo, v9, v6
	v_mov_b32_e32 v6, v20
	ds_bpermute_b32 v8, v5, v20
	ds_bpermute_b32 v4, v5, v2
	;; [unrolled: 1-line block ×3, first 2 shown]
	s_and_saveexec_b32 s4, vcc_lo
	s_cbranch_execz .LBB270_109
; %bb.108:
	s_wait_dscnt 0x0
	v_min_i64 v[10:11], v[4:5], v[2:3]
	v_and_b32_e32 v6, 1, v20
	v_bitop3_b32 v9, v20, 1, v8 bitop3:0x80
	s_delay_alu instid0(VALU_DEP_2) | instskip(NEXT) | instid1(VALU_DEP_2)
	v_cmp_eq_u32_e32 vcc_lo, 1, v6
	v_cmp_eq_u32_e64 s2, 0, v9
	v_cndmask_b32_e64 v6, v8, 1, vcc_lo
	v_dual_cndmask_b32 v3, v5, v3 :: v_dual_cndmask_b32 v2, v4, v2
	s_delay_alu instid0(VALU_DEP_2) | instskip(NEXT) | instid1(VALU_DEP_1)
	v_cndmask_b32_e64 v6, 1, v6, s2
	v_and_b32_e32 v20, 0xff, v6
	s_delay_alu instid0(VALU_DEP_3)
	v_dual_cndmask_b32 v3, v11, v3, s2 :: v_dual_cndmask_b32 v2, v10, v2, s2
.LBB270_109:
	s_or_b32 exec_lo, exec_lo, s4
	s_delay_alu instid0(SALU_CYCLE_1)
	s_mov_b32 s2, exec_lo
	v_cmpx_eq_u32_e32 0, v1
	s_cbranch_execz .LBB270_111
; %bb.110:
	s_wait_dscnt 0x1
	v_lshrrev_b32_e32 v4, 1, v0
	s_delay_alu instid0(VALU_DEP_1)
	v_and_b32_e32 v4, 48, v4
	ds_store_b8 v4, v6 offset:256
	ds_store_b64 v4, v[2:3] offset:264
.LBB270_111:
	s_or_b32 exec_lo, exec_lo, s2
	s_delay_alu instid0(SALU_CYCLE_1)
	s_mov_b32 s4, exec_lo
	s_wait_dscnt 0x0
	s_barrier_signal -1
	s_barrier_wait -1
	v_cmpx_gt_u32_e32 4, v0
	s_cbranch_execz .LBB270_117
; %bb.112:
	v_dual_lshlrev_b32 v2, 4, v1 :: v_dual_bitop2_b32 v6, 3, v1 bitop3:0x40
	s_add_co_i32 s3, s3, 31
	s_mov_b32 s5, exec_lo
	s_lshr_b32 s3, s3, 5
	ds_load_u8 v8, v2 offset:256
	ds_load_b64 v[2:3], v2 offset:264
	v_cmp_ne_u32_e32 vcc_lo, 3, v6
	v_add_nc_u32_e32 v9, 1, v6
	v_add_co_ci_u32_e64 v1, null, 0, v1, vcc_lo
	s_delay_alu instid0(VALU_DEP_1)
	v_lshlrev_b32_e32 v5, 2, v1
	s_wait_dscnt 0x1
	v_and_b32_e32 v20, 0xff, v8
	s_wait_dscnt 0x0
	ds_bpermute_b32 v4, v5, v2
	ds_bpermute_b32 v1, v5, v20
	;; [unrolled: 1-line block ×3, first 2 shown]
	v_cmpx_gt_u32_e64 s3, v9
	s_cbranch_execz .LBB270_114
; %bb.113:
	s_wait_dscnt 0x0
	v_min_i64 v[10:11], v[4:5], v[2:3]
	v_and_b32_e32 v8, 1, v8
	s_delay_alu instid0(VALU_DEP_1) | instskip(SKIP_3) | instid1(VALU_DEP_3)
	v_cmp_eq_u32_e32 vcc_lo, 1, v8
	v_bitop3_b32 v8, v20, 1, v1 bitop3:0x80
	v_and_b32_e32 v1, 0xff, v1
	v_cndmask_b32_e32 v2, v4, v2, vcc_lo
	v_cmp_eq_u32_e64 s2, 0, v8
	v_cndmask_b32_e32 v3, v5, v3, vcc_lo
	s_delay_alu instid0(VALU_DEP_4) | instskip(NEXT) | instid1(VALU_DEP_1)
	v_cndmask_b32_e64 v1, v1, 1, vcc_lo
	v_dual_cndmask_b32 v20, 1, v1, s2 :: v_dual_cndmask_b32 v2, v10, v2, s2
	s_delay_alu instid0(VALU_DEP_3)
	v_cndmask_b32_e64 v3, v11, v3, s2
.LBB270_114:
	s_or_b32 exec_lo, exec_lo, s5
	s_wait_dscnt 0x0
	v_dual_add_nc_u32 v6, 2, v6 :: v_dual_bitop2_b32 v5, 8, v7 bitop3:0x54
	ds_bpermute_b32 v1, v5, v20
	ds_bpermute_b32 v4, v5, v2
	ds_bpermute_b32 v5, v5, v3
	v_cmp_gt_u32_e32 vcc_lo, s3, v6
	s_and_saveexec_b32 s3, vcc_lo
	s_cbranch_execz .LBB270_116
; %bb.115:
	s_wait_dscnt 0x0
	v_min_i64 v[6:7], v[4:5], v[2:3]
	v_and_b32_e32 v8, 1, v20
	s_delay_alu instid0(VALU_DEP_1) | instskip(SKIP_2) | instid1(VALU_DEP_2)
	v_cmp_eq_u32_e32 vcc_lo, 1, v8
	v_bitop3_b32 v8, v20, 1, v1 bitop3:0x80
	v_cndmask_b32_e32 v2, v4, v2, vcc_lo
	v_cmp_eq_u32_e64 s2, 0, v8
	v_cndmask_b32_e32 v3, v5, v3, vcc_lo
	v_cndmask_b32_e64 v1, v1, 1, vcc_lo
	s_delay_alu instid0(VALU_DEP_1) | instskip(NEXT) | instid1(VALU_DEP_3)
	v_dual_cndmask_b32 v20, 1, v1, s2 :: v_dual_cndmask_b32 v2, v6, v2, s2
	v_cndmask_b32_e64 v3, v7, v3, s2
.LBB270_116:
	s_or_b32 exec_lo, exec_lo, s3
.LBB270_117:
	s_delay_alu instid0(SALU_CYCLE_1)
	s_or_b32 exec_lo, exec_lo, s4
	v_cmp_eq_u32_e64 s2, 0, v0
	s_and_b32 vcc_lo, exec_lo, s25
	s_cbranch_vccnz .LBB270_17
.LBB270_118:
	s_branch .LBB270_211
.LBB270_119:
	s_clause 0x1
	global_load_b32 v1, v0, s[6:7] offset:1536 scale_offset
	global_load_b32 v14, v0, s[8:9] offset:1536 scale_offset
	v_mov_b32_e32 v11, 0
	s_delay_alu instid0(VALU_DEP_1) | instskip(SKIP_2) | instid1(VALU_DEP_1)
	v_add_nc_u64_e32 v[4:5], s[4:5], v[10:11]
	s_wait_loadcnt 0x0
	v_cmp_ne_u32_e64 s4, v1, v14
	v_cndmask_b32_e64 v1, 0, 1, s4
	s_or_b32 exec_lo, exec_lo, s21
	s_and_saveexec_b32 s5, s3
	s_cbranch_execz .LBB270_61
.LBB270_120:
	v_and_b32_e32 v10, 1, v20
	v_and_b32_e32 v11, 1, v13
                                        ; implicit-def: $vgpr20
	s_delay_alu instid0(VALU_DEP_2) | instskip(NEXT) | instid1(VALU_DEP_2)
	v_cmp_eq_u32_e64 s3, 1, v10
	v_cmp_eq_u32_e64 s4, 1, v11
	s_and_b32 s4, s3, s4
	s_delay_alu instid0(SALU_CYCLE_1) | instskip(NEXT) | instid1(SALU_CYCLE_1)
	s_xor_b32 s4, s4, -1
	s_and_saveexec_b32 s6, s4
	s_delay_alu instid0(SALU_CYCLE_1)
	s_xor_b32 s4, exec_lo, s6
; %bb.121:
	v_and_b32_e32 v10, 0xffff, v13
	v_dual_cndmask_b32 v3, v9, v3, s3 :: v_dual_cndmask_b32 v2, v8, v2, s3
                                        ; implicit-def: $vgpr8_vgpr9
	s_delay_alu instid0(VALU_DEP_2)
	v_cndmask_b32_e64 v20, v10, 1, s3
; %bb.122:
	s_and_not1_saveexec_b32 s3, s4
	s_cbranch_execz .LBB270_124
; %bb.123:
	s_delay_alu instid0(VALU_DEP_2)
	v_min_i64 v[2:3], v[8:9], v[2:3]
	v_mov_b32_e32 v20, 1
.LBB270_124:
	s_or_b32 exec_lo, exec_lo, s3
	s_delay_alu instid0(SALU_CYCLE_1)
	s_or_b32 exec_lo, exec_lo, s5
	s_and_saveexec_b32 s4, s2
	s_cbranch_execz .LBB270_62
.LBB270_125:
	v_and_b32_e32 v8, 1, v20
	v_and_b32_e32 v9, 1, v12
                                        ; implicit-def: $vgpr20
	s_delay_alu instid0(VALU_DEP_2) | instskip(NEXT) | instid1(VALU_DEP_2)
	v_cmp_eq_u32_e64 s2, 1, v8
	v_cmp_eq_u32_e64 s3, 1, v9
	s_and_b32 s3, s2, s3
	s_delay_alu instid0(SALU_CYCLE_1) | instskip(NEXT) | instid1(SALU_CYCLE_1)
	s_xor_b32 s3, s3, -1
	s_and_saveexec_b32 s5, s3
	s_delay_alu instid0(SALU_CYCLE_1)
	s_xor_b32 s3, exec_lo, s5
; %bb.126:
	v_and_b32_e32 v8, 0xffff, v12
	v_dual_cndmask_b32 v3, v7, v3, s2 :: v_dual_cndmask_b32 v2, v6, v2, s2
                                        ; implicit-def: $vgpr6_vgpr7
	s_delay_alu instid0(VALU_DEP_2)
	v_cndmask_b32_e64 v20, v8, 1, s2
; %bb.127:
	s_and_not1_saveexec_b32 s2, s3
	s_cbranch_execz .LBB270_129
; %bb.128:
	s_delay_alu instid0(VALU_DEP_2)
	v_min_i64 v[2:3], v[6:7], v[2:3]
	v_mov_b32_e32 v20, 1
.LBB270_129:
	s_or_b32 exec_lo, exec_lo, s2
	s_delay_alu instid0(SALU_CYCLE_1)
	s_or_b32 exec_lo, exec_lo, s4
	s_and_saveexec_b32 s3, vcc_lo
	s_cbranch_execz .LBB270_135
.LBB270_130:
	v_and_b32_e32 v6, 1, v20
	v_and_b32_e32 v7, 1, v1
                                        ; implicit-def: $vgpr20
	s_delay_alu instid0(VALU_DEP_2) | instskip(NEXT) | instid1(VALU_DEP_2)
	v_cmp_eq_u32_e32 vcc_lo, 1, v6
	v_cmp_eq_u32_e64 s2, 1, v7
	s_and_b32 s2, vcc_lo, s2
	s_delay_alu instid0(SALU_CYCLE_1) | instskip(NEXT) | instid1(SALU_CYCLE_1)
	s_xor_b32 s2, s2, -1
	s_and_saveexec_b32 s4, s2
	s_delay_alu instid0(SALU_CYCLE_1)
	s_xor_b32 s2, exec_lo, s4
; %bb.131:
	v_and_b32_e32 v1, 0xffff, v1
	v_dual_cndmask_b32 v3, v5, v3 :: v_dual_cndmask_b32 v2, v4, v2
                                        ; implicit-def: $vgpr4_vgpr5
	s_delay_alu instid0(VALU_DEP_2)
	v_cndmask_b32_e64 v20, v1, 1, vcc_lo
; %bb.132:
	s_and_not1_saveexec_b32 s2, s2
	s_cbranch_execz .LBB270_134
; %bb.133:
	s_delay_alu instid0(VALU_DEP_2)
	v_min_i64 v[2:3], v[4:5], v[2:3]
	v_mov_b32_e32 v20, 1
.LBB270_134:
	s_or_b32 exec_lo, exec_lo, s2
.LBB270_135:
	s_delay_alu instid0(SALU_CYCLE_1) | instskip(SKIP_4) | instid1(VALU_DEP_2)
	s_or_b32 exec_lo, exec_lo, s3
	v_mbcnt_lo_u32_b32 v1, -1, 0
	v_and_b32_e32 v6, 0x60, v0
	s_min_u32 s3, s20, 0x80
	s_mov_b32 s2, exec_lo
	v_cmp_ne_u32_e32 vcc_lo, 31, v1
	s_delay_alu instid0(VALU_DEP_2) | instskip(SKIP_2) | instid1(VALU_DEP_1)
	v_sub_nc_u32_e64 v6, s3, v6 clamp
	v_add_nc_u32_e32 v8, 1, v1
	v_add_co_ci_u32_e64 v4, null, 0, v1, vcc_lo
	v_lshlrev_b32_e32 v5, 2, v4
	ds_bpermute_b32 v7, v5, v20
	ds_bpermute_b32 v4, v5, v2
	;; [unrolled: 1-line block ×3, first 2 shown]
	v_cmpx_lt_u32_e64 v8, v6
	s_xor_b32 s4, exec_lo, s2
	s_cbranch_execz .LBB270_137
; %bb.136:
	s_wait_dscnt 0x0
	v_min_i64 v[8:9], v[4:5], v[2:3]
	v_and_b32_e32 v10, 1, v20
	s_delay_alu instid0(VALU_DEP_1) | instskip(SKIP_3) | instid1(VALU_DEP_3)
	v_cmp_eq_u32_e32 vcc_lo, 1, v10
	v_and_b32_e32 v10, v7, v20
	v_and_b32_e32 v7, 0xff, v7
	v_dual_cndmask_b32 v2, v4, v2 :: v_dual_cndmask_b32 v3, v5, v3
	v_cmp_eq_u32_e64 s2, 0, v10
	s_delay_alu instid0(VALU_DEP_3) | instskip(NEXT) | instid1(VALU_DEP_1)
	v_cndmask_b32_e64 v4, v7, 1, vcc_lo
	v_dual_cndmask_b32 v20, 1, v4, s2 :: v_dual_cndmask_b32 v3, v9, v3, s2
	s_delay_alu instid0(VALU_DEP_4)
	v_cndmask_b32_e64 v2, v8, v2, s2
.LBB270_137:
	s_or_b32 exec_lo, exec_lo, s4
	v_cmp_gt_u32_e32 vcc_lo, 30, v1
	v_add_nc_u32_e32 v8, 2, v1
	s_mov_b32 s4, exec_lo
	s_wait_dscnt 0x1
	v_cndmask_b32_e64 v4, 0, 2, vcc_lo
	s_wait_dscnt 0x0
	s_delay_alu instid0(VALU_DEP_1)
	v_add_lshl_u32 v5, v4, v1, 2
	ds_bpermute_b32 v7, v5, v20
	ds_bpermute_b32 v4, v5, v2
	ds_bpermute_b32 v5, v5, v3
	v_cmpx_lt_u32_e64 v8, v6
	s_cbranch_execz .LBB270_139
; %bb.138:
	s_wait_dscnt 0x0
	v_min_i64 v[8:9], v[4:5], v[2:3]
	v_and_b32_e32 v10, 1, v20
	s_delay_alu instid0(VALU_DEP_1) | instskip(SKIP_3) | instid1(VALU_DEP_3)
	v_cmp_eq_u32_e32 vcc_lo, 1, v10
	v_bitop3_b32 v10, v20, 1, v7 bitop3:0x80
	v_and_b32_e32 v7, 0xff, v7
	v_cndmask_b32_e32 v2, v4, v2, vcc_lo
	v_cmp_eq_u32_e64 s2, 0, v10
	v_cndmask_b32_e32 v3, v5, v3, vcc_lo
	s_delay_alu instid0(VALU_DEP_4) | instskip(NEXT) | instid1(VALU_DEP_1)
	v_cndmask_b32_e64 v4, v7, 1, vcc_lo
	v_dual_cndmask_b32 v20, 1, v4, s2 :: v_dual_cndmask_b32 v2, v8, v2, s2
	s_delay_alu instid0(VALU_DEP_3)
	v_cndmask_b32_e64 v3, v9, v3, s2
.LBB270_139:
	s_or_b32 exec_lo, exec_lo, s4
	v_cmp_gt_u32_e32 vcc_lo, 28, v1
	v_add_nc_u32_e32 v8, 4, v1
	s_mov_b32 s4, exec_lo
	s_wait_dscnt 0x1
	v_cndmask_b32_e64 v4, 0, 4, vcc_lo
	s_wait_dscnt 0x0
	s_delay_alu instid0(VALU_DEP_1)
	v_add_lshl_u32 v5, v4, v1, 2
	ds_bpermute_b32 v7, v5, v20
	ds_bpermute_b32 v4, v5, v2
	ds_bpermute_b32 v5, v5, v3
	v_cmpx_lt_u32_e64 v8, v6
	s_cbranch_execz .LBB270_141
; %bb.140:
	s_wait_dscnt 0x0
	v_min_i64 v[8:9], v[4:5], v[2:3]
	v_and_b32_e32 v10, 1, v20
	s_delay_alu instid0(VALU_DEP_1) | instskip(SKIP_3) | instid1(VALU_DEP_3)
	v_cmp_eq_u32_e32 vcc_lo, 1, v10
	v_bitop3_b32 v10, v20, 1, v7 bitop3:0x80
	v_and_b32_e32 v7, 0xff, v7
	v_cndmask_b32_e32 v2, v4, v2, vcc_lo
	v_cmp_eq_u32_e64 s2, 0, v10
	v_cndmask_b32_e32 v3, v5, v3, vcc_lo
	s_delay_alu instid0(VALU_DEP_4) | instskip(NEXT) | instid1(VALU_DEP_1)
	v_cndmask_b32_e64 v4, v7, 1, vcc_lo
	v_dual_cndmask_b32 v20, 1, v4, s2 :: v_dual_cndmask_b32 v2, v8, v2, s2
	s_delay_alu instid0(VALU_DEP_3)
	v_cndmask_b32_e64 v3, v9, v3, s2
.LBB270_141:
	;; [unrolled: 31-line block ×3, first 2 shown]
	s_or_b32 exec_lo, exec_lo, s4
	s_wait_dscnt 0x2
	v_dual_lshlrev_b32 v7, 2, v1 :: v_dual_add_nc_u32 v9, 16, v1
	s_wait_dscnt 0x0
	s_delay_alu instid0(VALU_DEP_1) | instskip(NEXT) | instid1(VALU_DEP_2)
	v_or_b32_e32 v5, 64, v7
	v_cmp_lt_u32_e32 vcc_lo, v9, v6
	v_mov_b32_e32 v6, v20
	ds_bpermute_b32 v8, v5, v20
	ds_bpermute_b32 v4, v5, v2
	;; [unrolled: 1-line block ×3, first 2 shown]
	s_and_saveexec_b32 s4, vcc_lo
	s_cbranch_execz .LBB270_145
; %bb.144:
	s_wait_dscnt 0x0
	v_min_i64 v[10:11], v[4:5], v[2:3]
	v_and_b32_e32 v6, 1, v20
	v_bitop3_b32 v9, v20, 1, v8 bitop3:0x80
	s_delay_alu instid0(VALU_DEP_2) | instskip(NEXT) | instid1(VALU_DEP_2)
	v_cmp_eq_u32_e32 vcc_lo, 1, v6
	v_cmp_eq_u32_e64 s2, 0, v9
	v_cndmask_b32_e64 v6, v8, 1, vcc_lo
	v_dual_cndmask_b32 v3, v5, v3 :: v_dual_cndmask_b32 v2, v4, v2
	s_delay_alu instid0(VALU_DEP_2) | instskip(NEXT) | instid1(VALU_DEP_1)
	v_cndmask_b32_e64 v6, 1, v6, s2
	v_and_b32_e32 v20, 0xff, v6
	s_delay_alu instid0(VALU_DEP_3)
	v_dual_cndmask_b32 v3, v11, v3, s2 :: v_dual_cndmask_b32 v2, v10, v2, s2
.LBB270_145:
	s_or_b32 exec_lo, exec_lo, s4
	s_delay_alu instid0(SALU_CYCLE_1)
	s_mov_b32 s2, exec_lo
	v_cmpx_eq_u32_e32 0, v1
	s_cbranch_execz .LBB270_147
; %bb.146:
	s_wait_dscnt 0x1
	v_lshrrev_b32_e32 v4, 1, v0
	s_delay_alu instid0(VALU_DEP_1)
	v_and_b32_e32 v4, 48, v4
	ds_store_b8 v4, v6 offset:256
	ds_store_b64 v4, v[2:3] offset:264
.LBB270_147:
	s_or_b32 exec_lo, exec_lo, s2
	s_delay_alu instid0(SALU_CYCLE_1)
	s_mov_b32 s4, exec_lo
	s_wait_dscnt 0x0
	s_barrier_signal -1
	s_barrier_wait -1
	v_cmpx_gt_u32_e32 4, v0
	s_cbranch_execz .LBB270_153
; %bb.148:
	v_dual_lshlrev_b32 v2, 4, v1 :: v_dual_bitop2_b32 v6, 3, v1 bitop3:0x40
	s_add_co_i32 s3, s3, 31
	s_mov_b32 s5, exec_lo
	s_lshr_b32 s3, s3, 5
	ds_load_u8 v8, v2 offset:256
	ds_load_b64 v[2:3], v2 offset:264
	v_cmp_ne_u32_e32 vcc_lo, 3, v6
	v_add_nc_u32_e32 v9, 1, v6
	v_add_co_ci_u32_e64 v1, null, 0, v1, vcc_lo
	s_delay_alu instid0(VALU_DEP_1)
	v_lshlrev_b32_e32 v5, 2, v1
	s_wait_dscnt 0x1
	v_and_b32_e32 v20, 0xff, v8
	s_wait_dscnt 0x0
	ds_bpermute_b32 v4, v5, v2
	ds_bpermute_b32 v1, v5, v20
	;; [unrolled: 1-line block ×3, first 2 shown]
	v_cmpx_gt_u32_e64 s3, v9
	s_cbranch_execz .LBB270_150
; %bb.149:
	s_wait_dscnt 0x0
	v_min_i64 v[10:11], v[4:5], v[2:3]
	v_and_b32_e32 v8, 1, v8
	s_delay_alu instid0(VALU_DEP_1) | instskip(SKIP_3) | instid1(VALU_DEP_3)
	v_cmp_eq_u32_e32 vcc_lo, 1, v8
	v_bitop3_b32 v8, v20, 1, v1 bitop3:0x80
	v_and_b32_e32 v1, 0xff, v1
	v_cndmask_b32_e32 v2, v4, v2, vcc_lo
	v_cmp_eq_u32_e64 s2, 0, v8
	v_cndmask_b32_e32 v3, v5, v3, vcc_lo
	s_delay_alu instid0(VALU_DEP_4) | instskip(NEXT) | instid1(VALU_DEP_1)
	v_cndmask_b32_e64 v1, v1, 1, vcc_lo
	v_dual_cndmask_b32 v20, 1, v1, s2 :: v_dual_cndmask_b32 v2, v10, v2, s2
	s_delay_alu instid0(VALU_DEP_3)
	v_cndmask_b32_e64 v3, v11, v3, s2
.LBB270_150:
	s_or_b32 exec_lo, exec_lo, s5
	s_wait_dscnt 0x0
	v_dual_add_nc_u32 v6, 2, v6 :: v_dual_bitop2_b32 v5, 8, v7 bitop3:0x54
	ds_bpermute_b32 v1, v5, v20
	ds_bpermute_b32 v4, v5, v2
	ds_bpermute_b32 v5, v5, v3
	v_cmp_gt_u32_e32 vcc_lo, s3, v6
	s_and_saveexec_b32 s3, vcc_lo
	s_cbranch_execz .LBB270_152
; %bb.151:
	s_wait_dscnt 0x0
	v_min_i64 v[6:7], v[4:5], v[2:3]
	v_and_b32_e32 v8, 1, v20
	s_delay_alu instid0(VALU_DEP_1) | instskip(SKIP_2) | instid1(VALU_DEP_2)
	v_cmp_eq_u32_e32 vcc_lo, 1, v8
	v_bitop3_b32 v8, v20, 1, v1 bitop3:0x80
	v_cndmask_b32_e32 v2, v4, v2, vcc_lo
	v_cmp_eq_u32_e64 s2, 0, v8
	v_cndmask_b32_e32 v3, v5, v3, vcc_lo
	v_cndmask_b32_e64 v1, v1, 1, vcc_lo
	s_delay_alu instid0(VALU_DEP_1) | instskip(NEXT) | instid1(VALU_DEP_3)
	v_dual_cndmask_b32 v20, 1, v1, s2 :: v_dual_cndmask_b32 v2, v6, v2, s2
	v_cndmask_b32_e64 v3, v7, v3, s2
.LBB270_152:
	s_or_b32 exec_lo, exec_lo, s3
.LBB270_153:
	s_delay_alu instid0(SALU_CYCLE_1)
	s_or_b32 exec_lo, exec_lo, s4
.LBB270_154:
	v_cmp_eq_u32_e64 s2, 0, v0
	s_branch .LBB270_211
.LBB270_155:
	s_cmp_gt_i32 s24, 1
	s_cbranch_scc0 .LBB270_167
; %bb.156:
	s_cmp_eq_u32 s24, 2
	s_cbranch_scc0 .LBB270_168
; %bb.157:
	s_bfe_u32 s2, ttmp6, 0x4000c
	s_and_b32 s3, ttmp6, 15
	s_add_co_i32 s2, s2, 1
	s_getreg_b32 s4, hwreg(HW_REG_IB_STS2, 6, 4)
	s_mul_i32 s2, ttmp9, s2
	s_mov_b32 s11, 0
	s_add_co_i32 s3, s3, s2
	s_cmp_eq_u32 s4, 0
	s_mov_b32 s21, s11
	s_cselect_b32 s10, ttmp9, s3
	s_lshr_b64 s[2:3], s[14:15], 8
	s_lshl_b32 s20, s10, 8
	s_delay_alu instid0(SALU_CYCLE_1)
	s_lshl_b64 s[6:7], s[20:21], 2
	s_cmp_lg_u64 s[2:3], s[10:11]
	s_add_nc_u64 s[4:5], s[16:17], s[6:7]
	s_add_nc_u64 s[8:9], s[18:19], s[6:7]
	;; [unrolled: 1-line block ×3, first 2 shown]
	s_cbranch_scc0 .LBB270_169
; %bb.158:
	s_clause 0x3
	global_load_b32 v6, v0, s[4:5] scale_offset
	global_load_b32 v7, v0, s[8:9] scale_offset
	global_load_b32 v8, v0, s[8:9] offset:512 scale_offset
	global_load_b32 v9, v0, s[4:5] offset:512 scale_offset
	s_wait_loadcnt 0x2
	v_cmp_ne_u32_e32 vcc_lo, v6, v7
	s_wait_dscnt 0x2
	v_mov_b32_e32 v1, 0
	s_wait_loadcnt 0x0
	v_cmp_ne_u32_e64 s2, v9, v8
	s_delay_alu instid0(VALU_DEP_2) | instskip(SKIP_1) | instid1(VALU_DEP_1)
	v_add_nc_u64_e32 v[2:3], s[6:7], v[0:1]
	s_wait_dscnt 0x0
	v_add_nc_u64_e32 v[4:5], 0x80, v[2:3]
	s_delay_alu instid0(VALU_DEP_1) | instskip(SKIP_3) | instid1(VALU_DEP_2)
	v_dual_cndmask_b32 v3, v5, v3 :: v_dual_cndmask_b32 v2, v4, v2
	s_or_b32 vcc_lo, vcc_lo, s2
	s_mov_b32 s2, exec_lo
	v_cndmask_b32_e64 v8, 0, 1, vcc_lo
	v_mov_b32_dpp v5, v3 quad_perm:[1,0,3,2] row_mask:0xf bank_mask:0xf
	s_delay_alu instid0(VALU_DEP_2) | instskip(NEXT) | instid1(VALU_DEP_1)
	v_mov_b32_dpp v9, v8 quad_perm:[1,0,3,2] row_mask:0xf bank_mask:0xf
	v_and_b32_e32 v9, 1, v9
	v_mov_b32_dpp v4, v2 quad_perm:[1,0,3,2] row_mask:0xf bank_mask:0xf
	s_delay_alu instid0(VALU_DEP_1) | instskip(NEXT) | instid1(VALU_DEP_1)
	v_min_i64 v[6:7], v[2:3], v[4:5]
	v_dual_cndmask_b32 v4, v4, v6 :: v_dual_cndmask_b32 v5, v5, v7
	s_delay_alu instid0(VALU_DEP_4) | instskip(NEXT) | instid1(VALU_DEP_2)
	v_cmp_eq_u32_e32 vcc_lo, 1, v9
	v_dual_cndmask_b32 v3, v3, v5 :: v_dual_cndmask_b32 v2, v2, v4
	v_cndmask_b32_e64 v8, v8, 1, vcc_lo
	s_delay_alu instid0(VALU_DEP_2) | instskip(NEXT) | instid1(VALU_DEP_3)
	v_mov_b32_dpp v5, v3 quad_perm:[2,3,0,1] row_mask:0xf bank_mask:0xf
	v_mov_b32_dpp v4, v2 quad_perm:[2,3,0,1] row_mask:0xf bank_mask:0xf
	s_delay_alu instid0(VALU_DEP_3) | instskip(NEXT) | instid1(VALU_DEP_2)
	v_mov_b32_dpp v10, v8 quad_perm:[2,3,0,1] row_mask:0xf bank_mask:0xf
	v_min_i64 v[6:7], v[2:3], v[4:5]
	v_and_b32_e32 v9, 1, v8
	s_delay_alu instid0(VALU_DEP_1) | instskip(NEXT) | instid1(VALU_DEP_3)
	v_cmp_eq_u32_e32 vcc_lo, 1, v9
	v_dual_cndmask_b32 v5, v5, v7, vcc_lo :: v_dual_bitop2_b32 v9, 1, v10 bitop3:0x40
	s_delay_alu instid0(VALU_DEP_4) | instskip(NEXT) | instid1(VALU_DEP_2)
	v_cndmask_b32_e32 v4, v4, v6, vcc_lo
	v_cmp_eq_u32_e32 vcc_lo, 1, v9
	s_delay_alu instid0(VALU_DEP_2) | instskip(SKIP_1) | instid1(VALU_DEP_2)
	v_dual_cndmask_b32 v3, v3, v5 :: v_dual_cndmask_b32 v2, v2, v4
	v_cndmask_b32_e64 v8, v8, 1, vcc_lo
	v_mov_b32_dpp v5, v3 row_ror:4 row_mask:0xf bank_mask:0xf
	s_delay_alu instid0(VALU_DEP_3) | instskip(NEXT) | instid1(VALU_DEP_3)
	v_mov_b32_dpp v4, v2 row_ror:4 row_mask:0xf bank_mask:0xf
	v_mov_b32_dpp v10, v8 row_ror:4 row_mask:0xf bank_mask:0xf
	s_delay_alu instid0(VALU_DEP_2) | instskip(SKIP_1) | instid1(VALU_DEP_1)
	v_min_i64 v[6:7], v[2:3], v[4:5]
	v_and_b32_e32 v9, 1, v8
	v_cmp_eq_u32_e32 vcc_lo, 1, v9
	s_delay_alu instid0(VALU_DEP_3) | instskip(NEXT) | instid1(VALU_DEP_4)
	v_dual_cndmask_b32 v5, v5, v7, vcc_lo :: v_dual_bitop2_b32 v9, 1, v10 bitop3:0x40
	v_cndmask_b32_e32 v4, v4, v6, vcc_lo
	s_delay_alu instid0(VALU_DEP_2) | instskip(NEXT) | instid1(VALU_DEP_2)
	v_cmp_eq_u32_e32 vcc_lo, 1, v9
	v_dual_cndmask_b32 v3, v3, v5 :: v_dual_cndmask_b32 v2, v2, v4
	v_cndmask_b32_e64 v8, v8, 1, vcc_lo
	s_delay_alu instid0(VALU_DEP_2) | instskip(NEXT) | instid1(VALU_DEP_3)
	v_mov_b32_dpp v5, v3 row_ror:8 row_mask:0xf bank_mask:0xf
	v_mov_b32_dpp v4, v2 row_ror:8 row_mask:0xf bank_mask:0xf
	s_delay_alu instid0(VALU_DEP_3) | instskip(NEXT) | instid1(VALU_DEP_2)
	v_mov_b32_dpp v10, v8 row_ror:8 row_mask:0xf bank_mask:0xf
	v_min_i64 v[6:7], v[2:3], v[4:5]
	v_and_b32_e32 v9, 1, v8
	s_delay_alu instid0(VALU_DEP_1) | instskip(NEXT) | instid1(VALU_DEP_3)
	v_cmp_eq_u32_e32 vcc_lo, 1, v9
	v_dual_cndmask_b32 v5, v5, v7, vcc_lo :: v_dual_bitop2_b32 v9, 1, v10 bitop3:0x40
	s_delay_alu instid0(VALU_DEP_4) | instskip(NEXT) | instid1(VALU_DEP_2)
	v_cndmask_b32_e32 v4, v4, v6, vcc_lo
	v_cmp_eq_u32_e32 vcc_lo, 1, v9
	s_delay_alu instid0(VALU_DEP_2)
	v_dual_cndmask_b32 v3, v3, v5 :: v_dual_cndmask_b32 v2, v2, v4
	v_cndmask_b32_e64 v8, v8, 1, vcc_lo
	ds_swizzle_b32 v5, v3 offset:swizzle(BROADCAST,32,15)
	ds_swizzle_b32 v4, v2 offset:swizzle(BROADCAST,32,15)
	;; [unrolled: 1-line block ×3, first 2 shown]
	s_wait_dscnt 0x1
	v_min_i64 v[6:7], v[2:3], v[4:5]
	v_and_b32_e32 v10, 1, v8
	s_delay_alu instid0(VALU_DEP_1) | instskip(SKIP_1) | instid1(VALU_DEP_3)
	v_cmp_eq_u32_e32 vcc_lo, 1, v10
	s_wait_dscnt 0x0
	v_dual_cndmask_b32 v5, v5, v7, vcc_lo :: v_dual_bitop2_b32 v9, 1, v9 bitop3:0x40
	s_delay_alu instid0(VALU_DEP_4) | instskip(NEXT) | instid1(VALU_DEP_2)
	v_cndmask_b32_e32 v4, v4, v6, vcc_lo
	v_cmp_eq_u32_e32 vcc_lo, 1, v9
	s_delay_alu instid0(VALU_DEP_2)
	v_dual_cndmask_b32 v3, v3, v5 :: v_dual_cndmask_b32 v2, v2, v4
	v_cndmask_b32_e64 v5, v8, 1, vcc_lo
	ds_bpermute_b32 v3, v1, v3 offset:124
	ds_bpermute_b32 v2, v1, v2 offset:124
	;; [unrolled: 1-line block ×3, first 2 shown]
	v_mbcnt_lo_u32_b32 v1, -1, 0
	s_delay_alu instid0(VALU_DEP_1)
	v_cmpx_eq_u32_e32 0, v1
	s_cbranch_execz .LBB270_160
; %bb.159:
	v_lshrrev_b32_e32 v4, 1, v0
	s_delay_alu instid0(VALU_DEP_1)
	v_and_b32_e32 v4, 48, v4
	s_wait_dscnt 0x0
	ds_store_b8 v4, v20 offset:64
	ds_store_b64 v4, v[2:3] offset:72
.LBB270_160:
	s_or_b32 exec_lo, exec_lo, s2
	s_delay_alu instid0(SALU_CYCLE_1)
	s_mov_b32 s2, exec_lo
	s_wait_dscnt 0x0
	s_barrier_signal -1
	s_barrier_wait -1
	v_cmpx_gt_u32_e32 32, v0
	s_cbranch_execz .LBB270_166
; %bb.161:
	v_and_b32_e32 v2, 3, v1
	s_delay_alu instid0(VALU_DEP_1) | instskip(SKIP_2) | instid1(VALU_DEP_1)
	v_cmp_ne_u32_e32 vcc_lo, 3, v2
	v_lshlrev_b32_e32 v3, 4, v2
	v_add_co_ci_u32_e64 v2, null, 0, v1, vcc_lo
	v_lshlrev_b32_e32 v2, 2, v2
	ds_load_u8 v8, v3 offset:64
	ds_load_b64 v[4:5], v3 offset:72
	s_wait_dscnt 0x1
	v_and_b32_e32 v3, 0xff, v8
	s_wait_dscnt 0x0
	ds_bpermute_b32 v6, v2, v4
	ds_bpermute_b32 v7, v2, v5
	;; [unrolled: 1-line block ×3, first 2 shown]
	s_wait_dscnt 0x0
	v_and_b32_e32 v2, v8, v9
	s_delay_alu instid0(VALU_DEP_1) | instskip(NEXT) | instid1(VALU_DEP_1)
	v_and_b32_e32 v2, 1, v2
	v_cmp_eq_u32_e32 vcc_lo, 1, v2
                                        ; implicit-def: $vgpr2_vgpr3
	s_and_saveexec_b32 s3, vcc_lo
	s_delay_alu instid0(SALU_CYCLE_1)
	s_xor_b32 s3, exec_lo, s3
; %bb.162:
	v_min_i64 v[2:3], v[6:7], v[4:5]
                                        ; implicit-def: $vgpr8
                                        ; implicit-def: $vgpr6_vgpr7
                                        ; implicit-def: $vgpr4_vgpr5
                                        ; implicit-def: $vgpr9
; %bb.163:
	s_or_saveexec_b32 s3, s3
	v_dual_mov_b32 v10, 1 :: v_dual_lshlrev_b32 v1, 2, v1
	s_xor_b32 exec_lo, exec_lo, s3
; %bb.164:
	v_and_b32_e32 v2, 1, v8
	v_and_b32_e32 v8, 0xff, v9
	s_delay_alu instid0(VALU_DEP_2) | instskip(SKIP_1) | instid1(VALU_DEP_3)
	v_cmp_eq_u32_e32 vcc_lo, 1, v2
	v_dual_cndmask_b32 v3, v7, v5 :: v_dual_cndmask_b32 v2, v6, v4
	v_cndmask_b32_e64 v10, v8, 1, vcc_lo
; %bb.165:
	s_or_b32 exec_lo, exec_lo, s3
	s_delay_alu instid0(VALU_DEP_1) | instskip(NEXT) | instid1(VALU_DEP_1)
	v_and_b32_e32 v8, 1, v10
	v_cmp_eq_u32_e32 vcc_lo, 1, v8
	v_or_b32_e32 v1, 8, v1
	ds_bpermute_b32 v4, v1, v2
	ds_bpermute_b32 v5, v1, v3
	s_wait_dscnt 0x0
	v_min_i64 v[6:7], v[4:5], v[2:3]
	v_cndmask_b32_e32 v2, v4, v2, vcc_lo
	ds_bpermute_b32 v1, v1, v10
	v_cndmask_b32_e32 v3, v5, v3, vcc_lo
	s_wait_dscnt 0x0
	v_bitop3_b32 v8, v10, 1, v1 bitop3:0x80
	v_cndmask_b32_e64 v1, v1, 1, vcc_lo
	s_delay_alu instid0(VALU_DEP_2) | instskip(NEXT) | instid1(VALU_DEP_2)
	v_cmp_eq_u32_e32 vcc_lo, 0, v8
	v_dual_cndmask_b32 v20, 1, v1 :: v_dual_cndmask_b32 v3, v7, v3
	v_cndmask_b32_e32 v2, v6, v2, vcc_lo
.LBB270_166:
	s_or_b32 exec_lo, exec_lo, s2
	s_branch .LBB270_193
.LBB270_167:
                                        ; implicit-def: $sgpr10_sgpr11
                                        ; implicit-def: $vgpr2_vgpr3
                                        ; implicit-def: $vgpr20
	s_cbranch_execnz .LBB270_194
	s_branch .LBB270_211
.LBB270_168:
                                        ; implicit-def: $sgpr10_sgpr11
                                        ; implicit-def: $vgpr2_vgpr3
                                        ; implicit-def: $vgpr20
	s_branch .LBB270_211
.LBB270_169:
                                        ; implicit-def: $vgpr2_vgpr3
                                        ; implicit-def: $vgpr20
	s_cbranch_execz .LBB270_193
; %bb.170:
	s_wait_dscnt 0x0
	v_mov_b64_e32 v[4:5], 0
	v_mov_b64_e32 v[2:3], 0
	v_dual_mov_b32 v7, 0 :: v_dual_mov_b32 v1, 0
	s_sub_co_i32 s20, s14, s20
	s_mov_b32 s2, exec_lo
	v_cmpx_gt_u32_e64 s20, v0
	s_cbranch_execz .LBB270_172
; %bb.171:
	s_clause 0x1
	global_load_b32 v6, v0, s[4:5] scale_offset
	global_load_b32 v8, v0, s[8:9] scale_offset
	v_mov_b32_e32 v1, 0
	s_delay_alu instid0(VALU_DEP_1)
	v_add_nc_u64_e32 v[2:3], s[6:7], v[0:1]
	s_wait_loadcnt 0x0
	v_cmp_ne_u32_e32 vcc_lo, v6, v8
	v_cndmask_b32_e64 v1, 0, 1, vcc_lo
.LBB270_172:
	s_or_b32 exec_lo, exec_lo, s2
	v_or_b32_e32 v6, 0x80, v0
	s_delay_alu instid0(VALU_DEP_1)
	v_cmp_gt_u32_e32 vcc_lo, s20, v6
	s_and_saveexec_b32 s3, vcc_lo
	s_cbranch_execz .LBB270_174
; %bb.173:
	s_clause 0x1
	global_load_b32 v8, v0, s[4:5] offset:512 scale_offset
	global_load_b32 v9, v0, s[8:9] offset:512 scale_offset
	v_mov_b32_e32 v7, 0
	s_delay_alu instid0(VALU_DEP_1) | instskip(SKIP_2) | instid1(VALU_DEP_1)
	v_add_nc_u64_e32 v[4:5], s[6:7], v[6:7]
	s_wait_loadcnt 0x0
	v_cmp_ne_u32_e64 s2, v8, v9
	v_cndmask_b32_e64 v7, 0, 1, s2
.LBB270_174:
	s_or_b32 exec_lo, exec_lo, s3
	s_delay_alu instid0(VALU_DEP_3) | instskip(NEXT) | instid1(VALU_DEP_2)
	v_min_i64 v[8:9], v[4:5], v[2:3]
	v_and_b32_e32 v6, 1, v7
	v_and_b32_e32 v10, 0xffff, v1
	;; [unrolled: 1-line block ×3, first 2 shown]
	s_mov_b32 s4, exec_lo
	s_delay_alu instid0(VALU_DEP_3) | instskip(SKIP_2) | instid1(VALU_DEP_1)
	v_cmp_eq_u32_e64 s2, 1, v6
	v_and_b32_e32 v6, 1, v1
	v_mbcnt_lo_u32_b32 v1, -1, 0
	v_cmp_ne_u32_e64 s3, 31, v1
	s_delay_alu instid0(VALU_DEP_4) | instskip(NEXT) | instid1(VALU_DEP_4)
	v_dual_cndmask_b32 v9, v3, v9, s2 :: v_dual_cndmask_b32 v8, v2, v8, s2
	v_cmp_eq_u32_e64 s2, 1, v6
	s_delay_alu instid0(VALU_DEP_1) | instskip(NEXT) | instid1(VALU_DEP_4)
	v_cndmask_b32_e64 v6, v7, 1, s2
	v_add_co_ci_u32_e64 v7, null, 0, v1, s3
	s_delay_alu instid0(VALU_DEP_4) | instskip(NEXT) | instid1(VALU_DEP_2)
	v_dual_cndmask_b32 v4, v4, v8, s2 :: v_dual_cndmask_b32 v5, v5, v9, s2
	v_dual_cndmask_b32 v20, v10, v6, vcc_lo :: v_dual_lshlrev_b32 v6, 2, v7
	s_min_u32 s3, s20, 0x80
	s_delay_alu instid0(VALU_DEP_2)
	v_dual_cndmask_b32 v2, v2, v4 :: v_dual_cndmask_b32 v3, v3, v5
	v_add_nc_u32_e32 v8, 1, v1
	ds_bpermute_b32 v7, v6, v20
	ds_bpermute_b32 v4, v6, v2
	ds_bpermute_b32 v5, v6, v3
	v_and_b32_e32 v6, 0x60, v0
	s_delay_alu instid0(VALU_DEP_1) | instskip(NEXT) | instid1(VALU_DEP_1)
	v_sub_nc_u32_e64 v6, s3, v6 clamp
	v_cmpx_lt_u32_e64 v8, v6
	s_cbranch_execz .LBB270_176
; %bb.175:
	s_wait_dscnt 0x0
	v_min_i64 v[8:9], v[4:5], v[2:3]
	v_and_b32_e32 v10, 1, v20
	s_delay_alu instid0(VALU_DEP_1) | instskip(SKIP_3) | instid1(VALU_DEP_3)
	v_cmp_eq_u32_e32 vcc_lo, 1, v10
	v_and_b32_e32 v10, v20, v7
	v_and_b32_e32 v7, 0xff, v7
	v_cndmask_b32_e32 v2, v4, v2, vcc_lo
	v_cmp_eq_u32_e64 s2, 0, v10
	v_cndmask_b32_e32 v3, v5, v3, vcc_lo
	s_delay_alu instid0(VALU_DEP_4) | instskip(NEXT) | instid1(VALU_DEP_1)
	v_cndmask_b32_e64 v4, v7, 1, vcc_lo
	v_dual_cndmask_b32 v20, 1, v4, s2 :: v_dual_cndmask_b32 v2, v8, v2, s2
	s_delay_alu instid0(VALU_DEP_3)
	v_cndmask_b32_e64 v3, v9, v3, s2
.LBB270_176:
	s_or_b32 exec_lo, exec_lo, s4
	v_cmp_gt_u32_e32 vcc_lo, 30, v1
	v_add_nc_u32_e32 v8, 2, v1
	s_mov_b32 s4, exec_lo
	s_wait_dscnt 0x1
	v_cndmask_b32_e64 v4, 0, 2, vcc_lo
	s_wait_dscnt 0x0
	s_delay_alu instid0(VALU_DEP_1)
	v_add_lshl_u32 v5, v4, v1, 2
	ds_bpermute_b32 v7, v5, v20
	ds_bpermute_b32 v4, v5, v2
	ds_bpermute_b32 v5, v5, v3
	v_cmpx_lt_u32_e64 v8, v6
	s_cbranch_execz .LBB270_178
; %bb.177:
	s_wait_dscnt 0x0
	v_min_i64 v[8:9], v[4:5], v[2:3]
	v_and_b32_e32 v10, 1, v20
	s_delay_alu instid0(VALU_DEP_1) | instskip(SKIP_3) | instid1(VALU_DEP_3)
	v_cmp_eq_u32_e32 vcc_lo, 1, v10
	v_bitop3_b32 v10, v20, 1, v7 bitop3:0x80
	v_and_b32_e32 v7, 0xff, v7
	v_cndmask_b32_e32 v2, v4, v2, vcc_lo
	v_cmp_eq_u32_e64 s2, 0, v10
	v_cndmask_b32_e32 v3, v5, v3, vcc_lo
	s_delay_alu instid0(VALU_DEP_4) | instskip(NEXT) | instid1(VALU_DEP_1)
	v_cndmask_b32_e64 v4, v7, 1, vcc_lo
	v_dual_cndmask_b32 v20, 1, v4, s2 :: v_dual_cndmask_b32 v2, v8, v2, s2
	s_delay_alu instid0(VALU_DEP_3)
	v_cndmask_b32_e64 v3, v9, v3, s2
.LBB270_178:
	s_or_b32 exec_lo, exec_lo, s4
	v_cmp_gt_u32_e32 vcc_lo, 28, v1
	v_add_nc_u32_e32 v8, 4, v1
	s_mov_b32 s4, exec_lo
	s_wait_dscnt 0x1
	v_cndmask_b32_e64 v4, 0, 4, vcc_lo
	s_wait_dscnt 0x0
	s_delay_alu instid0(VALU_DEP_1)
	v_add_lshl_u32 v5, v4, v1, 2
	ds_bpermute_b32 v7, v5, v20
	ds_bpermute_b32 v4, v5, v2
	ds_bpermute_b32 v5, v5, v3
	v_cmpx_lt_u32_e64 v8, v6
	s_cbranch_execz .LBB270_180
; %bb.179:
	s_wait_dscnt 0x0
	v_min_i64 v[8:9], v[4:5], v[2:3]
	v_and_b32_e32 v10, 1, v20
	s_delay_alu instid0(VALU_DEP_1) | instskip(SKIP_3) | instid1(VALU_DEP_3)
	v_cmp_eq_u32_e32 vcc_lo, 1, v10
	v_bitop3_b32 v10, v20, 1, v7 bitop3:0x80
	v_and_b32_e32 v7, 0xff, v7
	v_cndmask_b32_e32 v2, v4, v2, vcc_lo
	v_cmp_eq_u32_e64 s2, 0, v10
	v_cndmask_b32_e32 v3, v5, v3, vcc_lo
	s_delay_alu instid0(VALU_DEP_4) | instskip(NEXT) | instid1(VALU_DEP_1)
	v_cndmask_b32_e64 v4, v7, 1, vcc_lo
	v_dual_cndmask_b32 v20, 1, v4, s2 :: v_dual_cndmask_b32 v2, v8, v2, s2
	s_delay_alu instid0(VALU_DEP_3)
	v_cndmask_b32_e64 v3, v9, v3, s2
.LBB270_180:
	;; [unrolled: 31-line block ×3, first 2 shown]
	s_or_b32 exec_lo, exec_lo, s4
	s_wait_dscnt 0x2
	v_dual_lshlrev_b32 v7, 2, v1 :: v_dual_add_nc_u32 v9, 16, v1
	s_wait_dscnt 0x0
	s_delay_alu instid0(VALU_DEP_1) | instskip(NEXT) | instid1(VALU_DEP_2)
	v_or_b32_e32 v5, 64, v7
	v_cmp_lt_u32_e32 vcc_lo, v9, v6
	v_mov_b32_e32 v6, v20
	ds_bpermute_b32 v8, v5, v20
	ds_bpermute_b32 v4, v5, v2
	;; [unrolled: 1-line block ×3, first 2 shown]
	s_and_saveexec_b32 s4, vcc_lo
	s_cbranch_execz .LBB270_184
; %bb.183:
	s_wait_dscnt 0x0
	v_min_i64 v[10:11], v[4:5], v[2:3]
	v_and_b32_e32 v6, 1, v20
	v_bitop3_b32 v9, v20, 1, v8 bitop3:0x80
	s_delay_alu instid0(VALU_DEP_2) | instskip(NEXT) | instid1(VALU_DEP_2)
	v_cmp_eq_u32_e32 vcc_lo, 1, v6
	v_cmp_eq_u32_e64 s2, 0, v9
	v_cndmask_b32_e64 v6, v8, 1, vcc_lo
	v_dual_cndmask_b32 v3, v5, v3 :: v_dual_cndmask_b32 v2, v4, v2
	s_delay_alu instid0(VALU_DEP_2) | instskip(NEXT) | instid1(VALU_DEP_1)
	v_cndmask_b32_e64 v6, 1, v6, s2
	v_and_b32_e32 v20, 0xff, v6
	s_delay_alu instid0(VALU_DEP_3)
	v_dual_cndmask_b32 v3, v11, v3, s2 :: v_dual_cndmask_b32 v2, v10, v2, s2
.LBB270_184:
	s_or_b32 exec_lo, exec_lo, s4
	s_delay_alu instid0(SALU_CYCLE_1)
	s_mov_b32 s2, exec_lo
	v_cmpx_eq_u32_e32 0, v1
	s_cbranch_execz .LBB270_186
; %bb.185:
	s_wait_dscnt 0x1
	v_lshrrev_b32_e32 v4, 1, v0
	s_delay_alu instid0(VALU_DEP_1)
	v_and_b32_e32 v4, 48, v4
	ds_store_b8 v4, v6 offset:256
	ds_store_b64 v4, v[2:3] offset:264
.LBB270_186:
	s_or_b32 exec_lo, exec_lo, s2
	s_delay_alu instid0(SALU_CYCLE_1)
	s_mov_b32 s4, exec_lo
	s_wait_dscnt 0x0
	s_barrier_signal -1
	s_barrier_wait -1
	v_cmpx_gt_u32_e32 4, v0
	s_cbranch_execz .LBB270_192
; %bb.187:
	v_dual_lshlrev_b32 v2, 4, v1 :: v_dual_bitop2_b32 v6, 3, v1 bitop3:0x40
	s_add_co_i32 s3, s3, 31
	s_mov_b32 s5, exec_lo
	s_lshr_b32 s3, s3, 5
	ds_load_u8 v8, v2 offset:256
	ds_load_b64 v[2:3], v2 offset:264
	v_cmp_ne_u32_e32 vcc_lo, 3, v6
	v_add_nc_u32_e32 v9, 1, v6
	v_add_co_ci_u32_e64 v1, null, 0, v1, vcc_lo
	s_delay_alu instid0(VALU_DEP_1)
	v_lshlrev_b32_e32 v5, 2, v1
	s_wait_dscnt 0x1
	v_and_b32_e32 v20, 0xff, v8
	s_wait_dscnt 0x0
	ds_bpermute_b32 v4, v5, v2
	ds_bpermute_b32 v1, v5, v20
	;; [unrolled: 1-line block ×3, first 2 shown]
	v_cmpx_gt_u32_e64 s3, v9
	s_cbranch_execz .LBB270_189
; %bb.188:
	s_wait_dscnt 0x0
	v_min_i64 v[10:11], v[4:5], v[2:3]
	v_and_b32_e32 v8, 1, v8
	s_delay_alu instid0(VALU_DEP_1) | instskip(SKIP_3) | instid1(VALU_DEP_3)
	v_cmp_eq_u32_e32 vcc_lo, 1, v8
	v_bitop3_b32 v8, v20, 1, v1 bitop3:0x80
	v_and_b32_e32 v1, 0xff, v1
	v_cndmask_b32_e32 v2, v4, v2, vcc_lo
	v_cmp_eq_u32_e64 s2, 0, v8
	v_cndmask_b32_e32 v3, v5, v3, vcc_lo
	s_delay_alu instid0(VALU_DEP_4) | instskip(NEXT) | instid1(VALU_DEP_1)
	v_cndmask_b32_e64 v1, v1, 1, vcc_lo
	v_dual_cndmask_b32 v20, 1, v1, s2 :: v_dual_cndmask_b32 v2, v10, v2, s2
	s_delay_alu instid0(VALU_DEP_3)
	v_cndmask_b32_e64 v3, v11, v3, s2
.LBB270_189:
	s_or_b32 exec_lo, exec_lo, s5
	s_wait_dscnt 0x0
	v_dual_add_nc_u32 v6, 2, v6 :: v_dual_bitop2_b32 v5, 8, v7 bitop3:0x54
	ds_bpermute_b32 v1, v5, v20
	ds_bpermute_b32 v4, v5, v2
	;; [unrolled: 1-line block ×3, first 2 shown]
	v_cmp_gt_u32_e32 vcc_lo, s3, v6
	s_and_saveexec_b32 s3, vcc_lo
	s_cbranch_execz .LBB270_191
; %bb.190:
	s_wait_dscnt 0x0
	v_min_i64 v[6:7], v[4:5], v[2:3]
	v_and_b32_e32 v8, 1, v20
	s_delay_alu instid0(VALU_DEP_1) | instskip(SKIP_2) | instid1(VALU_DEP_2)
	v_cmp_eq_u32_e32 vcc_lo, 1, v8
	v_bitop3_b32 v8, v20, 1, v1 bitop3:0x80
	v_cndmask_b32_e32 v2, v4, v2, vcc_lo
	v_cmp_eq_u32_e64 s2, 0, v8
	v_cndmask_b32_e32 v3, v5, v3, vcc_lo
	v_cndmask_b32_e64 v1, v1, 1, vcc_lo
	s_delay_alu instid0(VALU_DEP_1) | instskip(NEXT) | instid1(VALU_DEP_3)
	v_dual_cndmask_b32 v20, 1, v1, s2 :: v_dual_cndmask_b32 v2, v6, v2, s2
	v_cndmask_b32_e64 v3, v7, v3, s2
.LBB270_191:
	s_or_b32 exec_lo, exec_lo, s3
.LBB270_192:
	s_delay_alu instid0(SALU_CYCLE_1)
	s_or_b32 exec_lo, exec_lo, s4
.LBB270_193:
	v_cmp_eq_u32_e64 s2, 0, v0
	s_branch .LBB270_211
.LBB270_194:
	s_cmp_eq_u32 s24, 1
	s_cbranch_scc0 .LBB270_210
; %bb.195:
	s_bfe_u32 s2, ttmp6, 0x4000c
	s_and_b32 s3, ttmp6, 15
	s_add_co_i32 s2, s2, 1
	s_getreg_b32 s4, hwreg(HW_REG_IB_STS2, 6, 4)
	s_mul_i32 s2, ttmp9, s2
	s_mov_b32 s5, 0
	s_add_co_i32 s3, s3, s2
	s_cmp_eq_u32 s4, 0
	v_mbcnt_lo_u32_b32 v8, -1, 0
	s_cselect_b32 s10, ttmp9, s3
	s_mov_b32 s11, s5
	s_lshr_b64 s[2:3], s[14:15], 7
	s_lshl_b32 s4, s10, 7
	s_cmp_lg_u64 s[2:3], s[10:11]
	s_cbranch_scc0 .LBB270_214
; %bb.196:
	s_lshl_b64 s[2:3], s[4:5], 2
	s_delay_alu instid0(SALU_CYCLE_1)
	s_add_nc_u64 s[6:7], s[16:17], s[2:3]
	s_add_nc_u64 s[2:3], s[18:19], s[2:3]
	s_clause 0x1
	global_load_b32 v9, v0, s[6:7] scale_offset
	global_load_b32 v10, v0, s[2:3] scale_offset
	s_wait_xcnt 0x0
	s_add_nc_u64 s[2:3], s[12:13], s[4:5]
	s_wait_loadcnt 0x0
	v_cmp_ne_u32_e32 vcc_lo, v9, v10
	v_cndmask_b32_e64 v9, 0, 1, vcc_lo
	s_delay_alu instid0(VALU_DEP_1) | instskip(SKIP_1) | instid1(VALU_DEP_1)
	v_mov_b32_dpp v9, v9 quad_perm:[1,0,3,2] row_mask:0xf bank_mask:0xf
	s_wait_dscnt 0x2
	v_dual_mov_b32 v1, 0 :: v_dual_bitop2_b32 v9, 1, v9 bitop3:0x40
	s_delay_alu instid0(VALU_DEP_1) | instskip(NEXT) | instid1(VALU_DEP_2)
	v_add_nc_u64_e32 v[2:3], s[2:3], v[0:1]
	v_cmp_eq_u32_e64 s2, 1, v9
	s_wait_dscnt 0x1
	s_delay_alu instid0(VALU_DEP_2) | instskip(SKIP_1) | instid1(VALU_DEP_3)
	v_mov_b32_dpp v4, v2 quad_perm:[1,0,3,2] row_mask:0xf bank_mask:0xf
	s_wait_dscnt 0x0
	v_mov_b32_dpp v5, v3 quad_perm:[1,0,3,2] row_mask:0xf bank_mask:0xf
	s_delay_alu instid0(VALU_DEP_1) | instskip(NEXT) | instid1(VALU_DEP_1)
	v_min_i64 v[6:7], v[2:3], v[4:5]
	v_dual_cndmask_b32 v4, v4, v6 :: v_dual_cndmask_b32 v5, v5, v7
	s_or_b32 vcc_lo, s2, vcc_lo
	s_delay_alu instid0(SALU_CYCLE_1) | instskip(NEXT) | instid1(VALU_DEP_2)
	v_cndmask_b32_e64 v9, 0, 1, vcc_lo
	v_dual_cndmask_b32 v2, v2, v4, s2 :: v_dual_cndmask_b32 v3, v3, v5, s2
	s_delay_alu instid0(VALU_DEP_2) | instskip(NEXT) | instid1(VALU_DEP_2)
	v_mov_b32_dpp v9, v9 quad_perm:[2,3,0,1] row_mask:0xf bank_mask:0xf
	v_mov_b32_dpp v4, v2 quad_perm:[2,3,0,1] row_mask:0xf bank_mask:0xf
	s_delay_alu instid0(VALU_DEP_3) | instskip(NEXT) | instid1(VALU_DEP_1)
	v_mov_b32_dpp v5, v3 quad_perm:[2,3,0,1] row_mask:0xf bank_mask:0xf
	v_min_i64 v[6:7], v[2:3], v[4:5]
	s_delay_alu instid0(VALU_DEP_1) | instskip(NEXT) | instid1(VALU_DEP_1)
	v_dual_cndmask_b32 v4, v4, v6, vcc_lo :: v_dual_bitop2_b32 v9, 1, v9 bitop3:0x40
	v_cmp_eq_u32_e64 s2, 1, v9
	s_delay_alu instid0(VALU_DEP_1) | instskip(SKIP_1) | instid1(SALU_CYCLE_1)
	v_dual_cndmask_b32 v5, v5, v7, vcc_lo :: v_dual_cndmask_b32 v2, v2, v4, s2
	s_or_b32 vcc_lo, s2, vcc_lo
	v_cndmask_b32_e64 v9, 0, 1, vcc_lo
	s_delay_alu instid0(VALU_DEP_2) | instskip(NEXT) | instid1(VALU_DEP_3)
	v_mov_b32_dpp v4, v2 row_ror:4 row_mask:0xf bank_mask:0xf
	v_cndmask_b32_e64 v3, v3, v5, s2
	s_delay_alu instid0(VALU_DEP_3) | instskip(NEXT) | instid1(VALU_DEP_2)
	v_mov_b32_dpp v9, v9 row_ror:4 row_mask:0xf bank_mask:0xf
	v_mov_b32_dpp v5, v3 row_ror:4 row_mask:0xf bank_mask:0xf
	s_delay_alu instid0(VALU_DEP_1) | instskip(NEXT) | instid1(VALU_DEP_1)
	v_min_i64 v[6:7], v[2:3], v[4:5]
	v_dual_cndmask_b32 v5, v5, v7, vcc_lo :: v_dual_bitop2_b32 v9, 1, v9 bitop3:0x40
	s_delay_alu instid0(VALU_DEP_2) | instskip(NEXT) | instid1(VALU_DEP_2)
	v_cndmask_b32_e32 v4, v4, v6, vcc_lo
	v_cmp_eq_u32_e64 s2, 1, v9
	s_delay_alu instid0(VALU_DEP_1) | instskip(SKIP_1) | instid1(SALU_CYCLE_1)
	v_dual_cndmask_b32 v3, v3, v5, s2 :: v_dual_cndmask_b32 v2, v2, v4, s2
	s_or_b32 vcc_lo, s2, vcc_lo
	v_cndmask_b32_e64 v9, 0, 1, vcc_lo
	s_delay_alu instid0(VALU_DEP_2) | instskip(NEXT) | instid1(VALU_DEP_3)
	v_mov_b32_dpp v5, v3 row_ror:8 row_mask:0xf bank_mask:0xf
	v_mov_b32_dpp v4, v2 row_ror:8 row_mask:0xf bank_mask:0xf
	s_delay_alu instid0(VALU_DEP_3) | instskip(NEXT) | instid1(VALU_DEP_2)
	v_mov_b32_dpp v9, v9 row_ror:8 row_mask:0xf bank_mask:0xf
	v_min_i64 v[6:7], v[2:3], v[4:5]
	s_delay_alu instid0(VALU_DEP_1) | instskip(NEXT) | instid1(VALU_DEP_1)
	v_dual_cndmask_b32 v4, v4, v6, vcc_lo :: v_dual_bitop2_b32 v9, 1, v9 bitop3:0x40
	v_cmp_eq_u32_e64 s2, 1, v9
	s_delay_alu instid0(VALU_DEP_1) | instskip(SKIP_1) | instid1(VALU_DEP_1)
	v_dual_cndmask_b32 v5, v5, v7, vcc_lo :: v_dual_cndmask_b32 v2, v2, v4, s2
	s_or_b32 vcc_lo, s2, vcc_lo
	v_cndmask_b32_e64 v3, v3, v5, s2
	v_cndmask_b32_e64 v9, 0, 1, vcc_lo
	ds_swizzle_b32 v4, v2 offset:swizzle(BROADCAST,32,15)
	ds_swizzle_b32 v5, v3 offset:swizzle(BROADCAST,32,15)
	;; [unrolled: 1-line block ×3, first 2 shown]
	s_wait_dscnt 0x1
	v_min_i64 v[6:7], v[2:3], v[4:5]
	s_wait_dscnt 0x0
	s_delay_alu instid0(VALU_DEP_1) | instskip(NEXT) | instid1(VALU_DEP_1)
	v_dual_cndmask_b32 v4, v4, v6, vcc_lo :: v_dual_bitop2_b32 v9, 1, v9 bitop3:0x40
	v_cmp_eq_u32_e64 s2, 1, v9
	s_delay_alu instid0(VALU_DEP_3) | instskip(SKIP_1) | instid1(VALU_DEP_1)
	v_cndmask_b32_e32 v5, v5, v7, vcc_lo
	s_or_b32 s3, s2, vcc_lo
	v_dual_cndmask_b32 v3, v3, v5, s2 :: v_dual_cndmask_b32 v2, v2, v4, s2
	v_cndmask_b32_e64 v5, 0, 1, s3
	s_mov_b32 s2, exec_lo
	ds_bpermute_b32 v3, v1, v3 offset:124
	ds_bpermute_b32 v2, v1, v2 offset:124
	;; [unrolled: 1-line block ×3, first 2 shown]
	v_cmpx_eq_u32_e32 0, v8
	s_cbranch_execz .LBB270_198
; %bb.197:
	v_lshrrev_b32_e32 v1, 1, v0
	s_delay_alu instid0(VALU_DEP_1)
	v_and_b32_e32 v1, 48, v1
	s_wait_dscnt 0x0
	ds_store_b8 v1, v20
	ds_store_b64 v1, v[2:3] offset:8
.LBB270_198:
	s_or_b32 exec_lo, exec_lo, s2
	s_delay_alu instid0(SALU_CYCLE_1)
	s_mov_b32 s2, exec_lo
	s_wait_dscnt 0x0
	s_barrier_signal -1
	s_barrier_wait -1
	v_cmpx_gt_u32_e32 32, v0
	s_cbranch_execz .LBB270_208
; %bb.199:
	v_and_b32_e32 v1, 3, v8
	s_mov_b32 s3, exec_lo
	s_delay_alu instid0(VALU_DEP_1) | instskip(SKIP_2) | instid1(VALU_DEP_1)
	v_cmp_ne_u32_e32 vcc_lo, 3, v1
	v_lshlrev_b32_e32 v2, 4, v1
	v_add_co_ci_u32_e64 v1, null, 0, v8, vcc_lo
	v_lshlrev_b32_e32 v1, 2, v1
	ds_load_u8 v9, v2
	ds_load_b64 v[2:3], v2 offset:8
	s_wait_dscnt 0x1
	v_and_b32_e32 v4, 0xff, v9
	s_wait_dscnt 0x0
	ds_bpermute_b32 v6, v1, v2
	ds_bpermute_b32 v7, v1, v3
	;; [unrolled: 1-line block ×3, first 2 shown]
                                        ; implicit-def: $vgpr4_vgpr5
	s_wait_dscnt 0x0
	v_and_b32_e32 v1, v9, v10
	s_delay_alu instid0(VALU_DEP_1) | instskip(NEXT) | instid1(VALU_DEP_1)
	v_and_b32_e32 v1, 1, v1
	v_cmpx_eq_u32_e32 1, v1
	s_xor_b32 s3, exec_lo, s3
; %bb.200:
	v_min_i64 v[4:5], v[6:7], v[2:3]
                                        ; implicit-def: $vgpr9
                                        ; implicit-def: $vgpr6_vgpr7
                                        ; implicit-def: $vgpr2_vgpr3
                                        ; implicit-def: $vgpr10
; %bb.201:
	s_or_saveexec_b32 s3, s3
	v_dual_lshlrev_b32 v11, 2, v8 :: v_dual_mov_b32 v1, 1
	s_xor_b32 exec_lo, exec_lo, s3
; %bb.202:
	v_and_b32_e32 v1, 1, v9
	s_delay_alu instid0(VALU_DEP_1) | instskip(SKIP_2) | instid1(VALU_DEP_2)
	v_cmp_eq_u32_e32 vcc_lo, 1, v1
	v_and_b32_e32 v1, 0xff, v10
	v_dual_cndmask_b32 v5, v7, v3 :: v_dual_cndmask_b32 v4, v6, v2
	v_cndmask_b32_e64 v1, v1, 1, vcc_lo
; %bb.203:
	s_or_b32 exec_lo, exec_lo, s3
	v_or_b32_e32 v2, 8, v11
	ds_bpermute_b32 v9, v2, v1
	ds_bpermute_b32 v6, v2, v4
	;; [unrolled: 1-line block ×3, first 2 shown]
	s_wait_dscnt 0x2
	v_and_b32_e32 v2, v1, v9
	s_delay_alu instid0(VALU_DEP_1) | instskip(NEXT) | instid1(VALU_DEP_1)
	v_and_b32_e32 v2, 1, v2
	v_cmp_eq_u32_e32 vcc_lo, 1, v2
                                        ; implicit-def: $vgpr2_vgpr3
	s_and_saveexec_b32 s3, vcc_lo
	s_delay_alu instid0(SALU_CYCLE_1)
	s_xor_b32 s3, exec_lo, s3
	s_cbranch_execz .LBB270_205
; %bb.204:
	s_wait_dscnt 0x0
	v_min_i64 v[2:3], v[6:7], v[4:5]
                                        ; implicit-def: $vgpr1
                                        ; implicit-def: $vgpr6_vgpr7
                                        ; implicit-def: $vgpr4_vgpr5
                                        ; implicit-def: $vgpr9
.LBB270_205:
	s_or_saveexec_b32 s3, s3
	v_mov_b32_e32 v20, 1
	s_xor_b32 exec_lo, exec_lo, s3
	s_cbranch_execz .LBB270_207
; %bb.206:
	v_and_b32_e32 v1, 1, v1
	s_delay_alu instid0(VALU_DEP_1)
	v_cmp_eq_u32_e32 vcc_lo, 1, v1
	s_wait_dscnt 0x0
	v_dual_cndmask_b32 v3, v7, v5 :: v_dual_cndmask_b32 v2, v6, v4
	v_cndmask_b32_e64 v20, v9, 1, vcc_lo
.LBB270_207:
	s_or_b32 exec_lo, exec_lo, s3
.LBB270_208:
	s_delay_alu instid0(SALU_CYCLE_1)
	s_or_b32 exec_lo, exec_lo, s2
.LBB270_209:
	v_cmp_eq_u32_e64 s2, 0, v0
	s_and_saveexec_b32 s3, s2
	s_cbranch_execnz .LBB270_212
	s_branch .LBB270_213
.LBB270_210:
                                        ; implicit-def: $sgpr10_sgpr11
                                        ; implicit-def: $vgpr2_vgpr3
                                        ; implicit-def: $vgpr20
.LBB270_211:
	s_delay_alu instid0(VALU_DEP_1)
	s_and_saveexec_b32 s3, s2
	s_cbranch_execz .LBB270_213
.LBB270_212:
	s_clause 0x1
	s_load_b64 s[2:3], s[0:1], 0x48
	s_load_b96 s[4:6], s[0:1], 0x38
	s_cmp_eq_u64 s[14:15], 0
	s_wait_xcnt 0x0
	s_cselect_b32 s0, -1, 0
	s_wait_dscnt 0x2
	s_wait_kmcnt 0x0
	v_min_i64 v[0:1], v[2:3], s[2:3]
	s_wait_dscnt 0x1
	v_and_b32_e32 v4, 1, v20
	s_bitcmp1_b32 s6, 0
	s_delay_alu instid0(VALU_DEP_1) | instskip(NEXT) | instid1(VALU_DEP_3)
	v_cmp_eq_u32_e32 vcc_lo, 1, v4
	v_cndmask_b32_e32 v1, s3, v1, vcc_lo
	s_delay_alu instid0(VALU_DEP_4) | instskip(SKIP_1) | instid1(SALU_CYCLE_1)
	v_cndmask_b32_e32 v0, s2, v0, vcc_lo
	s_cselect_b32 vcc_lo, -1, 0
	v_cndmask_b32_e64 v4, v20, 1, vcc_lo
	s_delay_alu instid0(VALU_DEP_2) | instskip(SKIP_1) | instid1(VALU_DEP_3)
	v_dual_cndmask_b32 v1, v3, v1 :: v_dual_cndmask_b32 v0, v2, v0
	v_mov_b32_e32 v2, 0
	v_cndmask_b32_e64 v3, v4, s6, s0
	s_delay_alu instid0(VALU_DEP_3) | instskip(NEXT) | instid1(VALU_DEP_4)
	v_cndmask_b32_e64 v1, v1, s3, s0
	v_cndmask_b32_e64 v0, v0, s2, s0
	s_lshl_b64 s[0:1], s[10:11], 4
	s_delay_alu instid0(SALU_CYCLE_1)
	s_add_nc_u64 s[0:1], s[4:5], s[0:1]
	s_clause 0x1
	global_store_b8 v2, v3, s[0:1]
	global_store_b64 v2, v[0:1], s[0:1] offset:8
.LBB270_213:
	s_endpgm
.LBB270_214:
                                        ; implicit-def: $vgpr2_vgpr3
                                        ; implicit-def: $vgpr20
	s_cbranch_execz .LBB270_209
; %bb.215:
	v_mov_b64_e32 v[2:3], 0
	s_wait_dscnt 0x1
	v_mov_b32_e32 v6, 0
	s_sub_co_i32 s2, s14, s4
	s_mov_b32 s3, exec_lo
	v_cmpx_gt_u32_e64 s2, v0
	s_cbranch_execz .LBB270_217
; %bb.216:
	s_lshl_b64 s[6:7], s[4:5], 2
	v_mov_b32_e32 v1, 0
	s_add_nc_u64 s[8:9], s[16:17], s[6:7]
	s_add_nc_u64 s[6:7], s[18:19], s[6:7]
	global_load_b32 v4, v0, s[8:9] scale_offset
	s_wait_dscnt 0x0
	global_load_b32 v5, v0, s[6:7] scale_offset
	s_add_nc_u64 s[4:5], s[12:13], s[4:5]
	s_delay_alu instid0(SALU_CYCLE_1)
	v_add_nc_u64_e32 v[2:3], s[4:5], v[0:1]
	s_wait_loadcnt 0x0
	v_cmp_ne_u32_e32 vcc_lo, v4, v5
	v_cndmask_b32_e64 v6, 0, 1, vcc_lo
.LBB270_217:
	s_or_b32 exec_lo, exec_lo, s3
	v_cmp_ne_u32_e32 vcc_lo, 31, v8
	s_delay_alu instid0(VALU_DEP_2) | instskip(SKIP_4) | instid1(VALU_DEP_1)
	v_and_b32_e32 v20, 0xffff, v6
	s_min_u32 s3, s2, 0x80
	s_mov_b32 s4, exec_lo
	v_add_nc_u32_e32 v9, 1, v8
	v_add_co_ci_u32_e64 v1, null, 0, v8, vcc_lo
	v_lshlrev_b32_e32 v1, 2, v1
	s_wait_dscnt 0x0
	ds_bpermute_b32 v7, v1, v20
	ds_bpermute_b32 v4, v1, v2
	;; [unrolled: 1-line block ×3, first 2 shown]
	v_and_b32_e32 v1, 0x60, v0
	s_delay_alu instid0(VALU_DEP_1) | instskip(NEXT) | instid1(VALU_DEP_1)
	v_sub_nc_u32_e64 v1, s3, v1 clamp
	v_cmpx_lt_u32_e64 v9, v1
	s_cbranch_execz .LBB270_219
; %bb.218:
	s_wait_dscnt 0x0
	v_min_i64 v[10:11], v[4:5], v[2:3]
	v_and_b32_e32 v6, 1, v6
	s_delay_alu instid0(VALU_DEP_1) | instskip(SKIP_3) | instid1(VALU_DEP_3)
	v_cmp_eq_u32_e32 vcc_lo, 1, v6
	v_and_b32_e32 v6, v7, v20
	v_and_b32_e32 v7, 0xff, v7
	v_dual_cndmask_b32 v2, v4, v2 :: v_dual_cndmask_b32 v3, v5, v3
	v_cmp_eq_u32_e64 s2, 0, v6
	s_delay_alu instid0(VALU_DEP_3) | instskip(NEXT) | instid1(VALU_DEP_1)
	v_cndmask_b32_e64 v4, v7, 1, vcc_lo
	v_dual_cndmask_b32 v20, 1, v4, s2 :: v_dual_cndmask_b32 v3, v11, v3, s2
	s_delay_alu instid0(VALU_DEP_4)
	v_cndmask_b32_e64 v2, v10, v2, s2
.LBB270_219:
	s_or_b32 exec_lo, exec_lo, s4
	v_cmp_gt_u32_e32 vcc_lo, 30, v8
	s_wait_dscnt 0x2
	v_add_nc_u32_e32 v7, 2, v8
	s_mov_b32 s4, exec_lo
	s_wait_dscnt 0x1
	v_cndmask_b32_e64 v4, 0, 2, vcc_lo
	s_wait_dscnt 0x0
	s_delay_alu instid0(VALU_DEP_1)
	v_add_lshl_u32 v5, v4, v8, 2
	ds_bpermute_b32 v6, v5, v20
	ds_bpermute_b32 v4, v5, v2
	;; [unrolled: 1-line block ×3, first 2 shown]
	v_cmpx_lt_u32_e64 v7, v1
	s_cbranch_execz .LBB270_221
; %bb.220:
	s_wait_dscnt 0x0
	v_min_i64 v[10:11], v[4:5], v[2:3]
	v_and_b32_e32 v7, 1, v20
	s_delay_alu instid0(VALU_DEP_1) | instskip(SKIP_3) | instid1(VALU_DEP_3)
	v_cmp_eq_u32_e32 vcc_lo, 1, v7
	v_bitop3_b32 v7, v20, 1, v6 bitop3:0x80
	v_and_b32_e32 v6, 0xff, v6
	v_cndmask_b32_e32 v2, v4, v2, vcc_lo
	v_cmp_eq_u32_e64 s2, 0, v7
	v_cndmask_b32_e32 v3, v5, v3, vcc_lo
	s_delay_alu instid0(VALU_DEP_4) | instskip(NEXT) | instid1(VALU_DEP_1)
	v_cndmask_b32_e64 v4, v6, 1, vcc_lo
	v_dual_cndmask_b32 v20, 1, v4, s2 :: v_dual_cndmask_b32 v2, v10, v2, s2
	s_delay_alu instid0(VALU_DEP_3)
	v_cndmask_b32_e64 v3, v11, v3, s2
.LBB270_221:
	s_or_b32 exec_lo, exec_lo, s4
	v_cmp_gt_u32_e32 vcc_lo, 28, v8
	v_add_nc_u32_e32 v7, 4, v8
	s_mov_b32 s4, exec_lo
	s_wait_dscnt 0x1
	v_cndmask_b32_e64 v4, 0, 4, vcc_lo
	s_wait_dscnt 0x0
	s_delay_alu instid0(VALU_DEP_1)
	v_add_lshl_u32 v5, v4, v8, 2
	ds_bpermute_b32 v6, v5, v20
	ds_bpermute_b32 v4, v5, v2
	;; [unrolled: 1-line block ×3, first 2 shown]
	v_cmpx_lt_u32_e64 v7, v1
	s_cbranch_execz .LBB270_223
; %bb.222:
	s_wait_dscnt 0x0
	v_min_i64 v[10:11], v[4:5], v[2:3]
	v_and_b32_e32 v7, 1, v20
	s_delay_alu instid0(VALU_DEP_1) | instskip(SKIP_3) | instid1(VALU_DEP_3)
	v_cmp_eq_u32_e32 vcc_lo, 1, v7
	v_bitop3_b32 v7, v20, 1, v6 bitop3:0x80
	v_and_b32_e32 v6, 0xff, v6
	v_cndmask_b32_e32 v2, v4, v2, vcc_lo
	v_cmp_eq_u32_e64 s2, 0, v7
	v_cndmask_b32_e32 v3, v5, v3, vcc_lo
	s_delay_alu instid0(VALU_DEP_4) | instskip(NEXT) | instid1(VALU_DEP_1)
	v_cndmask_b32_e64 v4, v6, 1, vcc_lo
	v_dual_cndmask_b32 v20, 1, v4, s2 :: v_dual_cndmask_b32 v2, v10, v2, s2
	s_delay_alu instid0(VALU_DEP_3)
	v_cndmask_b32_e64 v3, v11, v3, s2
.LBB270_223:
	s_or_b32 exec_lo, exec_lo, s4
	v_cmp_gt_u32_e32 vcc_lo, 24, v8
	v_add_nc_u32_e32 v7, 8, v8
	s_mov_b32 s4, exec_lo
	s_wait_dscnt 0x1
	v_cndmask_b32_e64 v4, 0, 8, vcc_lo
	s_wait_dscnt 0x0
	s_delay_alu instid0(VALU_DEP_1)
	v_add_lshl_u32 v5, v4, v8, 2
	ds_bpermute_b32 v6, v5, v20
	ds_bpermute_b32 v4, v5, v2
	;; [unrolled: 1-line block ×3, first 2 shown]
	v_cmpx_lt_u32_e64 v7, v1
	s_cbranch_execz .LBB270_225
; %bb.224:
	s_wait_dscnt 0x0
	v_min_i64 v[10:11], v[4:5], v[2:3]
	v_and_b32_e32 v7, 1, v20
	s_delay_alu instid0(VALU_DEP_1) | instskip(SKIP_3) | instid1(VALU_DEP_3)
	v_cmp_eq_u32_e32 vcc_lo, 1, v7
	v_bitop3_b32 v7, v20, 1, v6 bitop3:0x80
	v_and_b32_e32 v6, 0xff, v6
	v_cndmask_b32_e32 v2, v4, v2, vcc_lo
	v_cmp_eq_u32_e64 s2, 0, v7
	v_cndmask_b32_e32 v3, v5, v3, vcc_lo
	s_delay_alu instid0(VALU_DEP_4) | instskip(NEXT) | instid1(VALU_DEP_1)
	v_cndmask_b32_e64 v4, v6, 1, vcc_lo
	v_dual_cndmask_b32 v20, 1, v4, s2 :: v_dual_cndmask_b32 v2, v10, v2, s2
	s_delay_alu instid0(VALU_DEP_3)
	v_cndmask_b32_e64 v3, v11, v3, s2
.LBB270_225:
	s_or_b32 exec_lo, exec_lo, s4
	s_wait_dscnt 0x2
	v_dual_lshlrev_b32 v6, 2, v8 :: v_dual_add_nc_u32 v9, 16, v8
	s_wait_dscnt 0x0
	s_delay_alu instid0(VALU_DEP_1) | instskip(NEXT) | instid1(VALU_DEP_2)
	v_or_b32_e32 v5, 64, v6
	v_cmp_lt_u32_e32 vcc_lo, v9, v1
	v_mov_b32_e32 v1, v20
	ds_bpermute_b32 v7, v5, v20
	ds_bpermute_b32 v4, v5, v2
	;; [unrolled: 1-line block ×3, first 2 shown]
	s_and_saveexec_b32 s4, vcc_lo
	s_cbranch_execz .LBB270_227
; %bb.226:
	s_wait_dscnt 0x0
	v_min_i64 v[10:11], v[4:5], v[2:3]
	v_and_b32_e32 v1, 1, v20
	v_bitop3_b32 v9, v20, 1, v7 bitop3:0x80
	s_delay_alu instid0(VALU_DEP_2) | instskip(NEXT) | instid1(VALU_DEP_2)
	v_cmp_eq_u32_e32 vcc_lo, 1, v1
	v_cmp_eq_u32_e64 s2, 0, v9
	v_cndmask_b32_e64 v1, v7, 1, vcc_lo
	v_dual_cndmask_b32 v3, v5, v3 :: v_dual_cndmask_b32 v2, v4, v2
	s_delay_alu instid0(VALU_DEP_2) | instskip(NEXT) | instid1(VALU_DEP_1)
	v_cndmask_b32_e64 v1, 1, v1, s2
	v_and_b32_e32 v20, 0xff, v1
	s_delay_alu instid0(VALU_DEP_3)
	v_dual_cndmask_b32 v3, v11, v3, s2 :: v_dual_cndmask_b32 v2, v10, v2, s2
.LBB270_227:
	s_or_b32 exec_lo, exec_lo, s4
	s_delay_alu instid0(SALU_CYCLE_1)
	s_mov_b32 s2, exec_lo
	v_cmpx_eq_u32_e32 0, v8
	s_cbranch_execz .LBB270_229
; %bb.228:
	s_wait_dscnt 0x1
	v_lshrrev_b32_e32 v4, 1, v0
	s_delay_alu instid0(VALU_DEP_1)
	v_and_b32_e32 v4, 48, v4
	ds_store_b8 v4, v1 offset:256
	ds_store_b64 v4, v[2:3] offset:264
.LBB270_229:
	s_or_b32 exec_lo, exec_lo, s2
	s_delay_alu instid0(SALU_CYCLE_1)
	s_mov_b32 s4, exec_lo
	s_wait_dscnt 0x0
	s_barrier_signal -1
	s_barrier_wait -1
	v_cmpx_gt_u32_e32 4, v0
	s_cbranch_execz .LBB270_235
; %bb.230:
	v_lshlrev_b32_e32 v1, 4, v8
	s_add_co_i32 s3, s3, 31
	s_mov_b32 s5, exec_lo
	s_lshr_b32 s3, s3, 5
	ds_load_u8 v7, v1 offset:256
	ds_load_b64 v[2:3], v1 offset:264
	v_and_b32_e32 v1, 3, v8
	s_delay_alu instid0(VALU_DEP_1) | instskip(SKIP_2) | instid1(VALU_DEP_1)
	v_cmp_ne_u32_e32 vcc_lo, 3, v1
	v_add_nc_u32_e32 v9, 1, v1
	v_add_co_ci_u32_e64 v4, null, 0, v8, vcc_lo
	v_lshlrev_b32_e32 v5, 2, v4
	s_wait_dscnt 0x1
	v_and_b32_e32 v20, 0xff, v7
	s_wait_dscnt 0x0
	ds_bpermute_b32 v4, v5, v2
	ds_bpermute_b32 v8, v5, v20
	ds_bpermute_b32 v5, v5, v3
	v_cmpx_gt_u32_e64 s3, v9
	s_cbranch_execz .LBB270_232
; %bb.231:
	s_wait_dscnt 0x0
	v_min_i64 v[10:11], v[4:5], v[2:3]
	v_and_b32_e32 v7, 1, v7
	s_delay_alu instid0(VALU_DEP_1) | instskip(SKIP_3) | instid1(VALU_DEP_3)
	v_cmp_eq_u32_e32 vcc_lo, 1, v7
	v_bitop3_b32 v7, v20, 1, v8 bitop3:0x80
	v_and_b32_e32 v8, 0xff, v8
	v_cndmask_b32_e32 v2, v4, v2, vcc_lo
	v_cmp_eq_u32_e64 s2, 0, v7
	v_cndmask_b32_e32 v3, v5, v3, vcc_lo
	s_delay_alu instid0(VALU_DEP_4) | instskip(NEXT) | instid1(VALU_DEP_1)
	v_cndmask_b32_e64 v4, v8, 1, vcc_lo
	v_dual_cndmask_b32 v20, 1, v4, s2 :: v_dual_cndmask_b32 v2, v10, v2, s2
	s_delay_alu instid0(VALU_DEP_3)
	v_cndmask_b32_e64 v3, v11, v3, s2
.LBB270_232:
	s_or_b32 exec_lo, exec_lo, s5
	s_wait_dscnt 0x0
	v_dual_add_nc_u32 v1, 2, v1 :: v_dual_bitop2_b32 v5, 8, v6 bitop3:0x54
	ds_bpermute_b32 v6, v5, v20
	ds_bpermute_b32 v4, v5, v2
	ds_bpermute_b32 v5, v5, v3
	v_cmp_gt_u32_e32 vcc_lo, s3, v1
	s_and_saveexec_b32 s3, vcc_lo
	s_cbranch_execz .LBB270_234
; %bb.233:
	s_wait_dscnt 0x0
	v_min_i64 v[8:9], v[4:5], v[2:3]
	v_and_b32_e32 v1, 1, v20
	s_delay_alu instid0(VALU_DEP_1) | instskip(SKIP_2) | instid1(VALU_DEP_2)
	v_cmp_eq_u32_e32 vcc_lo, 1, v1
	v_bitop3_b32 v1, v20, 1, v6 bitop3:0x80
	v_cndmask_b32_e32 v2, v4, v2, vcc_lo
	v_cmp_eq_u32_e64 s2, 0, v1
	v_cndmask_b32_e32 v3, v5, v3, vcc_lo
	v_cndmask_b32_e64 v1, v6, 1, vcc_lo
	s_delay_alu instid0(VALU_DEP_1) | instskip(NEXT) | instid1(VALU_DEP_3)
	v_dual_cndmask_b32 v20, 1, v1, s2 :: v_dual_cndmask_b32 v2, v8, v2, s2
	v_cndmask_b32_e64 v3, v9, v3, s2
.LBB270_234:
	s_or_b32 exec_lo, exec_lo, s3
.LBB270_235:
	s_delay_alu instid0(SALU_CYCLE_1)
	s_or_b32 exec_lo, exec_lo, s4
	v_cmp_eq_u32_e64 s2, 0, v0
	s_and_saveexec_b32 s3, s2
	s_cbranch_execnz .LBB270_212
	s_branch .LBB270_213
	.section	.rodata,"a",@progbits
	.p2align	6, 0x0
	.amdhsa_kernel _ZN7rocprim17ROCPRIM_400000_NS6detail17trampoline_kernelINS0_14default_configENS1_22reduce_config_selectorIN6thrust23THRUST_200600_302600_NS5tupleIblNS6_9null_typeES8_S8_S8_S8_S8_S8_S8_EEEEZNS1_11reduce_implILb1ES3_NS6_12zip_iteratorINS7_INS6_11hip_rocprim26transform_input_iterator_tIbNSD_35transform_pair_of_input_iterators_tIbNS6_6detail15normal_iteratorINS6_10device_ptrIKiEEEESL_NS6_8equal_toIiEEEENSG_9not_fun_tINSD_8identityEEEEENSD_19counting_iterator_tIlEES8_S8_S8_S8_S8_S8_S8_S8_EEEEPS9_S9_NSD_9__find_if7functorIS9_EEEE10hipError_tPvRmT1_T2_T3_mT4_P12ihipStream_tbEUlT_E1_NS1_11comp_targetILNS1_3genE0ELNS1_11target_archE4294967295ELNS1_3gpuE0ELNS1_3repE0EEENS1_30default_config_static_selectorELNS0_4arch9wavefront6targetE0EEEvS14_
		.amdhsa_group_segment_fixed_size 320
		.amdhsa_private_segment_fixed_size 0
		.amdhsa_kernarg_size 88
		.amdhsa_user_sgpr_count 2
		.amdhsa_user_sgpr_dispatch_ptr 0
		.amdhsa_user_sgpr_queue_ptr 0
		.amdhsa_user_sgpr_kernarg_segment_ptr 1
		.amdhsa_user_sgpr_dispatch_id 0
		.amdhsa_user_sgpr_kernarg_preload_length 0
		.amdhsa_user_sgpr_kernarg_preload_offset 0
		.amdhsa_user_sgpr_private_segment_size 0
		.amdhsa_wavefront_size32 1
		.amdhsa_uses_dynamic_stack 0
		.amdhsa_enable_private_segment 0
		.amdhsa_system_sgpr_workgroup_id_x 1
		.amdhsa_system_sgpr_workgroup_id_y 0
		.amdhsa_system_sgpr_workgroup_id_z 0
		.amdhsa_system_sgpr_workgroup_info 0
		.amdhsa_system_vgpr_workitem_id 0
		.amdhsa_next_free_vgpr 28
		.amdhsa_next_free_sgpr 28
		.amdhsa_named_barrier_count 0
		.amdhsa_reserve_vcc 1
		.amdhsa_float_round_mode_32 0
		.amdhsa_float_round_mode_16_64 0
		.amdhsa_float_denorm_mode_32 3
		.amdhsa_float_denorm_mode_16_64 3
		.amdhsa_fp16_overflow 0
		.amdhsa_memory_ordered 1
		.amdhsa_forward_progress 1
		.amdhsa_inst_pref_size 104
		.amdhsa_round_robin_scheduling 0
		.amdhsa_exception_fp_ieee_invalid_op 0
		.amdhsa_exception_fp_denorm_src 0
		.amdhsa_exception_fp_ieee_div_zero 0
		.amdhsa_exception_fp_ieee_overflow 0
		.amdhsa_exception_fp_ieee_underflow 0
		.amdhsa_exception_fp_ieee_inexact 0
		.amdhsa_exception_int_div_zero 0
	.end_amdhsa_kernel
	.section	.text._ZN7rocprim17ROCPRIM_400000_NS6detail17trampoline_kernelINS0_14default_configENS1_22reduce_config_selectorIN6thrust23THRUST_200600_302600_NS5tupleIblNS6_9null_typeES8_S8_S8_S8_S8_S8_S8_EEEEZNS1_11reduce_implILb1ES3_NS6_12zip_iteratorINS7_INS6_11hip_rocprim26transform_input_iterator_tIbNSD_35transform_pair_of_input_iterators_tIbNS6_6detail15normal_iteratorINS6_10device_ptrIKiEEEESL_NS6_8equal_toIiEEEENSG_9not_fun_tINSD_8identityEEEEENSD_19counting_iterator_tIlEES8_S8_S8_S8_S8_S8_S8_S8_EEEEPS9_S9_NSD_9__find_if7functorIS9_EEEE10hipError_tPvRmT1_T2_T3_mT4_P12ihipStream_tbEUlT_E1_NS1_11comp_targetILNS1_3genE0ELNS1_11target_archE4294967295ELNS1_3gpuE0ELNS1_3repE0EEENS1_30default_config_static_selectorELNS0_4arch9wavefront6targetE0EEEvS14_,"axG",@progbits,_ZN7rocprim17ROCPRIM_400000_NS6detail17trampoline_kernelINS0_14default_configENS1_22reduce_config_selectorIN6thrust23THRUST_200600_302600_NS5tupleIblNS6_9null_typeES8_S8_S8_S8_S8_S8_S8_EEEEZNS1_11reduce_implILb1ES3_NS6_12zip_iteratorINS7_INS6_11hip_rocprim26transform_input_iterator_tIbNSD_35transform_pair_of_input_iterators_tIbNS6_6detail15normal_iteratorINS6_10device_ptrIKiEEEESL_NS6_8equal_toIiEEEENSG_9not_fun_tINSD_8identityEEEEENSD_19counting_iterator_tIlEES8_S8_S8_S8_S8_S8_S8_S8_EEEEPS9_S9_NSD_9__find_if7functorIS9_EEEE10hipError_tPvRmT1_T2_T3_mT4_P12ihipStream_tbEUlT_E1_NS1_11comp_targetILNS1_3genE0ELNS1_11target_archE4294967295ELNS1_3gpuE0ELNS1_3repE0EEENS1_30default_config_static_selectorELNS0_4arch9wavefront6targetE0EEEvS14_,comdat
.Lfunc_end270:
	.size	_ZN7rocprim17ROCPRIM_400000_NS6detail17trampoline_kernelINS0_14default_configENS1_22reduce_config_selectorIN6thrust23THRUST_200600_302600_NS5tupleIblNS6_9null_typeES8_S8_S8_S8_S8_S8_S8_EEEEZNS1_11reduce_implILb1ES3_NS6_12zip_iteratorINS7_INS6_11hip_rocprim26transform_input_iterator_tIbNSD_35transform_pair_of_input_iterators_tIbNS6_6detail15normal_iteratorINS6_10device_ptrIKiEEEESL_NS6_8equal_toIiEEEENSG_9not_fun_tINSD_8identityEEEEENSD_19counting_iterator_tIlEES8_S8_S8_S8_S8_S8_S8_S8_EEEEPS9_S9_NSD_9__find_if7functorIS9_EEEE10hipError_tPvRmT1_T2_T3_mT4_P12ihipStream_tbEUlT_E1_NS1_11comp_targetILNS1_3genE0ELNS1_11target_archE4294967295ELNS1_3gpuE0ELNS1_3repE0EEENS1_30default_config_static_selectorELNS0_4arch9wavefront6targetE0EEEvS14_, .Lfunc_end270-_ZN7rocprim17ROCPRIM_400000_NS6detail17trampoline_kernelINS0_14default_configENS1_22reduce_config_selectorIN6thrust23THRUST_200600_302600_NS5tupleIblNS6_9null_typeES8_S8_S8_S8_S8_S8_S8_EEEEZNS1_11reduce_implILb1ES3_NS6_12zip_iteratorINS7_INS6_11hip_rocprim26transform_input_iterator_tIbNSD_35transform_pair_of_input_iterators_tIbNS6_6detail15normal_iteratorINS6_10device_ptrIKiEEEESL_NS6_8equal_toIiEEEENSG_9not_fun_tINSD_8identityEEEEENSD_19counting_iterator_tIlEES8_S8_S8_S8_S8_S8_S8_S8_EEEEPS9_S9_NSD_9__find_if7functorIS9_EEEE10hipError_tPvRmT1_T2_T3_mT4_P12ihipStream_tbEUlT_E1_NS1_11comp_targetILNS1_3genE0ELNS1_11target_archE4294967295ELNS1_3gpuE0ELNS1_3repE0EEENS1_30default_config_static_selectorELNS0_4arch9wavefront6targetE0EEEvS14_
                                        ; -- End function
	.set _ZN7rocprim17ROCPRIM_400000_NS6detail17trampoline_kernelINS0_14default_configENS1_22reduce_config_selectorIN6thrust23THRUST_200600_302600_NS5tupleIblNS6_9null_typeES8_S8_S8_S8_S8_S8_S8_EEEEZNS1_11reduce_implILb1ES3_NS6_12zip_iteratorINS7_INS6_11hip_rocprim26transform_input_iterator_tIbNSD_35transform_pair_of_input_iterators_tIbNS6_6detail15normal_iteratorINS6_10device_ptrIKiEEEESL_NS6_8equal_toIiEEEENSG_9not_fun_tINSD_8identityEEEEENSD_19counting_iterator_tIlEES8_S8_S8_S8_S8_S8_S8_S8_EEEEPS9_S9_NSD_9__find_if7functorIS9_EEEE10hipError_tPvRmT1_T2_T3_mT4_P12ihipStream_tbEUlT_E1_NS1_11comp_targetILNS1_3genE0ELNS1_11target_archE4294967295ELNS1_3gpuE0ELNS1_3repE0EEENS1_30default_config_static_selectorELNS0_4arch9wavefront6targetE0EEEvS14_.num_vgpr, 28
	.set _ZN7rocprim17ROCPRIM_400000_NS6detail17trampoline_kernelINS0_14default_configENS1_22reduce_config_selectorIN6thrust23THRUST_200600_302600_NS5tupleIblNS6_9null_typeES8_S8_S8_S8_S8_S8_S8_EEEEZNS1_11reduce_implILb1ES3_NS6_12zip_iteratorINS7_INS6_11hip_rocprim26transform_input_iterator_tIbNSD_35transform_pair_of_input_iterators_tIbNS6_6detail15normal_iteratorINS6_10device_ptrIKiEEEESL_NS6_8equal_toIiEEEENSG_9not_fun_tINSD_8identityEEEEENSD_19counting_iterator_tIlEES8_S8_S8_S8_S8_S8_S8_S8_EEEEPS9_S9_NSD_9__find_if7functorIS9_EEEE10hipError_tPvRmT1_T2_T3_mT4_P12ihipStream_tbEUlT_E1_NS1_11comp_targetILNS1_3genE0ELNS1_11target_archE4294967295ELNS1_3gpuE0ELNS1_3repE0EEENS1_30default_config_static_selectorELNS0_4arch9wavefront6targetE0EEEvS14_.num_agpr, 0
	.set _ZN7rocprim17ROCPRIM_400000_NS6detail17trampoline_kernelINS0_14default_configENS1_22reduce_config_selectorIN6thrust23THRUST_200600_302600_NS5tupleIblNS6_9null_typeES8_S8_S8_S8_S8_S8_S8_EEEEZNS1_11reduce_implILb1ES3_NS6_12zip_iteratorINS7_INS6_11hip_rocprim26transform_input_iterator_tIbNSD_35transform_pair_of_input_iterators_tIbNS6_6detail15normal_iteratorINS6_10device_ptrIKiEEEESL_NS6_8equal_toIiEEEENSG_9not_fun_tINSD_8identityEEEEENSD_19counting_iterator_tIlEES8_S8_S8_S8_S8_S8_S8_S8_EEEEPS9_S9_NSD_9__find_if7functorIS9_EEEE10hipError_tPvRmT1_T2_T3_mT4_P12ihipStream_tbEUlT_E1_NS1_11comp_targetILNS1_3genE0ELNS1_11target_archE4294967295ELNS1_3gpuE0ELNS1_3repE0EEENS1_30default_config_static_selectorELNS0_4arch9wavefront6targetE0EEEvS14_.numbered_sgpr, 28
	.set _ZN7rocprim17ROCPRIM_400000_NS6detail17trampoline_kernelINS0_14default_configENS1_22reduce_config_selectorIN6thrust23THRUST_200600_302600_NS5tupleIblNS6_9null_typeES8_S8_S8_S8_S8_S8_S8_EEEEZNS1_11reduce_implILb1ES3_NS6_12zip_iteratorINS7_INS6_11hip_rocprim26transform_input_iterator_tIbNSD_35transform_pair_of_input_iterators_tIbNS6_6detail15normal_iteratorINS6_10device_ptrIKiEEEESL_NS6_8equal_toIiEEEENSG_9not_fun_tINSD_8identityEEEEENSD_19counting_iterator_tIlEES8_S8_S8_S8_S8_S8_S8_S8_EEEEPS9_S9_NSD_9__find_if7functorIS9_EEEE10hipError_tPvRmT1_T2_T3_mT4_P12ihipStream_tbEUlT_E1_NS1_11comp_targetILNS1_3genE0ELNS1_11target_archE4294967295ELNS1_3gpuE0ELNS1_3repE0EEENS1_30default_config_static_selectorELNS0_4arch9wavefront6targetE0EEEvS14_.num_named_barrier, 0
	.set _ZN7rocprim17ROCPRIM_400000_NS6detail17trampoline_kernelINS0_14default_configENS1_22reduce_config_selectorIN6thrust23THRUST_200600_302600_NS5tupleIblNS6_9null_typeES8_S8_S8_S8_S8_S8_S8_EEEEZNS1_11reduce_implILb1ES3_NS6_12zip_iteratorINS7_INS6_11hip_rocprim26transform_input_iterator_tIbNSD_35transform_pair_of_input_iterators_tIbNS6_6detail15normal_iteratorINS6_10device_ptrIKiEEEESL_NS6_8equal_toIiEEEENSG_9not_fun_tINSD_8identityEEEEENSD_19counting_iterator_tIlEES8_S8_S8_S8_S8_S8_S8_S8_EEEEPS9_S9_NSD_9__find_if7functorIS9_EEEE10hipError_tPvRmT1_T2_T3_mT4_P12ihipStream_tbEUlT_E1_NS1_11comp_targetILNS1_3genE0ELNS1_11target_archE4294967295ELNS1_3gpuE0ELNS1_3repE0EEENS1_30default_config_static_selectorELNS0_4arch9wavefront6targetE0EEEvS14_.private_seg_size, 0
	.set _ZN7rocprim17ROCPRIM_400000_NS6detail17trampoline_kernelINS0_14default_configENS1_22reduce_config_selectorIN6thrust23THRUST_200600_302600_NS5tupleIblNS6_9null_typeES8_S8_S8_S8_S8_S8_S8_EEEEZNS1_11reduce_implILb1ES3_NS6_12zip_iteratorINS7_INS6_11hip_rocprim26transform_input_iterator_tIbNSD_35transform_pair_of_input_iterators_tIbNS6_6detail15normal_iteratorINS6_10device_ptrIKiEEEESL_NS6_8equal_toIiEEEENSG_9not_fun_tINSD_8identityEEEEENSD_19counting_iterator_tIlEES8_S8_S8_S8_S8_S8_S8_S8_EEEEPS9_S9_NSD_9__find_if7functorIS9_EEEE10hipError_tPvRmT1_T2_T3_mT4_P12ihipStream_tbEUlT_E1_NS1_11comp_targetILNS1_3genE0ELNS1_11target_archE4294967295ELNS1_3gpuE0ELNS1_3repE0EEENS1_30default_config_static_selectorELNS0_4arch9wavefront6targetE0EEEvS14_.uses_vcc, 1
	.set _ZN7rocprim17ROCPRIM_400000_NS6detail17trampoline_kernelINS0_14default_configENS1_22reduce_config_selectorIN6thrust23THRUST_200600_302600_NS5tupleIblNS6_9null_typeES8_S8_S8_S8_S8_S8_S8_EEEEZNS1_11reduce_implILb1ES3_NS6_12zip_iteratorINS7_INS6_11hip_rocprim26transform_input_iterator_tIbNSD_35transform_pair_of_input_iterators_tIbNS6_6detail15normal_iteratorINS6_10device_ptrIKiEEEESL_NS6_8equal_toIiEEEENSG_9not_fun_tINSD_8identityEEEEENSD_19counting_iterator_tIlEES8_S8_S8_S8_S8_S8_S8_S8_EEEEPS9_S9_NSD_9__find_if7functorIS9_EEEE10hipError_tPvRmT1_T2_T3_mT4_P12ihipStream_tbEUlT_E1_NS1_11comp_targetILNS1_3genE0ELNS1_11target_archE4294967295ELNS1_3gpuE0ELNS1_3repE0EEENS1_30default_config_static_selectorELNS0_4arch9wavefront6targetE0EEEvS14_.uses_flat_scratch, 0
	.set _ZN7rocprim17ROCPRIM_400000_NS6detail17trampoline_kernelINS0_14default_configENS1_22reduce_config_selectorIN6thrust23THRUST_200600_302600_NS5tupleIblNS6_9null_typeES8_S8_S8_S8_S8_S8_S8_EEEEZNS1_11reduce_implILb1ES3_NS6_12zip_iteratorINS7_INS6_11hip_rocprim26transform_input_iterator_tIbNSD_35transform_pair_of_input_iterators_tIbNS6_6detail15normal_iteratorINS6_10device_ptrIKiEEEESL_NS6_8equal_toIiEEEENSG_9not_fun_tINSD_8identityEEEEENSD_19counting_iterator_tIlEES8_S8_S8_S8_S8_S8_S8_S8_EEEEPS9_S9_NSD_9__find_if7functorIS9_EEEE10hipError_tPvRmT1_T2_T3_mT4_P12ihipStream_tbEUlT_E1_NS1_11comp_targetILNS1_3genE0ELNS1_11target_archE4294967295ELNS1_3gpuE0ELNS1_3repE0EEENS1_30default_config_static_selectorELNS0_4arch9wavefront6targetE0EEEvS14_.has_dyn_sized_stack, 0
	.set _ZN7rocprim17ROCPRIM_400000_NS6detail17trampoline_kernelINS0_14default_configENS1_22reduce_config_selectorIN6thrust23THRUST_200600_302600_NS5tupleIblNS6_9null_typeES8_S8_S8_S8_S8_S8_S8_EEEEZNS1_11reduce_implILb1ES3_NS6_12zip_iteratorINS7_INS6_11hip_rocprim26transform_input_iterator_tIbNSD_35transform_pair_of_input_iterators_tIbNS6_6detail15normal_iteratorINS6_10device_ptrIKiEEEESL_NS6_8equal_toIiEEEENSG_9not_fun_tINSD_8identityEEEEENSD_19counting_iterator_tIlEES8_S8_S8_S8_S8_S8_S8_S8_EEEEPS9_S9_NSD_9__find_if7functorIS9_EEEE10hipError_tPvRmT1_T2_T3_mT4_P12ihipStream_tbEUlT_E1_NS1_11comp_targetILNS1_3genE0ELNS1_11target_archE4294967295ELNS1_3gpuE0ELNS1_3repE0EEENS1_30default_config_static_selectorELNS0_4arch9wavefront6targetE0EEEvS14_.has_recursion, 0
	.set _ZN7rocprim17ROCPRIM_400000_NS6detail17trampoline_kernelINS0_14default_configENS1_22reduce_config_selectorIN6thrust23THRUST_200600_302600_NS5tupleIblNS6_9null_typeES8_S8_S8_S8_S8_S8_S8_EEEEZNS1_11reduce_implILb1ES3_NS6_12zip_iteratorINS7_INS6_11hip_rocprim26transform_input_iterator_tIbNSD_35transform_pair_of_input_iterators_tIbNS6_6detail15normal_iteratorINS6_10device_ptrIKiEEEESL_NS6_8equal_toIiEEEENSG_9not_fun_tINSD_8identityEEEEENSD_19counting_iterator_tIlEES8_S8_S8_S8_S8_S8_S8_S8_EEEEPS9_S9_NSD_9__find_if7functorIS9_EEEE10hipError_tPvRmT1_T2_T3_mT4_P12ihipStream_tbEUlT_E1_NS1_11comp_targetILNS1_3genE0ELNS1_11target_archE4294967295ELNS1_3gpuE0ELNS1_3repE0EEENS1_30default_config_static_selectorELNS0_4arch9wavefront6targetE0EEEvS14_.has_indirect_call, 0
	.section	.AMDGPU.csdata,"",@progbits
; Kernel info:
; codeLenInByte = 13312
; TotalNumSgprs: 30
; NumVgprs: 28
; ScratchSize: 0
; MemoryBound: 0
; FloatMode: 240
; IeeeMode: 1
; LDSByteSize: 320 bytes/workgroup (compile time only)
; SGPRBlocks: 0
; VGPRBlocks: 1
; NumSGPRsForWavesPerEU: 30
; NumVGPRsForWavesPerEU: 28
; NamedBarCnt: 0
; Occupancy: 16
; WaveLimiterHint : 0
; COMPUTE_PGM_RSRC2:SCRATCH_EN: 0
; COMPUTE_PGM_RSRC2:USER_SGPR: 2
; COMPUTE_PGM_RSRC2:TRAP_HANDLER: 0
; COMPUTE_PGM_RSRC2:TGID_X_EN: 1
; COMPUTE_PGM_RSRC2:TGID_Y_EN: 0
; COMPUTE_PGM_RSRC2:TGID_Z_EN: 0
; COMPUTE_PGM_RSRC2:TIDIG_COMP_CNT: 0
	.section	.text._ZN7rocprim17ROCPRIM_400000_NS6detail17trampoline_kernelINS0_14default_configENS1_22reduce_config_selectorIN6thrust23THRUST_200600_302600_NS5tupleIblNS6_9null_typeES8_S8_S8_S8_S8_S8_S8_EEEEZNS1_11reduce_implILb1ES3_NS6_12zip_iteratorINS7_INS6_11hip_rocprim26transform_input_iterator_tIbNSD_35transform_pair_of_input_iterators_tIbNS6_6detail15normal_iteratorINS6_10device_ptrIKiEEEESL_NS6_8equal_toIiEEEENSG_9not_fun_tINSD_8identityEEEEENSD_19counting_iterator_tIlEES8_S8_S8_S8_S8_S8_S8_S8_EEEEPS9_S9_NSD_9__find_if7functorIS9_EEEE10hipError_tPvRmT1_T2_T3_mT4_P12ihipStream_tbEUlT_E1_NS1_11comp_targetILNS1_3genE5ELNS1_11target_archE942ELNS1_3gpuE9ELNS1_3repE0EEENS1_30default_config_static_selectorELNS0_4arch9wavefront6targetE0EEEvS14_,"axG",@progbits,_ZN7rocprim17ROCPRIM_400000_NS6detail17trampoline_kernelINS0_14default_configENS1_22reduce_config_selectorIN6thrust23THRUST_200600_302600_NS5tupleIblNS6_9null_typeES8_S8_S8_S8_S8_S8_S8_EEEEZNS1_11reduce_implILb1ES3_NS6_12zip_iteratorINS7_INS6_11hip_rocprim26transform_input_iterator_tIbNSD_35transform_pair_of_input_iterators_tIbNS6_6detail15normal_iteratorINS6_10device_ptrIKiEEEESL_NS6_8equal_toIiEEEENSG_9not_fun_tINSD_8identityEEEEENSD_19counting_iterator_tIlEES8_S8_S8_S8_S8_S8_S8_S8_EEEEPS9_S9_NSD_9__find_if7functorIS9_EEEE10hipError_tPvRmT1_T2_T3_mT4_P12ihipStream_tbEUlT_E1_NS1_11comp_targetILNS1_3genE5ELNS1_11target_archE942ELNS1_3gpuE9ELNS1_3repE0EEENS1_30default_config_static_selectorELNS0_4arch9wavefront6targetE0EEEvS14_,comdat
	.protected	_ZN7rocprim17ROCPRIM_400000_NS6detail17trampoline_kernelINS0_14default_configENS1_22reduce_config_selectorIN6thrust23THRUST_200600_302600_NS5tupleIblNS6_9null_typeES8_S8_S8_S8_S8_S8_S8_EEEEZNS1_11reduce_implILb1ES3_NS6_12zip_iteratorINS7_INS6_11hip_rocprim26transform_input_iterator_tIbNSD_35transform_pair_of_input_iterators_tIbNS6_6detail15normal_iteratorINS6_10device_ptrIKiEEEESL_NS6_8equal_toIiEEEENSG_9not_fun_tINSD_8identityEEEEENSD_19counting_iterator_tIlEES8_S8_S8_S8_S8_S8_S8_S8_EEEEPS9_S9_NSD_9__find_if7functorIS9_EEEE10hipError_tPvRmT1_T2_T3_mT4_P12ihipStream_tbEUlT_E1_NS1_11comp_targetILNS1_3genE5ELNS1_11target_archE942ELNS1_3gpuE9ELNS1_3repE0EEENS1_30default_config_static_selectorELNS0_4arch9wavefront6targetE0EEEvS14_ ; -- Begin function _ZN7rocprim17ROCPRIM_400000_NS6detail17trampoline_kernelINS0_14default_configENS1_22reduce_config_selectorIN6thrust23THRUST_200600_302600_NS5tupleIblNS6_9null_typeES8_S8_S8_S8_S8_S8_S8_EEEEZNS1_11reduce_implILb1ES3_NS6_12zip_iteratorINS7_INS6_11hip_rocprim26transform_input_iterator_tIbNSD_35transform_pair_of_input_iterators_tIbNS6_6detail15normal_iteratorINS6_10device_ptrIKiEEEESL_NS6_8equal_toIiEEEENSG_9not_fun_tINSD_8identityEEEEENSD_19counting_iterator_tIlEES8_S8_S8_S8_S8_S8_S8_S8_EEEEPS9_S9_NSD_9__find_if7functorIS9_EEEE10hipError_tPvRmT1_T2_T3_mT4_P12ihipStream_tbEUlT_E1_NS1_11comp_targetILNS1_3genE5ELNS1_11target_archE942ELNS1_3gpuE9ELNS1_3repE0EEENS1_30default_config_static_selectorELNS0_4arch9wavefront6targetE0EEEvS14_
	.globl	_ZN7rocprim17ROCPRIM_400000_NS6detail17trampoline_kernelINS0_14default_configENS1_22reduce_config_selectorIN6thrust23THRUST_200600_302600_NS5tupleIblNS6_9null_typeES8_S8_S8_S8_S8_S8_S8_EEEEZNS1_11reduce_implILb1ES3_NS6_12zip_iteratorINS7_INS6_11hip_rocprim26transform_input_iterator_tIbNSD_35transform_pair_of_input_iterators_tIbNS6_6detail15normal_iteratorINS6_10device_ptrIKiEEEESL_NS6_8equal_toIiEEEENSG_9not_fun_tINSD_8identityEEEEENSD_19counting_iterator_tIlEES8_S8_S8_S8_S8_S8_S8_S8_EEEEPS9_S9_NSD_9__find_if7functorIS9_EEEE10hipError_tPvRmT1_T2_T3_mT4_P12ihipStream_tbEUlT_E1_NS1_11comp_targetILNS1_3genE5ELNS1_11target_archE942ELNS1_3gpuE9ELNS1_3repE0EEENS1_30default_config_static_selectorELNS0_4arch9wavefront6targetE0EEEvS14_
	.p2align	8
	.type	_ZN7rocprim17ROCPRIM_400000_NS6detail17trampoline_kernelINS0_14default_configENS1_22reduce_config_selectorIN6thrust23THRUST_200600_302600_NS5tupleIblNS6_9null_typeES8_S8_S8_S8_S8_S8_S8_EEEEZNS1_11reduce_implILb1ES3_NS6_12zip_iteratorINS7_INS6_11hip_rocprim26transform_input_iterator_tIbNSD_35transform_pair_of_input_iterators_tIbNS6_6detail15normal_iteratorINS6_10device_ptrIKiEEEESL_NS6_8equal_toIiEEEENSG_9not_fun_tINSD_8identityEEEEENSD_19counting_iterator_tIlEES8_S8_S8_S8_S8_S8_S8_S8_EEEEPS9_S9_NSD_9__find_if7functorIS9_EEEE10hipError_tPvRmT1_T2_T3_mT4_P12ihipStream_tbEUlT_E1_NS1_11comp_targetILNS1_3genE5ELNS1_11target_archE942ELNS1_3gpuE9ELNS1_3repE0EEENS1_30default_config_static_selectorELNS0_4arch9wavefront6targetE0EEEvS14_,@function
_ZN7rocprim17ROCPRIM_400000_NS6detail17trampoline_kernelINS0_14default_configENS1_22reduce_config_selectorIN6thrust23THRUST_200600_302600_NS5tupleIblNS6_9null_typeES8_S8_S8_S8_S8_S8_S8_EEEEZNS1_11reduce_implILb1ES3_NS6_12zip_iteratorINS7_INS6_11hip_rocprim26transform_input_iterator_tIbNSD_35transform_pair_of_input_iterators_tIbNS6_6detail15normal_iteratorINS6_10device_ptrIKiEEEESL_NS6_8equal_toIiEEEENSG_9not_fun_tINSD_8identityEEEEENSD_19counting_iterator_tIlEES8_S8_S8_S8_S8_S8_S8_S8_EEEEPS9_S9_NSD_9__find_if7functorIS9_EEEE10hipError_tPvRmT1_T2_T3_mT4_P12ihipStream_tbEUlT_E1_NS1_11comp_targetILNS1_3genE5ELNS1_11target_archE942ELNS1_3gpuE9ELNS1_3repE0EEENS1_30default_config_static_selectorELNS0_4arch9wavefront6targetE0EEEvS14_: ; @_ZN7rocprim17ROCPRIM_400000_NS6detail17trampoline_kernelINS0_14default_configENS1_22reduce_config_selectorIN6thrust23THRUST_200600_302600_NS5tupleIblNS6_9null_typeES8_S8_S8_S8_S8_S8_S8_EEEEZNS1_11reduce_implILb1ES3_NS6_12zip_iteratorINS7_INS6_11hip_rocprim26transform_input_iterator_tIbNSD_35transform_pair_of_input_iterators_tIbNS6_6detail15normal_iteratorINS6_10device_ptrIKiEEEESL_NS6_8equal_toIiEEEENSG_9not_fun_tINSD_8identityEEEEENSD_19counting_iterator_tIlEES8_S8_S8_S8_S8_S8_S8_S8_EEEEPS9_S9_NSD_9__find_if7functorIS9_EEEE10hipError_tPvRmT1_T2_T3_mT4_P12ihipStream_tbEUlT_E1_NS1_11comp_targetILNS1_3genE5ELNS1_11target_archE942ELNS1_3gpuE9ELNS1_3repE0EEENS1_30default_config_static_selectorELNS0_4arch9wavefront6targetE0EEEvS14_
; %bb.0:
	.section	.rodata,"a",@progbits
	.p2align	6, 0x0
	.amdhsa_kernel _ZN7rocprim17ROCPRIM_400000_NS6detail17trampoline_kernelINS0_14default_configENS1_22reduce_config_selectorIN6thrust23THRUST_200600_302600_NS5tupleIblNS6_9null_typeES8_S8_S8_S8_S8_S8_S8_EEEEZNS1_11reduce_implILb1ES3_NS6_12zip_iteratorINS7_INS6_11hip_rocprim26transform_input_iterator_tIbNSD_35transform_pair_of_input_iterators_tIbNS6_6detail15normal_iteratorINS6_10device_ptrIKiEEEESL_NS6_8equal_toIiEEEENSG_9not_fun_tINSD_8identityEEEEENSD_19counting_iterator_tIlEES8_S8_S8_S8_S8_S8_S8_S8_EEEEPS9_S9_NSD_9__find_if7functorIS9_EEEE10hipError_tPvRmT1_T2_T3_mT4_P12ihipStream_tbEUlT_E1_NS1_11comp_targetILNS1_3genE5ELNS1_11target_archE942ELNS1_3gpuE9ELNS1_3repE0EEENS1_30default_config_static_selectorELNS0_4arch9wavefront6targetE0EEEvS14_
		.amdhsa_group_segment_fixed_size 0
		.amdhsa_private_segment_fixed_size 0
		.amdhsa_kernarg_size 88
		.amdhsa_user_sgpr_count 2
		.amdhsa_user_sgpr_dispatch_ptr 0
		.amdhsa_user_sgpr_queue_ptr 0
		.amdhsa_user_sgpr_kernarg_segment_ptr 1
		.amdhsa_user_sgpr_dispatch_id 0
		.amdhsa_user_sgpr_kernarg_preload_length 0
		.amdhsa_user_sgpr_kernarg_preload_offset 0
		.amdhsa_user_sgpr_private_segment_size 0
		.amdhsa_wavefront_size32 1
		.amdhsa_uses_dynamic_stack 0
		.amdhsa_enable_private_segment 0
		.amdhsa_system_sgpr_workgroup_id_x 1
		.amdhsa_system_sgpr_workgroup_id_y 0
		.amdhsa_system_sgpr_workgroup_id_z 0
		.amdhsa_system_sgpr_workgroup_info 0
		.amdhsa_system_vgpr_workitem_id 0
		.amdhsa_next_free_vgpr 1
		.amdhsa_next_free_sgpr 1
		.amdhsa_named_barrier_count 0
		.amdhsa_reserve_vcc 0
		.amdhsa_float_round_mode_32 0
		.amdhsa_float_round_mode_16_64 0
		.amdhsa_float_denorm_mode_32 3
		.amdhsa_float_denorm_mode_16_64 3
		.amdhsa_fp16_overflow 0
		.amdhsa_memory_ordered 1
		.amdhsa_forward_progress 1
		.amdhsa_inst_pref_size 0
		.amdhsa_round_robin_scheduling 0
		.amdhsa_exception_fp_ieee_invalid_op 0
		.amdhsa_exception_fp_denorm_src 0
		.amdhsa_exception_fp_ieee_div_zero 0
		.amdhsa_exception_fp_ieee_overflow 0
		.amdhsa_exception_fp_ieee_underflow 0
		.amdhsa_exception_fp_ieee_inexact 0
		.amdhsa_exception_int_div_zero 0
	.end_amdhsa_kernel
	.section	.text._ZN7rocprim17ROCPRIM_400000_NS6detail17trampoline_kernelINS0_14default_configENS1_22reduce_config_selectorIN6thrust23THRUST_200600_302600_NS5tupleIblNS6_9null_typeES8_S8_S8_S8_S8_S8_S8_EEEEZNS1_11reduce_implILb1ES3_NS6_12zip_iteratorINS7_INS6_11hip_rocprim26transform_input_iterator_tIbNSD_35transform_pair_of_input_iterators_tIbNS6_6detail15normal_iteratorINS6_10device_ptrIKiEEEESL_NS6_8equal_toIiEEEENSG_9not_fun_tINSD_8identityEEEEENSD_19counting_iterator_tIlEES8_S8_S8_S8_S8_S8_S8_S8_EEEEPS9_S9_NSD_9__find_if7functorIS9_EEEE10hipError_tPvRmT1_T2_T3_mT4_P12ihipStream_tbEUlT_E1_NS1_11comp_targetILNS1_3genE5ELNS1_11target_archE942ELNS1_3gpuE9ELNS1_3repE0EEENS1_30default_config_static_selectorELNS0_4arch9wavefront6targetE0EEEvS14_,"axG",@progbits,_ZN7rocprim17ROCPRIM_400000_NS6detail17trampoline_kernelINS0_14default_configENS1_22reduce_config_selectorIN6thrust23THRUST_200600_302600_NS5tupleIblNS6_9null_typeES8_S8_S8_S8_S8_S8_S8_EEEEZNS1_11reduce_implILb1ES3_NS6_12zip_iteratorINS7_INS6_11hip_rocprim26transform_input_iterator_tIbNSD_35transform_pair_of_input_iterators_tIbNS6_6detail15normal_iteratorINS6_10device_ptrIKiEEEESL_NS6_8equal_toIiEEEENSG_9not_fun_tINSD_8identityEEEEENSD_19counting_iterator_tIlEES8_S8_S8_S8_S8_S8_S8_S8_EEEEPS9_S9_NSD_9__find_if7functorIS9_EEEE10hipError_tPvRmT1_T2_T3_mT4_P12ihipStream_tbEUlT_E1_NS1_11comp_targetILNS1_3genE5ELNS1_11target_archE942ELNS1_3gpuE9ELNS1_3repE0EEENS1_30default_config_static_selectorELNS0_4arch9wavefront6targetE0EEEvS14_,comdat
.Lfunc_end271:
	.size	_ZN7rocprim17ROCPRIM_400000_NS6detail17trampoline_kernelINS0_14default_configENS1_22reduce_config_selectorIN6thrust23THRUST_200600_302600_NS5tupleIblNS6_9null_typeES8_S8_S8_S8_S8_S8_S8_EEEEZNS1_11reduce_implILb1ES3_NS6_12zip_iteratorINS7_INS6_11hip_rocprim26transform_input_iterator_tIbNSD_35transform_pair_of_input_iterators_tIbNS6_6detail15normal_iteratorINS6_10device_ptrIKiEEEESL_NS6_8equal_toIiEEEENSG_9not_fun_tINSD_8identityEEEEENSD_19counting_iterator_tIlEES8_S8_S8_S8_S8_S8_S8_S8_EEEEPS9_S9_NSD_9__find_if7functorIS9_EEEE10hipError_tPvRmT1_T2_T3_mT4_P12ihipStream_tbEUlT_E1_NS1_11comp_targetILNS1_3genE5ELNS1_11target_archE942ELNS1_3gpuE9ELNS1_3repE0EEENS1_30default_config_static_selectorELNS0_4arch9wavefront6targetE0EEEvS14_, .Lfunc_end271-_ZN7rocprim17ROCPRIM_400000_NS6detail17trampoline_kernelINS0_14default_configENS1_22reduce_config_selectorIN6thrust23THRUST_200600_302600_NS5tupleIblNS6_9null_typeES8_S8_S8_S8_S8_S8_S8_EEEEZNS1_11reduce_implILb1ES3_NS6_12zip_iteratorINS7_INS6_11hip_rocprim26transform_input_iterator_tIbNSD_35transform_pair_of_input_iterators_tIbNS6_6detail15normal_iteratorINS6_10device_ptrIKiEEEESL_NS6_8equal_toIiEEEENSG_9not_fun_tINSD_8identityEEEEENSD_19counting_iterator_tIlEES8_S8_S8_S8_S8_S8_S8_S8_EEEEPS9_S9_NSD_9__find_if7functorIS9_EEEE10hipError_tPvRmT1_T2_T3_mT4_P12ihipStream_tbEUlT_E1_NS1_11comp_targetILNS1_3genE5ELNS1_11target_archE942ELNS1_3gpuE9ELNS1_3repE0EEENS1_30default_config_static_selectorELNS0_4arch9wavefront6targetE0EEEvS14_
                                        ; -- End function
	.set _ZN7rocprim17ROCPRIM_400000_NS6detail17trampoline_kernelINS0_14default_configENS1_22reduce_config_selectorIN6thrust23THRUST_200600_302600_NS5tupleIblNS6_9null_typeES8_S8_S8_S8_S8_S8_S8_EEEEZNS1_11reduce_implILb1ES3_NS6_12zip_iteratorINS7_INS6_11hip_rocprim26transform_input_iterator_tIbNSD_35transform_pair_of_input_iterators_tIbNS6_6detail15normal_iteratorINS6_10device_ptrIKiEEEESL_NS6_8equal_toIiEEEENSG_9not_fun_tINSD_8identityEEEEENSD_19counting_iterator_tIlEES8_S8_S8_S8_S8_S8_S8_S8_EEEEPS9_S9_NSD_9__find_if7functorIS9_EEEE10hipError_tPvRmT1_T2_T3_mT4_P12ihipStream_tbEUlT_E1_NS1_11comp_targetILNS1_3genE5ELNS1_11target_archE942ELNS1_3gpuE9ELNS1_3repE0EEENS1_30default_config_static_selectorELNS0_4arch9wavefront6targetE0EEEvS14_.num_vgpr, 0
	.set _ZN7rocprim17ROCPRIM_400000_NS6detail17trampoline_kernelINS0_14default_configENS1_22reduce_config_selectorIN6thrust23THRUST_200600_302600_NS5tupleIblNS6_9null_typeES8_S8_S8_S8_S8_S8_S8_EEEEZNS1_11reduce_implILb1ES3_NS6_12zip_iteratorINS7_INS6_11hip_rocprim26transform_input_iterator_tIbNSD_35transform_pair_of_input_iterators_tIbNS6_6detail15normal_iteratorINS6_10device_ptrIKiEEEESL_NS6_8equal_toIiEEEENSG_9not_fun_tINSD_8identityEEEEENSD_19counting_iterator_tIlEES8_S8_S8_S8_S8_S8_S8_S8_EEEEPS9_S9_NSD_9__find_if7functorIS9_EEEE10hipError_tPvRmT1_T2_T3_mT4_P12ihipStream_tbEUlT_E1_NS1_11comp_targetILNS1_3genE5ELNS1_11target_archE942ELNS1_3gpuE9ELNS1_3repE0EEENS1_30default_config_static_selectorELNS0_4arch9wavefront6targetE0EEEvS14_.num_agpr, 0
	.set _ZN7rocprim17ROCPRIM_400000_NS6detail17trampoline_kernelINS0_14default_configENS1_22reduce_config_selectorIN6thrust23THRUST_200600_302600_NS5tupleIblNS6_9null_typeES8_S8_S8_S8_S8_S8_S8_EEEEZNS1_11reduce_implILb1ES3_NS6_12zip_iteratorINS7_INS6_11hip_rocprim26transform_input_iterator_tIbNSD_35transform_pair_of_input_iterators_tIbNS6_6detail15normal_iteratorINS6_10device_ptrIKiEEEESL_NS6_8equal_toIiEEEENSG_9not_fun_tINSD_8identityEEEEENSD_19counting_iterator_tIlEES8_S8_S8_S8_S8_S8_S8_S8_EEEEPS9_S9_NSD_9__find_if7functorIS9_EEEE10hipError_tPvRmT1_T2_T3_mT4_P12ihipStream_tbEUlT_E1_NS1_11comp_targetILNS1_3genE5ELNS1_11target_archE942ELNS1_3gpuE9ELNS1_3repE0EEENS1_30default_config_static_selectorELNS0_4arch9wavefront6targetE0EEEvS14_.numbered_sgpr, 0
	.set _ZN7rocprim17ROCPRIM_400000_NS6detail17trampoline_kernelINS0_14default_configENS1_22reduce_config_selectorIN6thrust23THRUST_200600_302600_NS5tupleIblNS6_9null_typeES8_S8_S8_S8_S8_S8_S8_EEEEZNS1_11reduce_implILb1ES3_NS6_12zip_iteratorINS7_INS6_11hip_rocprim26transform_input_iterator_tIbNSD_35transform_pair_of_input_iterators_tIbNS6_6detail15normal_iteratorINS6_10device_ptrIKiEEEESL_NS6_8equal_toIiEEEENSG_9not_fun_tINSD_8identityEEEEENSD_19counting_iterator_tIlEES8_S8_S8_S8_S8_S8_S8_S8_EEEEPS9_S9_NSD_9__find_if7functorIS9_EEEE10hipError_tPvRmT1_T2_T3_mT4_P12ihipStream_tbEUlT_E1_NS1_11comp_targetILNS1_3genE5ELNS1_11target_archE942ELNS1_3gpuE9ELNS1_3repE0EEENS1_30default_config_static_selectorELNS0_4arch9wavefront6targetE0EEEvS14_.num_named_barrier, 0
	.set _ZN7rocprim17ROCPRIM_400000_NS6detail17trampoline_kernelINS0_14default_configENS1_22reduce_config_selectorIN6thrust23THRUST_200600_302600_NS5tupleIblNS6_9null_typeES8_S8_S8_S8_S8_S8_S8_EEEEZNS1_11reduce_implILb1ES3_NS6_12zip_iteratorINS7_INS6_11hip_rocprim26transform_input_iterator_tIbNSD_35transform_pair_of_input_iterators_tIbNS6_6detail15normal_iteratorINS6_10device_ptrIKiEEEESL_NS6_8equal_toIiEEEENSG_9not_fun_tINSD_8identityEEEEENSD_19counting_iterator_tIlEES8_S8_S8_S8_S8_S8_S8_S8_EEEEPS9_S9_NSD_9__find_if7functorIS9_EEEE10hipError_tPvRmT1_T2_T3_mT4_P12ihipStream_tbEUlT_E1_NS1_11comp_targetILNS1_3genE5ELNS1_11target_archE942ELNS1_3gpuE9ELNS1_3repE0EEENS1_30default_config_static_selectorELNS0_4arch9wavefront6targetE0EEEvS14_.private_seg_size, 0
	.set _ZN7rocprim17ROCPRIM_400000_NS6detail17trampoline_kernelINS0_14default_configENS1_22reduce_config_selectorIN6thrust23THRUST_200600_302600_NS5tupleIblNS6_9null_typeES8_S8_S8_S8_S8_S8_S8_EEEEZNS1_11reduce_implILb1ES3_NS6_12zip_iteratorINS7_INS6_11hip_rocprim26transform_input_iterator_tIbNSD_35transform_pair_of_input_iterators_tIbNS6_6detail15normal_iteratorINS6_10device_ptrIKiEEEESL_NS6_8equal_toIiEEEENSG_9not_fun_tINSD_8identityEEEEENSD_19counting_iterator_tIlEES8_S8_S8_S8_S8_S8_S8_S8_EEEEPS9_S9_NSD_9__find_if7functorIS9_EEEE10hipError_tPvRmT1_T2_T3_mT4_P12ihipStream_tbEUlT_E1_NS1_11comp_targetILNS1_3genE5ELNS1_11target_archE942ELNS1_3gpuE9ELNS1_3repE0EEENS1_30default_config_static_selectorELNS0_4arch9wavefront6targetE0EEEvS14_.uses_vcc, 0
	.set _ZN7rocprim17ROCPRIM_400000_NS6detail17trampoline_kernelINS0_14default_configENS1_22reduce_config_selectorIN6thrust23THRUST_200600_302600_NS5tupleIblNS6_9null_typeES8_S8_S8_S8_S8_S8_S8_EEEEZNS1_11reduce_implILb1ES3_NS6_12zip_iteratorINS7_INS6_11hip_rocprim26transform_input_iterator_tIbNSD_35transform_pair_of_input_iterators_tIbNS6_6detail15normal_iteratorINS6_10device_ptrIKiEEEESL_NS6_8equal_toIiEEEENSG_9not_fun_tINSD_8identityEEEEENSD_19counting_iterator_tIlEES8_S8_S8_S8_S8_S8_S8_S8_EEEEPS9_S9_NSD_9__find_if7functorIS9_EEEE10hipError_tPvRmT1_T2_T3_mT4_P12ihipStream_tbEUlT_E1_NS1_11comp_targetILNS1_3genE5ELNS1_11target_archE942ELNS1_3gpuE9ELNS1_3repE0EEENS1_30default_config_static_selectorELNS0_4arch9wavefront6targetE0EEEvS14_.uses_flat_scratch, 0
	.set _ZN7rocprim17ROCPRIM_400000_NS6detail17trampoline_kernelINS0_14default_configENS1_22reduce_config_selectorIN6thrust23THRUST_200600_302600_NS5tupleIblNS6_9null_typeES8_S8_S8_S8_S8_S8_S8_EEEEZNS1_11reduce_implILb1ES3_NS6_12zip_iteratorINS7_INS6_11hip_rocprim26transform_input_iterator_tIbNSD_35transform_pair_of_input_iterators_tIbNS6_6detail15normal_iteratorINS6_10device_ptrIKiEEEESL_NS6_8equal_toIiEEEENSG_9not_fun_tINSD_8identityEEEEENSD_19counting_iterator_tIlEES8_S8_S8_S8_S8_S8_S8_S8_EEEEPS9_S9_NSD_9__find_if7functorIS9_EEEE10hipError_tPvRmT1_T2_T3_mT4_P12ihipStream_tbEUlT_E1_NS1_11comp_targetILNS1_3genE5ELNS1_11target_archE942ELNS1_3gpuE9ELNS1_3repE0EEENS1_30default_config_static_selectorELNS0_4arch9wavefront6targetE0EEEvS14_.has_dyn_sized_stack, 0
	.set _ZN7rocprim17ROCPRIM_400000_NS6detail17trampoline_kernelINS0_14default_configENS1_22reduce_config_selectorIN6thrust23THRUST_200600_302600_NS5tupleIblNS6_9null_typeES8_S8_S8_S8_S8_S8_S8_EEEEZNS1_11reduce_implILb1ES3_NS6_12zip_iteratorINS7_INS6_11hip_rocprim26transform_input_iterator_tIbNSD_35transform_pair_of_input_iterators_tIbNS6_6detail15normal_iteratorINS6_10device_ptrIKiEEEESL_NS6_8equal_toIiEEEENSG_9not_fun_tINSD_8identityEEEEENSD_19counting_iterator_tIlEES8_S8_S8_S8_S8_S8_S8_S8_EEEEPS9_S9_NSD_9__find_if7functorIS9_EEEE10hipError_tPvRmT1_T2_T3_mT4_P12ihipStream_tbEUlT_E1_NS1_11comp_targetILNS1_3genE5ELNS1_11target_archE942ELNS1_3gpuE9ELNS1_3repE0EEENS1_30default_config_static_selectorELNS0_4arch9wavefront6targetE0EEEvS14_.has_recursion, 0
	.set _ZN7rocprim17ROCPRIM_400000_NS6detail17trampoline_kernelINS0_14default_configENS1_22reduce_config_selectorIN6thrust23THRUST_200600_302600_NS5tupleIblNS6_9null_typeES8_S8_S8_S8_S8_S8_S8_EEEEZNS1_11reduce_implILb1ES3_NS6_12zip_iteratorINS7_INS6_11hip_rocprim26transform_input_iterator_tIbNSD_35transform_pair_of_input_iterators_tIbNS6_6detail15normal_iteratorINS6_10device_ptrIKiEEEESL_NS6_8equal_toIiEEEENSG_9not_fun_tINSD_8identityEEEEENSD_19counting_iterator_tIlEES8_S8_S8_S8_S8_S8_S8_S8_EEEEPS9_S9_NSD_9__find_if7functorIS9_EEEE10hipError_tPvRmT1_T2_T3_mT4_P12ihipStream_tbEUlT_E1_NS1_11comp_targetILNS1_3genE5ELNS1_11target_archE942ELNS1_3gpuE9ELNS1_3repE0EEENS1_30default_config_static_selectorELNS0_4arch9wavefront6targetE0EEEvS14_.has_indirect_call, 0
	.section	.AMDGPU.csdata,"",@progbits
; Kernel info:
; codeLenInByte = 0
; TotalNumSgprs: 0
; NumVgprs: 0
; ScratchSize: 0
; MemoryBound: 0
; FloatMode: 240
; IeeeMode: 1
; LDSByteSize: 0 bytes/workgroup (compile time only)
; SGPRBlocks: 0
; VGPRBlocks: 0
; NumSGPRsForWavesPerEU: 1
; NumVGPRsForWavesPerEU: 1
; NamedBarCnt: 0
; Occupancy: 16
; WaveLimiterHint : 0
; COMPUTE_PGM_RSRC2:SCRATCH_EN: 0
; COMPUTE_PGM_RSRC2:USER_SGPR: 2
; COMPUTE_PGM_RSRC2:TRAP_HANDLER: 0
; COMPUTE_PGM_RSRC2:TGID_X_EN: 1
; COMPUTE_PGM_RSRC2:TGID_Y_EN: 0
; COMPUTE_PGM_RSRC2:TGID_Z_EN: 0
; COMPUTE_PGM_RSRC2:TIDIG_COMP_CNT: 0
	.section	.text._ZN7rocprim17ROCPRIM_400000_NS6detail17trampoline_kernelINS0_14default_configENS1_22reduce_config_selectorIN6thrust23THRUST_200600_302600_NS5tupleIblNS6_9null_typeES8_S8_S8_S8_S8_S8_S8_EEEEZNS1_11reduce_implILb1ES3_NS6_12zip_iteratorINS7_INS6_11hip_rocprim26transform_input_iterator_tIbNSD_35transform_pair_of_input_iterators_tIbNS6_6detail15normal_iteratorINS6_10device_ptrIKiEEEESL_NS6_8equal_toIiEEEENSG_9not_fun_tINSD_8identityEEEEENSD_19counting_iterator_tIlEES8_S8_S8_S8_S8_S8_S8_S8_EEEEPS9_S9_NSD_9__find_if7functorIS9_EEEE10hipError_tPvRmT1_T2_T3_mT4_P12ihipStream_tbEUlT_E1_NS1_11comp_targetILNS1_3genE4ELNS1_11target_archE910ELNS1_3gpuE8ELNS1_3repE0EEENS1_30default_config_static_selectorELNS0_4arch9wavefront6targetE0EEEvS14_,"axG",@progbits,_ZN7rocprim17ROCPRIM_400000_NS6detail17trampoline_kernelINS0_14default_configENS1_22reduce_config_selectorIN6thrust23THRUST_200600_302600_NS5tupleIblNS6_9null_typeES8_S8_S8_S8_S8_S8_S8_EEEEZNS1_11reduce_implILb1ES3_NS6_12zip_iteratorINS7_INS6_11hip_rocprim26transform_input_iterator_tIbNSD_35transform_pair_of_input_iterators_tIbNS6_6detail15normal_iteratorINS6_10device_ptrIKiEEEESL_NS6_8equal_toIiEEEENSG_9not_fun_tINSD_8identityEEEEENSD_19counting_iterator_tIlEES8_S8_S8_S8_S8_S8_S8_S8_EEEEPS9_S9_NSD_9__find_if7functorIS9_EEEE10hipError_tPvRmT1_T2_T3_mT4_P12ihipStream_tbEUlT_E1_NS1_11comp_targetILNS1_3genE4ELNS1_11target_archE910ELNS1_3gpuE8ELNS1_3repE0EEENS1_30default_config_static_selectorELNS0_4arch9wavefront6targetE0EEEvS14_,comdat
	.protected	_ZN7rocprim17ROCPRIM_400000_NS6detail17trampoline_kernelINS0_14default_configENS1_22reduce_config_selectorIN6thrust23THRUST_200600_302600_NS5tupleIblNS6_9null_typeES8_S8_S8_S8_S8_S8_S8_EEEEZNS1_11reduce_implILb1ES3_NS6_12zip_iteratorINS7_INS6_11hip_rocprim26transform_input_iterator_tIbNSD_35transform_pair_of_input_iterators_tIbNS6_6detail15normal_iteratorINS6_10device_ptrIKiEEEESL_NS6_8equal_toIiEEEENSG_9not_fun_tINSD_8identityEEEEENSD_19counting_iterator_tIlEES8_S8_S8_S8_S8_S8_S8_S8_EEEEPS9_S9_NSD_9__find_if7functorIS9_EEEE10hipError_tPvRmT1_T2_T3_mT4_P12ihipStream_tbEUlT_E1_NS1_11comp_targetILNS1_3genE4ELNS1_11target_archE910ELNS1_3gpuE8ELNS1_3repE0EEENS1_30default_config_static_selectorELNS0_4arch9wavefront6targetE0EEEvS14_ ; -- Begin function _ZN7rocprim17ROCPRIM_400000_NS6detail17trampoline_kernelINS0_14default_configENS1_22reduce_config_selectorIN6thrust23THRUST_200600_302600_NS5tupleIblNS6_9null_typeES8_S8_S8_S8_S8_S8_S8_EEEEZNS1_11reduce_implILb1ES3_NS6_12zip_iteratorINS7_INS6_11hip_rocprim26transform_input_iterator_tIbNSD_35transform_pair_of_input_iterators_tIbNS6_6detail15normal_iteratorINS6_10device_ptrIKiEEEESL_NS6_8equal_toIiEEEENSG_9not_fun_tINSD_8identityEEEEENSD_19counting_iterator_tIlEES8_S8_S8_S8_S8_S8_S8_S8_EEEEPS9_S9_NSD_9__find_if7functorIS9_EEEE10hipError_tPvRmT1_T2_T3_mT4_P12ihipStream_tbEUlT_E1_NS1_11comp_targetILNS1_3genE4ELNS1_11target_archE910ELNS1_3gpuE8ELNS1_3repE0EEENS1_30default_config_static_selectorELNS0_4arch9wavefront6targetE0EEEvS14_
	.globl	_ZN7rocprim17ROCPRIM_400000_NS6detail17trampoline_kernelINS0_14default_configENS1_22reduce_config_selectorIN6thrust23THRUST_200600_302600_NS5tupleIblNS6_9null_typeES8_S8_S8_S8_S8_S8_S8_EEEEZNS1_11reduce_implILb1ES3_NS6_12zip_iteratorINS7_INS6_11hip_rocprim26transform_input_iterator_tIbNSD_35transform_pair_of_input_iterators_tIbNS6_6detail15normal_iteratorINS6_10device_ptrIKiEEEESL_NS6_8equal_toIiEEEENSG_9not_fun_tINSD_8identityEEEEENSD_19counting_iterator_tIlEES8_S8_S8_S8_S8_S8_S8_S8_EEEEPS9_S9_NSD_9__find_if7functorIS9_EEEE10hipError_tPvRmT1_T2_T3_mT4_P12ihipStream_tbEUlT_E1_NS1_11comp_targetILNS1_3genE4ELNS1_11target_archE910ELNS1_3gpuE8ELNS1_3repE0EEENS1_30default_config_static_selectorELNS0_4arch9wavefront6targetE0EEEvS14_
	.p2align	8
	.type	_ZN7rocprim17ROCPRIM_400000_NS6detail17trampoline_kernelINS0_14default_configENS1_22reduce_config_selectorIN6thrust23THRUST_200600_302600_NS5tupleIblNS6_9null_typeES8_S8_S8_S8_S8_S8_S8_EEEEZNS1_11reduce_implILb1ES3_NS6_12zip_iteratorINS7_INS6_11hip_rocprim26transform_input_iterator_tIbNSD_35transform_pair_of_input_iterators_tIbNS6_6detail15normal_iteratorINS6_10device_ptrIKiEEEESL_NS6_8equal_toIiEEEENSG_9not_fun_tINSD_8identityEEEEENSD_19counting_iterator_tIlEES8_S8_S8_S8_S8_S8_S8_S8_EEEEPS9_S9_NSD_9__find_if7functorIS9_EEEE10hipError_tPvRmT1_T2_T3_mT4_P12ihipStream_tbEUlT_E1_NS1_11comp_targetILNS1_3genE4ELNS1_11target_archE910ELNS1_3gpuE8ELNS1_3repE0EEENS1_30default_config_static_selectorELNS0_4arch9wavefront6targetE0EEEvS14_,@function
_ZN7rocprim17ROCPRIM_400000_NS6detail17trampoline_kernelINS0_14default_configENS1_22reduce_config_selectorIN6thrust23THRUST_200600_302600_NS5tupleIblNS6_9null_typeES8_S8_S8_S8_S8_S8_S8_EEEEZNS1_11reduce_implILb1ES3_NS6_12zip_iteratorINS7_INS6_11hip_rocprim26transform_input_iterator_tIbNSD_35transform_pair_of_input_iterators_tIbNS6_6detail15normal_iteratorINS6_10device_ptrIKiEEEESL_NS6_8equal_toIiEEEENSG_9not_fun_tINSD_8identityEEEEENSD_19counting_iterator_tIlEES8_S8_S8_S8_S8_S8_S8_S8_EEEEPS9_S9_NSD_9__find_if7functorIS9_EEEE10hipError_tPvRmT1_T2_T3_mT4_P12ihipStream_tbEUlT_E1_NS1_11comp_targetILNS1_3genE4ELNS1_11target_archE910ELNS1_3gpuE8ELNS1_3repE0EEENS1_30default_config_static_selectorELNS0_4arch9wavefront6targetE0EEEvS14_: ; @_ZN7rocprim17ROCPRIM_400000_NS6detail17trampoline_kernelINS0_14default_configENS1_22reduce_config_selectorIN6thrust23THRUST_200600_302600_NS5tupleIblNS6_9null_typeES8_S8_S8_S8_S8_S8_S8_EEEEZNS1_11reduce_implILb1ES3_NS6_12zip_iteratorINS7_INS6_11hip_rocprim26transform_input_iterator_tIbNSD_35transform_pair_of_input_iterators_tIbNS6_6detail15normal_iteratorINS6_10device_ptrIKiEEEESL_NS6_8equal_toIiEEEENSG_9not_fun_tINSD_8identityEEEEENSD_19counting_iterator_tIlEES8_S8_S8_S8_S8_S8_S8_S8_EEEEPS9_S9_NSD_9__find_if7functorIS9_EEEE10hipError_tPvRmT1_T2_T3_mT4_P12ihipStream_tbEUlT_E1_NS1_11comp_targetILNS1_3genE4ELNS1_11target_archE910ELNS1_3gpuE8ELNS1_3repE0EEENS1_30default_config_static_selectorELNS0_4arch9wavefront6targetE0EEEvS14_
; %bb.0:
	.section	.rodata,"a",@progbits
	.p2align	6, 0x0
	.amdhsa_kernel _ZN7rocprim17ROCPRIM_400000_NS6detail17trampoline_kernelINS0_14default_configENS1_22reduce_config_selectorIN6thrust23THRUST_200600_302600_NS5tupleIblNS6_9null_typeES8_S8_S8_S8_S8_S8_S8_EEEEZNS1_11reduce_implILb1ES3_NS6_12zip_iteratorINS7_INS6_11hip_rocprim26transform_input_iterator_tIbNSD_35transform_pair_of_input_iterators_tIbNS6_6detail15normal_iteratorINS6_10device_ptrIKiEEEESL_NS6_8equal_toIiEEEENSG_9not_fun_tINSD_8identityEEEEENSD_19counting_iterator_tIlEES8_S8_S8_S8_S8_S8_S8_S8_EEEEPS9_S9_NSD_9__find_if7functorIS9_EEEE10hipError_tPvRmT1_T2_T3_mT4_P12ihipStream_tbEUlT_E1_NS1_11comp_targetILNS1_3genE4ELNS1_11target_archE910ELNS1_3gpuE8ELNS1_3repE0EEENS1_30default_config_static_selectorELNS0_4arch9wavefront6targetE0EEEvS14_
		.amdhsa_group_segment_fixed_size 0
		.amdhsa_private_segment_fixed_size 0
		.amdhsa_kernarg_size 88
		.amdhsa_user_sgpr_count 2
		.amdhsa_user_sgpr_dispatch_ptr 0
		.amdhsa_user_sgpr_queue_ptr 0
		.amdhsa_user_sgpr_kernarg_segment_ptr 1
		.amdhsa_user_sgpr_dispatch_id 0
		.amdhsa_user_sgpr_kernarg_preload_length 0
		.amdhsa_user_sgpr_kernarg_preload_offset 0
		.amdhsa_user_sgpr_private_segment_size 0
		.amdhsa_wavefront_size32 1
		.amdhsa_uses_dynamic_stack 0
		.amdhsa_enable_private_segment 0
		.amdhsa_system_sgpr_workgroup_id_x 1
		.amdhsa_system_sgpr_workgroup_id_y 0
		.amdhsa_system_sgpr_workgroup_id_z 0
		.amdhsa_system_sgpr_workgroup_info 0
		.amdhsa_system_vgpr_workitem_id 0
		.amdhsa_next_free_vgpr 1
		.amdhsa_next_free_sgpr 1
		.amdhsa_named_barrier_count 0
		.amdhsa_reserve_vcc 0
		.amdhsa_float_round_mode_32 0
		.amdhsa_float_round_mode_16_64 0
		.amdhsa_float_denorm_mode_32 3
		.amdhsa_float_denorm_mode_16_64 3
		.amdhsa_fp16_overflow 0
		.amdhsa_memory_ordered 1
		.amdhsa_forward_progress 1
		.amdhsa_inst_pref_size 0
		.amdhsa_round_robin_scheduling 0
		.amdhsa_exception_fp_ieee_invalid_op 0
		.amdhsa_exception_fp_denorm_src 0
		.amdhsa_exception_fp_ieee_div_zero 0
		.amdhsa_exception_fp_ieee_overflow 0
		.amdhsa_exception_fp_ieee_underflow 0
		.amdhsa_exception_fp_ieee_inexact 0
		.amdhsa_exception_int_div_zero 0
	.end_amdhsa_kernel
	.section	.text._ZN7rocprim17ROCPRIM_400000_NS6detail17trampoline_kernelINS0_14default_configENS1_22reduce_config_selectorIN6thrust23THRUST_200600_302600_NS5tupleIblNS6_9null_typeES8_S8_S8_S8_S8_S8_S8_EEEEZNS1_11reduce_implILb1ES3_NS6_12zip_iteratorINS7_INS6_11hip_rocprim26transform_input_iterator_tIbNSD_35transform_pair_of_input_iterators_tIbNS6_6detail15normal_iteratorINS6_10device_ptrIKiEEEESL_NS6_8equal_toIiEEEENSG_9not_fun_tINSD_8identityEEEEENSD_19counting_iterator_tIlEES8_S8_S8_S8_S8_S8_S8_S8_EEEEPS9_S9_NSD_9__find_if7functorIS9_EEEE10hipError_tPvRmT1_T2_T3_mT4_P12ihipStream_tbEUlT_E1_NS1_11comp_targetILNS1_3genE4ELNS1_11target_archE910ELNS1_3gpuE8ELNS1_3repE0EEENS1_30default_config_static_selectorELNS0_4arch9wavefront6targetE0EEEvS14_,"axG",@progbits,_ZN7rocprim17ROCPRIM_400000_NS6detail17trampoline_kernelINS0_14default_configENS1_22reduce_config_selectorIN6thrust23THRUST_200600_302600_NS5tupleIblNS6_9null_typeES8_S8_S8_S8_S8_S8_S8_EEEEZNS1_11reduce_implILb1ES3_NS6_12zip_iteratorINS7_INS6_11hip_rocprim26transform_input_iterator_tIbNSD_35transform_pair_of_input_iterators_tIbNS6_6detail15normal_iteratorINS6_10device_ptrIKiEEEESL_NS6_8equal_toIiEEEENSG_9not_fun_tINSD_8identityEEEEENSD_19counting_iterator_tIlEES8_S8_S8_S8_S8_S8_S8_S8_EEEEPS9_S9_NSD_9__find_if7functorIS9_EEEE10hipError_tPvRmT1_T2_T3_mT4_P12ihipStream_tbEUlT_E1_NS1_11comp_targetILNS1_3genE4ELNS1_11target_archE910ELNS1_3gpuE8ELNS1_3repE0EEENS1_30default_config_static_selectorELNS0_4arch9wavefront6targetE0EEEvS14_,comdat
.Lfunc_end272:
	.size	_ZN7rocprim17ROCPRIM_400000_NS6detail17trampoline_kernelINS0_14default_configENS1_22reduce_config_selectorIN6thrust23THRUST_200600_302600_NS5tupleIblNS6_9null_typeES8_S8_S8_S8_S8_S8_S8_EEEEZNS1_11reduce_implILb1ES3_NS6_12zip_iteratorINS7_INS6_11hip_rocprim26transform_input_iterator_tIbNSD_35transform_pair_of_input_iterators_tIbNS6_6detail15normal_iteratorINS6_10device_ptrIKiEEEESL_NS6_8equal_toIiEEEENSG_9not_fun_tINSD_8identityEEEEENSD_19counting_iterator_tIlEES8_S8_S8_S8_S8_S8_S8_S8_EEEEPS9_S9_NSD_9__find_if7functorIS9_EEEE10hipError_tPvRmT1_T2_T3_mT4_P12ihipStream_tbEUlT_E1_NS1_11comp_targetILNS1_3genE4ELNS1_11target_archE910ELNS1_3gpuE8ELNS1_3repE0EEENS1_30default_config_static_selectorELNS0_4arch9wavefront6targetE0EEEvS14_, .Lfunc_end272-_ZN7rocprim17ROCPRIM_400000_NS6detail17trampoline_kernelINS0_14default_configENS1_22reduce_config_selectorIN6thrust23THRUST_200600_302600_NS5tupleIblNS6_9null_typeES8_S8_S8_S8_S8_S8_S8_EEEEZNS1_11reduce_implILb1ES3_NS6_12zip_iteratorINS7_INS6_11hip_rocprim26transform_input_iterator_tIbNSD_35transform_pair_of_input_iterators_tIbNS6_6detail15normal_iteratorINS6_10device_ptrIKiEEEESL_NS6_8equal_toIiEEEENSG_9not_fun_tINSD_8identityEEEEENSD_19counting_iterator_tIlEES8_S8_S8_S8_S8_S8_S8_S8_EEEEPS9_S9_NSD_9__find_if7functorIS9_EEEE10hipError_tPvRmT1_T2_T3_mT4_P12ihipStream_tbEUlT_E1_NS1_11comp_targetILNS1_3genE4ELNS1_11target_archE910ELNS1_3gpuE8ELNS1_3repE0EEENS1_30default_config_static_selectorELNS0_4arch9wavefront6targetE0EEEvS14_
                                        ; -- End function
	.set _ZN7rocprim17ROCPRIM_400000_NS6detail17trampoline_kernelINS0_14default_configENS1_22reduce_config_selectorIN6thrust23THRUST_200600_302600_NS5tupleIblNS6_9null_typeES8_S8_S8_S8_S8_S8_S8_EEEEZNS1_11reduce_implILb1ES3_NS6_12zip_iteratorINS7_INS6_11hip_rocprim26transform_input_iterator_tIbNSD_35transform_pair_of_input_iterators_tIbNS6_6detail15normal_iteratorINS6_10device_ptrIKiEEEESL_NS6_8equal_toIiEEEENSG_9not_fun_tINSD_8identityEEEEENSD_19counting_iterator_tIlEES8_S8_S8_S8_S8_S8_S8_S8_EEEEPS9_S9_NSD_9__find_if7functorIS9_EEEE10hipError_tPvRmT1_T2_T3_mT4_P12ihipStream_tbEUlT_E1_NS1_11comp_targetILNS1_3genE4ELNS1_11target_archE910ELNS1_3gpuE8ELNS1_3repE0EEENS1_30default_config_static_selectorELNS0_4arch9wavefront6targetE0EEEvS14_.num_vgpr, 0
	.set _ZN7rocprim17ROCPRIM_400000_NS6detail17trampoline_kernelINS0_14default_configENS1_22reduce_config_selectorIN6thrust23THRUST_200600_302600_NS5tupleIblNS6_9null_typeES8_S8_S8_S8_S8_S8_S8_EEEEZNS1_11reduce_implILb1ES3_NS6_12zip_iteratorINS7_INS6_11hip_rocprim26transform_input_iterator_tIbNSD_35transform_pair_of_input_iterators_tIbNS6_6detail15normal_iteratorINS6_10device_ptrIKiEEEESL_NS6_8equal_toIiEEEENSG_9not_fun_tINSD_8identityEEEEENSD_19counting_iterator_tIlEES8_S8_S8_S8_S8_S8_S8_S8_EEEEPS9_S9_NSD_9__find_if7functorIS9_EEEE10hipError_tPvRmT1_T2_T3_mT4_P12ihipStream_tbEUlT_E1_NS1_11comp_targetILNS1_3genE4ELNS1_11target_archE910ELNS1_3gpuE8ELNS1_3repE0EEENS1_30default_config_static_selectorELNS0_4arch9wavefront6targetE0EEEvS14_.num_agpr, 0
	.set _ZN7rocprim17ROCPRIM_400000_NS6detail17trampoline_kernelINS0_14default_configENS1_22reduce_config_selectorIN6thrust23THRUST_200600_302600_NS5tupleIblNS6_9null_typeES8_S8_S8_S8_S8_S8_S8_EEEEZNS1_11reduce_implILb1ES3_NS6_12zip_iteratorINS7_INS6_11hip_rocprim26transform_input_iterator_tIbNSD_35transform_pair_of_input_iterators_tIbNS6_6detail15normal_iteratorINS6_10device_ptrIKiEEEESL_NS6_8equal_toIiEEEENSG_9not_fun_tINSD_8identityEEEEENSD_19counting_iterator_tIlEES8_S8_S8_S8_S8_S8_S8_S8_EEEEPS9_S9_NSD_9__find_if7functorIS9_EEEE10hipError_tPvRmT1_T2_T3_mT4_P12ihipStream_tbEUlT_E1_NS1_11comp_targetILNS1_3genE4ELNS1_11target_archE910ELNS1_3gpuE8ELNS1_3repE0EEENS1_30default_config_static_selectorELNS0_4arch9wavefront6targetE0EEEvS14_.numbered_sgpr, 0
	.set _ZN7rocprim17ROCPRIM_400000_NS6detail17trampoline_kernelINS0_14default_configENS1_22reduce_config_selectorIN6thrust23THRUST_200600_302600_NS5tupleIblNS6_9null_typeES8_S8_S8_S8_S8_S8_S8_EEEEZNS1_11reduce_implILb1ES3_NS6_12zip_iteratorINS7_INS6_11hip_rocprim26transform_input_iterator_tIbNSD_35transform_pair_of_input_iterators_tIbNS6_6detail15normal_iteratorINS6_10device_ptrIKiEEEESL_NS6_8equal_toIiEEEENSG_9not_fun_tINSD_8identityEEEEENSD_19counting_iterator_tIlEES8_S8_S8_S8_S8_S8_S8_S8_EEEEPS9_S9_NSD_9__find_if7functorIS9_EEEE10hipError_tPvRmT1_T2_T3_mT4_P12ihipStream_tbEUlT_E1_NS1_11comp_targetILNS1_3genE4ELNS1_11target_archE910ELNS1_3gpuE8ELNS1_3repE0EEENS1_30default_config_static_selectorELNS0_4arch9wavefront6targetE0EEEvS14_.num_named_barrier, 0
	.set _ZN7rocprim17ROCPRIM_400000_NS6detail17trampoline_kernelINS0_14default_configENS1_22reduce_config_selectorIN6thrust23THRUST_200600_302600_NS5tupleIblNS6_9null_typeES8_S8_S8_S8_S8_S8_S8_EEEEZNS1_11reduce_implILb1ES3_NS6_12zip_iteratorINS7_INS6_11hip_rocprim26transform_input_iterator_tIbNSD_35transform_pair_of_input_iterators_tIbNS6_6detail15normal_iteratorINS6_10device_ptrIKiEEEESL_NS6_8equal_toIiEEEENSG_9not_fun_tINSD_8identityEEEEENSD_19counting_iterator_tIlEES8_S8_S8_S8_S8_S8_S8_S8_EEEEPS9_S9_NSD_9__find_if7functorIS9_EEEE10hipError_tPvRmT1_T2_T3_mT4_P12ihipStream_tbEUlT_E1_NS1_11comp_targetILNS1_3genE4ELNS1_11target_archE910ELNS1_3gpuE8ELNS1_3repE0EEENS1_30default_config_static_selectorELNS0_4arch9wavefront6targetE0EEEvS14_.private_seg_size, 0
	.set _ZN7rocprim17ROCPRIM_400000_NS6detail17trampoline_kernelINS0_14default_configENS1_22reduce_config_selectorIN6thrust23THRUST_200600_302600_NS5tupleIblNS6_9null_typeES8_S8_S8_S8_S8_S8_S8_EEEEZNS1_11reduce_implILb1ES3_NS6_12zip_iteratorINS7_INS6_11hip_rocprim26transform_input_iterator_tIbNSD_35transform_pair_of_input_iterators_tIbNS6_6detail15normal_iteratorINS6_10device_ptrIKiEEEESL_NS6_8equal_toIiEEEENSG_9not_fun_tINSD_8identityEEEEENSD_19counting_iterator_tIlEES8_S8_S8_S8_S8_S8_S8_S8_EEEEPS9_S9_NSD_9__find_if7functorIS9_EEEE10hipError_tPvRmT1_T2_T3_mT4_P12ihipStream_tbEUlT_E1_NS1_11comp_targetILNS1_3genE4ELNS1_11target_archE910ELNS1_3gpuE8ELNS1_3repE0EEENS1_30default_config_static_selectorELNS0_4arch9wavefront6targetE0EEEvS14_.uses_vcc, 0
	.set _ZN7rocprim17ROCPRIM_400000_NS6detail17trampoline_kernelINS0_14default_configENS1_22reduce_config_selectorIN6thrust23THRUST_200600_302600_NS5tupleIblNS6_9null_typeES8_S8_S8_S8_S8_S8_S8_EEEEZNS1_11reduce_implILb1ES3_NS6_12zip_iteratorINS7_INS6_11hip_rocprim26transform_input_iterator_tIbNSD_35transform_pair_of_input_iterators_tIbNS6_6detail15normal_iteratorINS6_10device_ptrIKiEEEESL_NS6_8equal_toIiEEEENSG_9not_fun_tINSD_8identityEEEEENSD_19counting_iterator_tIlEES8_S8_S8_S8_S8_S8_S8_S8_EEEEPS9_S9_NSD_9__find_if7functorIS9_EEEE10hipError_tPvRmT1_T2_T3_mT4_P12ihipStream_tbEUlT_E1_NS1_11comp_targetILNS1_3genE4ELNS1_11target_archE910ELNS1_3gpuE8ELNS1_3repE0EEENS1_30default_config_static_selectorELNS0_4arch9wavefront6targetE0EEEvS14_.uses_flat_scratch, 0
	.set _ZN7rocprim17ROCPRIM_400000_NS6detail17trampoline_kernelINS0_14default_configENS1_22reduce_config_selectorIN6thrust23THRUST_200600_302600_NS5tupleIblNS6_9null_typeES8_S8_S8_S8_S8_S8_S8_EEEEZNS1_11reduce_implILb1ES3_NS6_12zip_iteratorINS7_INS6_11hip_rocprim26transform_input_iterator_tIbNSD_35transform_pair_of_input_iterators_tIbNS6_6detail15normal_iteratorINS6_10device_ptrIKiEEEESL_NS6_8equal_toIiEEEENSG_9not_fun_tINSD_8identityEEEEENSD_19counting_iterator_tIlEES8_S8_S8_S8_S8_S8_S8_S8_EEEEPS9_S9_NSD_9__find_if7functorIS9_EEEE10hipError_tPvRmT1_T2_T3_mT4_P12ihipStream_tbEUlT_E1_NS1_11comp_targetILNS1_3genE4ELNS1_11target_archE910ELNS1_3gpuE8ELNS1_3repE0EEENS1_30default_config_static_selectorELNS0_4arch9wavefront6targetE0EEEvS14_.has_dyn_sized_stack, 0
	.set _ZN7rocprim17ROCPRIM_400000_NS6detail17trampoline_kernelINS0_14default_configENS1_22reduce_config_selectorIN6thrust23THRUST_200600_302600_NS5tupleIblNS6_9null_typeES8_S8_S8_S8_S8_S8_S8_EEEEZNS1_11reduce_implILb1ES3_NS6_12zip_iteratorINS7_INS6_11hip_rocprim26transform_input_iterator_tIbNSD_35transform_pair_of_input_iterators_tIbNS6_6detail15normal_iteratorINS6_10device_ptrIKiEEEESL_NS6_8equal_toIiEEEENSG_9not_fun_tINSD_8identityEEEEENSD_19counting_iterator_tIlEES8_S8_S8_S8_S8_S8_S8_S8_EEEEPS9_S9_NSD_9__find_if7functorIS9_EEEE10hipError_tPvRmT1_T2_T3_mT4_P12ihipStream_tbEUlT_E1_NS1_11comp_targetILNS1_3genE4ELNS1_11target_archE910ELNS1_3gpuE8ELNS1_3repE0EEENS1_30default_config_static_selectorELNS0_4arch9wavefront6targetE0EEEvS14_.has_recursion, 0
	.set _ZN7rocprim17ROCPRIM_400000_NS6detail17trampoline_kernelINS0_14default_configENS1_22reduce_config_selectorIN6thrust23THRUST_200600_302600_NS5tupleIblNS6_9null_typeES8_S8_S8_S8_S8_S8_S8_EEEEZNS1_11reduce_implILb1ES3_NS6_12zip_iteratorINS7_INS6_11hip_rocprim26transform_input_iterator_tIbNSD_35transform_pair_of_input_iterators_tIbNS6_6detail15normal_iteratorINS6_10device_ptrIKiEEEESL_NS6_8equal_toIiEEEENSG_9not_fun_tINSD_8identityEEEEENSD_19counting_iterator_tIlEES8_S8_S8_S8_S8_S8_S8_S8_EEEEPS9_S9_NSD_9__find_if7functorIS9_EEEE10hipError_tPvRmT1_T2_T3_mT4_P12ihipStream_tbEUlT_E1_NS1_11comp_targetILNS1_3genE4ELNS1_11target_archE910ELNS1_3gpuE8ELNS1_3repE0EEENS1_30default_config_static_selectorELNS0_4arch9wavefront6targetE0EEEvS14_.has_indirect_call, 0
	.section	.AMDGPU.csdata,"",@progbits
; Kernel info:
; codeLenInByte = 0
; TotalNumSgprs: 0
; NumVgprs: 0
; ScratchSize: 0
; MemoryBound: 0
; FloatMode: 240
; IeeeMode: 1
; LDSByteSize: 0 bytes/workgroup (compile time only)
; SGPRBlocks: 0
; VGPRBlocks: 0
; NumSGPRsForWavesPerEU: 1
; NumVGPRsForWavesPerEU: 1
; NamedBarCnt: 0
; Occupancy: 16
; WaveLimiterHint : 0
; COMPUTE_PGM_RSRC2:SCRATCH_EN: 0
; COMPUTE_PGM_RSRC2:USER_SGPR: 2
; COMPUTE_PGM_RSRC2:TRAP_HANDLER: 0
; COMPUTE_PGM_RSRC2:TGID_X_EN: 1
; COMPUTE_PGM_RSRC2:TGID_Y_EN: 0
; COMPUTE_PGM_RSRC2:TGID_Z_EN: 0
; COMPUTE_PGM_RSRC2:TIDIG_COMP_CNT: 0
	.section	.text._ZN7rocprim17ROCPRIM_400000_NS6detail17trampoline_kernelINS0_14default_configENS1_22reduce_config_selectorIN6thrust23THRUST_200600_302600_NS5tupleIblNS6_9null_typeES8_S8_S8_S8_S8_S8_S8_EEEEZNS1_11reduce_implILb1ES3_NS6_12zip_iteratorINS7_INS6_11hip_rocprim26transform_input_iterator_tIbNSD_35transform_pair_of_input_iterators_tIbNS6_6detail15normal_iteratorINS6_10device_ptrIKiEEEESL_NS6_8equal_toIiEEEENSG_9not_fun_tINSD_8identityEEEEENSD_19counting_iterator_tIlEES8_S8_S8_S8_S8_S8_S8_S8_EEEEPS9_S9_NSD_9__find_if7functorIS9_EEEE10hipError_tPvRmT1_T2_T3_mT4_P12ihipStream_tbEUlT_E1_NS1_11comp_targetILNS1_3genE3ELNS1_11target_archE908ELNS1_3gpuE7ELNS1_3repE0EEENS1_30default_config_static_selectorELNS0_4arch9wavefront6targetE0EEEvS14_,"axG",@progbits,_ZN7rocprim17ROCPRIM_400000_NS6detail17trampoline_kernelINS0_14default_configENS1_22reduce_config_selectorIN6thrust23THRUST_200600_302600_NS5tupleIblNS6_9null_typeES8_S8_S8_S8_S8_S8_S8_EEEEZNS1_11reduce_implILb1ES3_NS6_12zip_iteratorINS7_INS6_11hip_rocprim26transform_input_iterator_tIbNSD_35transform_pair_of_input_iterators_tIbNS6_6detail15normal_iteratorINS6_10device_ptrIKiEEEESL_NS6_8equal_toIiEEEENSG_9not_fun_tINSD_8identityEEEEENSD_19counting_iterator_tIlEES8_S8_S8_S8_S8_S8_S8_S8_EEEEPS9_S9_NSD_9__find_if7functorIS9_EEEE10hipError_tPvRmT1_T2_T3_mT4_P12ihipStream_tbEUlT_E1_NS1_11comp_targetILNS1_3genE3ELNS1_11target_archE908ELNS1_3gpuE7ELNS1_3repE0EEENS1_30default_config_static_selectorELNS0_4arch9wavefront6targetE0EEEvS14_,comdat
	.protected	_ZN7rocprim17ROCPRIM_400000_NS6detail17trampoline_kernelINS0_14default_configENS1_22reduce_config_selectorIN6thrust23THRUST_200600_302600_NS5tupleIblNS6_9null_typeES8_S8_S8_S8_S8_S8_S8_EEEEZNS1_11reduce_implILb1ES3_NS6_12zip_iteratorINS7_INS6_11hip_rocprim26transform_input_iterator_tIbNSD_35transform_pair_of_input_iterators_tIbNS6_6detail15normal_iteratorINS6_10device_ptrIKiEEEESL_NS6_8equal_toIiEEEENSG_9not_fun_tINSD_8identityEEEEENSD_19counting_iterator_tIlEES8_S8_S8_S8_S8_S8_S8_S8_EEEEPS9_S9_NSD_9__find_if7functorIS9_EEEE10hipError_tPvRmT1_T2_T3_mT4_P12ihipStream_tbEUlT_E1_NS1_11comp_targetILNS1_3genE3ELNS1_11target_archE908ELNS1_3gpuE7ELNS1_3repE0EEENS1_30default_config_static_selectorELNS0_4arch9wavefront6targetE0EEEvS14_ ; -- Begin function _ZN7rocprim17ROCPRIM_400000_NS6detail17trampoline_kernelINS0_14default_configENS1_22reduce_config_selectorIN6thrust23THRUST_200600_302600_NS5tupleIblNS6_9null_typeES8_S8_S8_S8_S8_S8_S8_EEEEZNS1_11reduce_implILb1ES3_NS6_12zip_iteratorINS7_INS6_11hip_rocprim26transform_input_iterator_tIbNSD_35transform_pair_of_input_iterators_tIbNS6_6detail15normal_iteratorINS6_10device_ptrIKiEEEESL_NS6_8equal_toIiEEEENSG_9not_fun_tINSD_8identityEEEEENSD_19counting_iterator_tIlEES8_S8_S8_S8_S8_S8_S8_S8_EEEEPS9_S9_NSD_9__find_if7functorIS9_EEEE10hipError_tPvRmT1_T2_T3_mT4_P12ihipStream_tbEUlT_E1_NS1_11comp_targetILNS1_3genE3ELNS1_11target_archE908ELNS1_3gpuE7ELNS1_3repE0EEENS1_30default_config_static_selectorELNS0_4arch9wavefront6targetE0EEEvS14_
	.globl	_ZN7rocprim17ROCPRIM_400000_NS6detail17trampoline_kernelINS0_14default_configENS1_22reduce_config_selectorIN6thrust23THRUST_200600_302600_NS5tupleIblNS6_9null_typeES8_S8_S8_S8_S8_S8_S8_EEEEZNS1_11reduce_implILb1ES3_NS6_12zip_iteratorINS7_INS6_11hip_rocprim26transform_input_iterator_tIbNSD_35transform_pair_of_input_iterators_tIbNS6_6detail15normal_iteratorINS6_10device_ptrIKiEEEESL_NS6_8equal_toIiEEEENSG_9not_fun_tINSD_8identityEEEEENSD_19counting_iterator_tIlEES8_S8_S8_S8_S8_S8_S8_S8_EEEEPS9_S9_NSD_9__find_if7functorIS9_EEEE10hipError_tPvRmT1_T2_T3_mT4_P12ihipStream_tbEUlT_E1_NS1_11comp_targetILNS1_3genE3ELNS1_11target_archE908ELNS1_3gpuE7ELNS1_3repE0EEENS1_30default_config_static_selectorELNS0_4arch9wavefront6targetE0EEEvS14_
	.p2align	8
	.type	_ZN7rocprim17ROCPRIM_400000_NS6detail17trampoline_kernelINS0_14default_configENS1_22reduce_config_selectorIN6thrust23THRUST_200600_302600_NS5tupleIblNS6_9null_typeES8_S8_S8_S8_S8_S8_S8_EEEEZNS1_11reduce_implILb1ES3_NS6_12zip_iteratorINS7_INS6_11hip_rocprim26transform_input_iterator_tIbNSD_35transform_pair_of_input_iterators_tIbNS6_6detail15normal_iteratorINS6_10device_ptrIKiEEEESL_NS6_8equal_toIiEEEENSG_9not_fun_tINSD_8identityEEEEENSD_19counting_iterator_tIlEES8_S8_S8_S8_S8_S8_S8_S8_EEEEPS9_S9_NSD_9__find_if7functorIS9_EEEE10hipError_tPvRmT1_T2_T3_mT4_P12ihipStream_tbEUlT_E1_NS1_11comp_targetILNS1_3genE3ELNS1_11target_archE908ELNS1_3gpuE7ELNS1_3repE0EEENS1_30default_config_static_selectorELNS0_4arch9wavefront6targetE0EEEvS14_,@function
_ZN7rocprim17ROCPRIM_400000_NS6detail17trampoline_kernelINS0_14default_configENS1_22reduce_config_selectorIN6thrust23THRUST_200600_302600_NS5tupleIblNS6_9null_typeES8_S8_S8_S8_S8_S8_S8_EEEEZNS1_11reduce_implILb1ES3_NS6_12zip_iteratorINS7_INS6_11hip_rocprim26transform_input_iterator_tIbNSD_35transform_pair_of_input_iterators_tIbNS6_6detail15normal_iteratorINS6_10device_ptrIKiEEEESL_NS6_8equal_toIiEEEENSG_9not_fun_tINSD_8identityEEEEENSD_19counting_iterator_tIlEES8_S8_S8_S8_S8_S8_S8_S8_EEEEPS9_S9_NSD_9__find_if7functorIS9_EEEE10hipError_tPvRmT1_T2_T3_mT4_P12ihipStream_tbEUlT_E1_NS1_11comp_targetILNS1_3genE3ELNS1_11target_archE908ELNS1_3gpuE7ELNS1_3repE0EEENS1_30default_config_static_selectorELNS0_4arch9wavefront6targetE0EEEvS14_: ; @_ZN7rocprim17ROCPRIM_400000_NS6detail17trampoline_kernelINS0_14default_configENS1_22reduce_config_selectorIN6thrust23THRUST_200600_302600_NS5tupleIblNS6_9null_typeES8_S8_S8_S8_S8_S8_S8_EEEEZNS1_11reduce_implILb1ES3_NS6_12zip_iteratorINS7_INS6_11hip_rocprim26transform_input_iterator_tIbNSD_35transform_pair_of_input_iterators_tIbNS6_6detail15normal_iteratorINS6_10device_ptrIKiEEEESL_NS6_8equal_toIiEEEENSG_9not_fun_tINSD_8identityEEEEENSD_19counting_iterator_tIlEES8_S8_S8_S8_S8_S8_S8_S8_EEEEPS9_S9_NSD_9__find_if7functorIS9_EEEE10hipError_tPvRmT1_T2_T3_mT4_P12ihipStream_tbEUlT_E1_NS1_11comp_targetILNS1_3genE3ELNS1_11target_archE908ELNS1_3gpuE7ELNS1_3repE0EEENS1_30default_config_static_selectorELNS0_4arch9wavefront6targetE0EEEvS14_
; %bb.0:
	.section	.rodata,"a",@progbits
	.p2align	6, 0x0
	.amdhsa_kernel _ZN7rocprim17ROCPRIM_400000_NS6detail17trampoline_kernelINS0_14default_configENS1_22reduce_config_selectorIN6thrust23THRUST_200600_302600_NS5tupleIblNS6_9null_typeES8_S8_S8_S8_S8_S8_S8_EEEEZNS1_11reduce_implILb1ES3_NS6_12zip_iteratorINS7_INS6_11hip_rocprim26transform_input_iterator_tIbNSD_35transform_pair_of_input_iterators_tIbNS6_6detail15normal_iteratorINS6_10device_ptrIKiEEEESL_NS6_8equal_toIiEEEENSG_9not_fun_tINSD_8identityEEEEENSD_19counting_iterator_tIlEES8_S8_S8_S8_S8_S8_S8_S8_EEEEPS9_S9_NSD_9__find_if7functorIS9_EEEE10hipError_tPvRmT1_T2_T3_mT4_P12ihipStream_tbEUlT_E1_NS1_11comp_targetILNS1_3genE3ELNS1_11target_archE908ELNS1_3gpuE7ELNS1_3repE0EEENS1_30default_config_static_selectorELNS0_4arch9wavefront6targetE0EEEvS14_
		.amdhsa_group_segment_fixed_size 0
		.amdhsa_private_segment_fixed_size 0
		.amdhsa_kernarg_size 88
		.amdhsa_user_sgpr_count 2
		.amdhsa_user_sgpr_dispatch_ptr 0
		.amdhsa_user_sgpr_queue_ptr 0
		.amdhsa_user_sgpr_kernarg_segment_ptr 1
		.amdhsa_user_sgpr_dispatch_id 0
		.amdhsa_user_sgpr_kernarg_preload_length 0
		.amdhsa_user_sgpr_kernarg_preload_offset 0
		.amdhsa_user_sgpr_private_segment_size 0
		.amdhsa_wavefront_size32 1
		.amdhsa_uses_dynamic_stack 0
		.amdhsa_enable_private_segment 0
		.amdhsa_system_sgpr_workgroup_id_x 1
		.amdhsa_system_sgpr_workgroup_id_y 0
		.amdhsa_system_sgpr_workgroup_id_z 0
		.amdhsa_system_sgpr_workgroup_info 0
		.amdhsa_system_vgpr_workitem_id 0
		.amdhsa_next_free_vgpr 1
		.amdhsa_next_free_sgpr 1
		.amdhsa_named_barrier_count 0
		.amdhsa_reserve_vcc 0
		.amdhsa_float_round_mode_32 0
		.amdhsa_float_round_mode_16_64 0
		.amdhsa_float_denorm_mode_32 3
		.amdhsa_float_denorm_mode_16_64 3
		.amdhsa_fp16_overflow 0
		.amdhsa_memory_ordered 1
		.amdhsa_forward_progress 1
		.amdhsa_inst_pref_size 0
		.amdhsa_round_robin_scheduling 0
		.amdhsa_exception_fp_ieee_invalid_op 0
		.amdhsa_exception_fp_denorm_src 0
		.amdhsa_exception_fp_ieee_div_zero 0
		.amdhsa_exception_fp_ieee_overflow 0
		.amdhsa_exception_fp_ieee_underflow 0
		.amdhsa_exception_fp_ieee_inexact 0
		.amdhsa_exception_int_div_zero 0
	.end_amdhsa_kernel
	.section	.text._ZN7rocprim17ROCPRIM_400000_NS6detail17trampoline_kernelINS0_14default_configENS1_22reduce_config_selectorIN6thrust23THRUST_200600_302600_NS5tupleIblNS6_9null_typeES8_S8_S8_S8_S8_S8_S8_EEEEZNS1_11reduce_implILb1ES3_NS6_12zip_iteratorINS7_INS6_11hip_rocprim26transform_input_iterator_tIbNSD_35transform_pair_of_input_iterators_tIbNS6_6detail15normal_iteratorINS6_10device_ptrIKiEEEESL_NS6_8equal_toIiEEEENSG_9not_fun_tINSD_8identityEEEEENSD_19counting_iterator_tIlEES8_S8_S8_S8_S8_S8_S8_S8_EEEEPS9_S9_NSD_9__find_if7functorIS9_EEEE10hipError_tPvRmT1_T2_T3_mT4_P12ihipStream_tbEUlT_E1_NS1_11comp_targetILNS1_3genE3ELNS1_11target_archE908ELNS1_3gpuE7ELNS1_3repE0EEENS1_30default_config_static_selectorELNS0_4arch9wavefront6targetE0EEEvS14_,"axG",@progbits,_ZN7rocprim17ROCPRIM_400000_NS6detail17trampoline_kernelINS0_14default_configENS1_22reduce_config_selectorIN6thrust23THRUST_200600_302600_NS5tupleIblNS6_9null_typeES8_S8_S8_S8_S8_S8_S8_EEEEZNS1_11reduce_implILb1ES3_NS6_12zip_iteratorINS7_INS6_11hip_rocprim26transform_input_iterator_tIbNSD_35transform_pair_of_input_iterators_tIbNS6_6detail15normal_iteratorINS6_10device_ptrIKiEEEESL_NS6_8equal_toIiEEEENSG_9not_fun_tINSD_8identityEEEEENSD_19counting_iterator_tIlEES8_S8_S8_S8_S8_S8_S8_S8_EEEEPS9_S9_NSD_9__find_if7functorIS9_EEEE10hipError_tPvRmT1_T2_T3_mT4_P12ihipStream_tbEUlT_E1_NS1_11comp_targetILNS1_3genE3ELNS1_11target_archE908ELNS1_3gpuE7ELNS1_3repE0EEENS1_30default_config_static_selectorELNS0_4arch9wavefront6targetE0EEEvS14_,comdat
.Lfunc_end273:
	.size	_ZN7rocprim17ROCPRIM_400000_NS6detail17trampoline_kernelINS0_14default_configENS1_22reduce_config_selectorIN6thrust23THRUST_200600_302600_NS5tupleIblNS6_9null_typeES8_S8_S8_S8_S8_S8_S8_EEEEZNS1_11reduce_implILb1ES3_NS6_12zip_iteratorINS7_INS6_11hip_rocprim26transform_input_iterator_tIbNSD_35transform_pair_of_input_iterators_tIbNS6_6detail15normal_iteratorINS6_10device_ptrIKiEEEESL_NS6_8equal_toIiEEEENSG_9not_fun_tINSD_8identityEEEEENSD_19counting_iterator_tIlEES8_S8_S8_S8_S8_S8_S8_S8_EEEEPS9_S9_NSD_9__find_if7functorIS9_EEEE10hipError_tPvRmT1_T2_T3_mT4_P12ihipStream_tbEUlT_E1_NS1_11comp_targetILNS1_3genE3ELNS1_11target_archE908ELNS1_3gpuE7ELNS1_3repE0EEENS1_30default_config_static_selectorELNS0_4arch9wavefront6targetE0EEEvS14_, .Lfunc_end273-_ZN7rocprim17ROCPRIM_400000_NS6detail17trampoline_kernelINS0_14default_configENS1_22reduce_config_selectorIN6thrust23THRUST_200600_302600_NS5tupleIblNS6_9null_typeES8_S8_S8_S8_S8_S8_S8_EEEEZNS1_11reduce_implILb1ES3_NS6_12zip_iteratorINS7_INS6_11hip_rocprim26transform_input_iterator_tIbNSD_35transform_pair_of_input_iterators_tIbNS6_6detail15normal_iteratorINS6_10device_ptrIKiEEEESL_NS6_8equal_toIiEEEENSG_9not_fun_tINSD_8identityEEEEENSD_19counting_iterator_tIlEES8_S8_S8_S8_S8_S8_S8_S8_EEEEPS9_S9_NSD_9__find_if7functorIS9_EEEE10hipError_tPvRmT1_T2_T3_mT4_P12ihipStream_tbEUlT_E1_NS1_11comp_targetILNS1_3genE3ELNS1_11target_archE908ELNS1_3gpuE7ELNS1_3repE0EEENS1_30default_config_static_selectorELNS0_4arch9wavefront6targetE0EEEvS14_
                                        ; -- End function
	.set _ZN7rocprim17ROCPRIM_400000_NS6detail17trampoline_kernelINS0_14default_configENS1_22reduce_config_selectorIN6thrust23THRUST_200600_302600_NS5tupleIblNS6_9null_typeES8_S8_S8_S8_S8_S8_S8_EEEEZNS1_11reduce_implILb1ES3_NS6_12zip_iteratorINS7_INS6_11hip_rocprim26transform_input_iterator_tIbNSD_35transform_pair_of_input_iterators_tIbNS6_6detail15normal_iteratorINS6_10device_ptrIKiEEEESL_NS6_8equal_toIiEEEENSG_9not_fun_tINSD_8identityEEEEENSD_19counting_iterator_tIlEES8_S8_S8_S8_S8_S8_S8_S8_EEEEPS9_S9_NSD_9__find_if7functorIS9_EEEE10hipError_tPvRmT1_T2_T3_mT4_P12ihipStream_tbEUlT_E1_NS1_11comp_targetILNS1_3genE3ELNS1_11target_archE908ELNS1_3gpuE7ELNS1_3repE0EEENS1_30default_config_static_selectorELNS0_4arch9wavefront6targetE0EEEvS14_.num_vgpr, 0
	.set _ZN7rocprim17ROCPRIM_400000_NS6detail17trampoline_kernelINS0_14default_configENS1_22reduce_config_selectorIN6thrust23THRUST_200600_302600_NS5tupleIblNS6_9null_typeES8_S8_S8_S8_S8_S8_S8_EEEEZNS1_11reduce_implILb1ES3_NS6_12zip_iteratorINS7_INS6_11hip_rocprim26transform_input_iterator_tIbNSD_35transform_pair_of_input_iterators_tIbNS6_6detail15normal_iteratorINS6_10device_ptrIKiEEEESL_NS6_8equal_toIiEEEENSG_9not_fun_tINSD_8identityEEEEENSD_19counting_iterator_tIlEES8_S8_S8_S8_S8_S8_S8_S8_EEEEPS9_S9_NSD_9__find_if7functorIS9_EEEE10hipError_tPvRmT1_T2_T3_mT4_P12ihipStream_tbEUlT_E1_NS1_11comp_targetILNS1_3genE3ELNS1_11target_archE908ELNS1_3gpuE7ELNS1_3repE0EEENS1_30default_config_static_selectorELNS0_4arch9wavefront6targetE0EEEvS14_.num_agpr, 0
	.set _ZN7rocprim17ROCPRIM_400000_NS6detail17trampoline_kernelINS0_14default_configENS1_22reduce_config_selectorIN6thrust23THRUST_200600_302600_NS5tupleIblNS6_9null_typeES8_S8_S8_S8_S8_S8_S8_EEEEZNS1_11reduce_implILb1ES3_NS6_12zip_iteratorINS7_INS6_11hip_rocprim26transform_input_iterator_tIbNSD_35transform_pair_of_input_iterators_tIbNS6_6detail15normal_iteratorINS6_10device_ptrIKiEEEESL_NS6_8equal_toIiEEEENSG_9not_fun_tINSD_8identityEEEEENSD_19counting_iterator_tIlEES8_S8_S8_S8_S8_S8_S8_S8_EEEEPS9_S9_NSD_9__find_if7functorIS9_EEEE10hipError_tPvRmT1_T2_T3_mT4_P12ihipStream_tbEUlT_E1_NS1_11comp_targetILNS1_3genE3ELNS1_11target_archE908ELNS1_3gpuE7ELNS1_3repE0EEENS1_30default_config_static_selectorELNS0_4arch9wavefront6targetE0EEEvS14_.numbered_sgpr, 0
	.set _ZN7rocprim17ROCPRIM_400000_NS6detail17trampoline_kernelINS0_14default_configENS1_22reduce_config_selectorIN6thrust23THRUST_200600_302600_NS5tupleIblNS6_9null_typeES8_S8_S8_S8_S8_S8_S8_EEEEZNS1_11reduce_implILb1ES3_NS6_12zip_iteratorINS7_INS6_11hip_rocprim26transform_input_iterator_tIbNSD_35transform_pair_of_input_iterators_tIbNS6_6detail15normal_iteratorINS6_10device_ptrIKiEEEESL_NS6_8equal_toIiEEEENSG_9not_fun_tINSD_8identityEEEEENSD_19counting_iterator_tIlEES8_S8_S8_S8_S8_S8_S8_S8_EEEEPS9_S9_NSD_9__find_if7functorIS9_EEEE10hipError_tPvRmT1_T2_T3_mT4_P12ihipStream_tbEUlT_E1_NS1_11comp_targetILNS1_3genE3ELNS1_11target_archE908ELNS1_3gpuE7ELNS1_3repE0EEENS1_30default_config_static_selectorELNS0_4arch9wavefront6targetE0EEEvS14_.num_named_barrier, 0
	.set _ZN7rocprim17ROCPRIM_400000_NS6detail17trampoline_kernelINS0_14default_configENS1_22reduce_config_selectorIN6thrust23THRUST_200600_302600_NS5tupleIblNS6_9null_typeES8_S8_S8_S8_S8_S8_S8_EEEEZNS1_11reduce_implILb1ES3_NS6_12zip_iteratorINS7_INS6_11hip_rocprim26transform_input_iterator_tIbNSD_35transform_pair_of_input_iterators_tIbNS6_6detail15normal_iteratorINS6_10device_ptrIKiEEEESL_NS6_8equal_toIiEEEENSG_9not_fun_tINSD_8identityEEEEENSD_19counting_iterator_tIlEES8_S8_S8_S8_S8_S8_S8_S8_EEEEPS9_S9_NSD_9__find_if7functorIS9_EEEE10hipError_tPvRmT1_T2_T3_mT4_P12ihipStream_tbEUlT_E1_NS1_11comp_targetILNS1_3genE3ELNS1_11target_archE908ELNS1_3gpuE7ELNS1_3repE0EEENS1_30default_config_static_selectorELNS0_4arch9wavefront6targetE0EEEvS14_.private_seg_size, 0
	.set _ZN7rocprim17ROCPRIM_400000_NS6detail17trampoline_kernelINS0_14default_configENS1_22reduce_config_selectorIN6thrust23THRUST_200600_302600_NS5tupleIblNS6_9null_typeES8_S8_S8_S8_S8_S8_S8_EEEEZNS1_11reduce_implILb1ES3_NS6_12zip_iteratorINS7_INS6_11hip_rocprim26transform_input_iterator_tIbNSD_35transform_pair_of_input_iterators_tIbNS6_6detail15normal_iteratorINS6_10device_ptrIKiEEEESL_NS6_8equal_toIiEEEENSG_9not_fun_tINSD_8identityEEEEENSD_19counting_iterator_tIlEES8_S8_S8_S8_S8_S8_S8_S8_EEEEPS9_S9_NSD_9__find_if7functorIS9_EEEE10hipError_tPvRmT1_T2_T3_mT4_P12ihipStream_tbEUlT_E1_NS1_11comp_targetILNS1_3genE3ELNS1_11target_archE908ELNS1_3gpuE7ELNS1_3repE0EEENS1_30default_config_static_selectorELNS0_4arch9wavefront6targetE0EEEvS14_.uses_vcc, 0
	.set _ZN7rocprim17ROCPRIM_400000_NS6detail17trampoline_kernelINS0_14default_configENS1_22reduce_config_selectorIN6thrust23THRUST_200600_302600_NS5tupleIblNS6_9null_typeES8_S8_S8_S8_S8_S8_S8_EEEEZNS1_11reduce_implILb1ES3_NS6_12zip_iteratorINS7_INS6_11hip_rocprim26transform_input_iterator_tIbNSD_35transform_pair_of_input_iterators_tIbNS6_6detail15normal_iteratorINS6_10device_ptrIKiEEEESL_NS6_8equal_toIiEEEENSG_9not_fun_tINSD_8identityEEEEENSD_19counting_iterator_tIlEES8_S8_S8_S8_S8_S8_S8_S8_EEEEPS9_S9_NSD_9__find_if7functorIS9_EEEE10hipError_tPvRmT1_T2_T3_mT4_P12ihipStream_tbEUlT_E1_NS1_11comp_targetILNS1_3genE3ELNS1_11target_archE908ELNS1_3gpuE7ELNS1_3repE0EEENS1_30default_config_static_selectorELNS0_4arch9wavefront6targetE0EEEvS14_.uses_flat_scratch, 0
	.set _ZN7rocprim17ROCPRIM_400000_NS6detail17trampoline_kernelINS0_14default_configENS1_22reduce_config_selectorIN6thrust23THRUST_200600_302600_NS5tupleIblNS6_9null_typeES8_S8_S8_S8_S8_S8_S8_EEEEZNS1_11reduce_implILb1ES3_NS6_12zip_iteratorINS7_INS6_11hip_rocprim26transform_input_iterator_tIbNSD_35transform_pair_of_input_iterators_tIbNS6_6detail15normal_iteratorINS6_10device_ptrIKiEEEESL_NS6_8equal_toIiEEEENSG_9not_fun_tINSD_8identityEEEEENSD_19counting_iterator_tIlEES8_S8_S8_S8_S8_S8_S8_S8_EEEEPS9_S9_NSD_9__find_if7functorIS9_EEEE10hipError_tPvRmT1_T2_T3_mT4_P12ihipStream_tbEUlT_E1_NS1_11comp_targetILNS1_3genE3ELNS1_11target_archE908ELNS1_3gpuE7ELNS1_3repE0EEENS1_30default_config_static_selectorELNS0_4arch9wavefront6targetE0EEEvS14_.has_dyn_sized_stack, 0
	.set _ZN7rocprim17ROCPRIM_400000_NS6detail17trampoline_kernelINS0_14default_configENS1_22reduce_config_selectorIN6thrust23THRUST_200600_302600_NS5tupleIblNS6_9null_typeES8_S8_S8_S8_S8_S8_S8_EEEEZNS1_11reduce_implILb1ES3_NS6_12zip_iteratorINS7_INS6_11hip_rocprim26transform_input_iterator_tIbNSD_35transform_pair_of_input_iterators_tIbNS6_6detail15normal_iteratorINS6_10device_ptrIKiEEEESL_NS6_8equal_toIiEEEENSG_9not_fun_tINSD_8identityEEEEENSD_19counting_iterator_tIlEES8_S8_S8_S8_S8_S8_S8_S8_EEEEPS9_S9_NSD_9__find_if7functorIS9_EEEE10hipError_tPvRmT1_T2_T3_mT4_P12ihipStream_tbEUlT_E1_NS1_11comp_targetILNS1_3genE3ELNS1_11target_archE908ELNS1_3gpuE7ELNS1_3repE0EEENS1_30default_config_static_selectorELNS0_4arch9wavefront6targetE0EEEvS14_.has_recursion, 0
	.set _ZN7rocprim17ROCPRIM_400000_NS6detail17trampoline_kernelINS0_14default_configENS1_22reduce_config_selectorIN6thrust23THRUST_200600_302600_NS5tupleIblNS6_9null_typeES8_S8_S8_S8_S8_S8_S8_EEEEZNS1_11reduce_implILb1ES3_NS6_12zip_iteratorINS7_INS6_11hip_rocprim26transform_input_iterator_tIbNSD_35transform_pair_of_input_iterators_tIbNS6_6detail15normal_iteratorINS6_10device_ptrIKiEEEESL_NS6_8equal_toIiEEEENSG_9not_fun_tINSD_8identityEEEEENSD_19counting_iterator_tIlEES8_S8_S8_S8_S8_S8_S8_S8_EEEEPS9_S9_NSD_9__find_if7functorIS9_EEEE10hipError_tPvRmT1_T2_T3_mT4_P12ihipStream_tbEUlT_E1_NS1_11comp_targetILNS1_3genE3ELNS1_11target_archE908ELNS1_3gpuE7ELNS1_3repE0EEENS1_30default_config_static_selectorELNS0_4arch9wavefront6targetE0EEEvS14_.has_indirect_call, 0
	.section	.AMDGPU.csdata,"",@progbits
; Kernel info:
; codeLenInByte = 0
; TotalNumSgprs: 0
; NumVgprs: 0
; ScratchSize: 0
; MemoryBound: 0
; FloatMode: 240
; IeeeMode: 1
; LDSByteSize: 0 bytes/workgroup (compile time only)
; SGPRBlocks: 0
; VGPRBlocks: 0
; NumSGPRsForWavesPerEU: 1
; NumVGPRsForWavesPerEU: 1
; NamedBarCnt: 0
; Occupancy: 16
; WaveLimiterHint : 0
; COMPUTE_PGM_RSRC2:SCRATCH_EN: 0
; COMPUTE_PGM_RSRC2:USER_SGPR: 2
; COMPUTE_PGM_RSRC2:TRAP_HANDLER: 0
; COMPUTE_PGM_RSRC2:TGID_X_EN: 1
; COMPUTE_PGM_RSRC2:TGID_Y_EN: 0
; COMPUTE_PGM_RSRC2:TGID_Z_EN: 0
; COMPUTE_PGM_RSRC2:TIDIG_COMP_CNT: 0
	.section	.text._ZN7rocprim17ROCPRIM_400000_NS6detail17trampoline_kernelINS0_14default_configENS1_22reduce_config_selectorIN6thrust23THRUST_200600_302600_NS5tupleIblNS6_9null_typeES8_S8_S8_S8_S8_S8_S8_EEEEZNS1_11reduce_implILb1ES3_NS6_12zip_iteratorINS7_INS6_11hip_rocprim26transform_input_iterator_tIbNSD_35transform_pair_of_input_iterators_tIbNS6_6detail15normal_iteratorINS6_10device_ptrIKiEEEESL_NS6_8equal_toIiEEEENSG_9not_fun_tINSD_8identityEEEEENSD_19counting_iterator_tIlEES8_S8_S8_S8_S8_S8_S8_S8_EEEEPS9_S9_NSD_9__find_if7functorIS9_EEEE10hipError_tPvRmT1_T2_T3_mT4_P12ihipStream_tbEUlT_E1_NS1_11comp_targetILNS1_3genE2ELNS1_11target_archE906ELNS1_3gpuE6ELNS1_3repE0EEENS1_30default_config_static_selectorELNS0_4arch9wavefront6targetE0EEEvS14_,"axG",@progbits,_ZN7rocprim17ROCPRIM_400000_NS6detail17trampoline_kernelINS0_14default_configENS1_22reduce_config_selectorIN6thrust23THRUST_200600_302600_NS5tupleIblNS6_9null_typeES8_S8_S8_S8_S8_S8_S8_EEEEZNS1_11reduce_implILb1ES3_NS6_12zip_iteratorINS7_INS6_11hip_rocprim26transform_input_iterator_tIbNSD_35transform_pair_of_input_iterators_tIbNS6_6detail15normal_iteratorINS6_10device_ptrIKiEEEESL_NS6_8equal_toIiEEEENSG_9not_fun_tINSD_8identityEEEEENSD_19counting_iterator_tIlEES8_S8_S8_S8_S8_S8_S8_S8_EEEEPS9_S9_NSD_9__find_if7functorIS9_EEEE10hipError_tPvRmT1_T2_T3_mT4_P12ihipStream_tbEUlT_E1_NS1_11comp_targetILNS1_3genE2ELNS1_11target_archE906ELNS1_3gpuE6ELNS1_3repE0EEENS1_30default_config_static_selectorELNS0_4arch9wavefront6targetE0EEEvS14_,comdat
	.protected	_ZN7rocprim17ROCPRIM_400000_NS6detail17trampoline_kernelINS0_14default_configENS1_22reduce_config_selectorIN6thrust23THRUST_200600_302600_NS5tupleIblNS6_9null_typeES8_S8_S8_S8_S8_S8_S8_EEEEZNS1_11reduce_implILb1ES3_NS6_12zip_iteratorINS7_INS6_11hip_rocprim26transform_input_iterator_tIbNSD_35transform_pair_of_input_iterators_tIbNS6_6detail15normal_iteratorINS6_10device_ptrIKiEEEESL_NS6_8equal_toIiEEEENSG_9not_fun_tINSD_8identityEEEEENSD_19counting_iterator_tIlEES8_S8_S8_S8_S8_S8_S8_S8_EEEEPS9_S9_NSD_9__find_if7functorIS9_EEEE10hipError_tPvRmT1_T2_T3_mT4_P12ihipStream_tbEUlT_E1_NS1_11comp_targetILNS1_3genE2ELNS1_11target_archE906ELNS1_3gpuE6ELNS1_3repE0EEENS1_30default_config_static_selectorELNS0_4arch9wavefront6targetE0EEEvS14_ ; -- Begin function _ZN7rocprim17ROCPRIM_400000_NS6detail17trampoline_kernelINS0_14default_configENS1_22reduce_config_selectorIN6thrust23THRUST_200600_302600_NS5tupleIblNS6_9null_typeES8_S8_S8_S8_S8_S8_S8_EEEEZNS1_11reduce_implILb1ES3_NS6_12zip_iteratorINS7_INS6_11hip_rocprim26transform_input_iterator_tIbNSD_35transform_pair_of_input_iterators_tIbNS6_6detail15normal_iteratorINS6_10device_ptrIKiEEEESL_NS6_8equal_toIiEEEENSG_9not_fun_tINSD_8identityEEEEENSD_19counting_iterator_tIlEES8_S8_S8_S8_S8_S8_S8_S8_EEEEPS9_S9_NSD_9__find_if7functorIS9_EEEE10hipError_tPvRmT1_T2_T3_mT4_P12ihipStream_tbEUlT_E1_NS1_11comp_targetILNS1_3genE2ELNS1_11target_archE906ELNS1_3gpuE6ELNS1_3repE0EEENS1_30default_config_static_selectorELNS0_4arch9wavefront6targetE0EEEvS14_
	.globl	_ZN7rocprim17ROCPRIM_400000_NS6detail17trampoline_kernelINS0_14default_configENS1_22reduce_config_selectorIN6thrust23THRUST_200600_302600_NS5tupleIblNS6_9null_typeES8_S8_S8_S8_S8_S8_S8_EEEEZNS1_11reduce_implILb1ES3_NS6_12zip_iteratorINS7_INS6_11hip_rocprim26transform_input_iterator_tIbNSD_35transform_pair_of_input_iterators_tIbNS6_6detail15normal_iteratorINS6_10device_ptrIKiEEEESL_NS6_8equal_toIiEEEENSG_9not_fun_tINSD_8identityEEEEENSD_19counting_iterator_tIlEES8_S8_S8_S8_S8_S8_S8_S8_EEEEPS9_S9_NSD_9__find_if7functorIS9_EEEE10hipError_tPvRmT1_T2_T3_mT4_P12ihipStream_tbEUlT_E1_NS1_11comp_targetILNS1_3genE2ELNS1_11target_archE906ELNS1_3gpuE6ELNS1_3repE0EEENS1_30default_config_static_selectorELNS0_4arch9wavefront6targetE0EEEvS14_
	.p2align	8
	.type	_ZN7rocprim17ROCPRIM_400000_NS6detail17trampoline_kernelINS0_14default_configENS1_22reduce_config_selectorIN6thrust23THRUST_200600_302600_NS5tupleIblNS6_9null_typeES8_S8_S8_S8_S8_S8_S8_EEEEZNS1_11reduce_implILb1ES3_NS6_12zip_iteratorINS7_INS6_11hip_rocprim26transform_input_iterator_tIbNSD_35transform_pair_of_input_iterators_tIbNS6_6detail15normal_iteratorINS6_10device_ptrIKiEEEESL_NS6_8equal_toIiEEEENSG_9not_fun_tINSD_8identityEEEEENSD_19counting_iterator_tIlEES8_S8_S8_S8_S8_S8_S8_S8_EEEEPS9_S9_NSD_9__find_if7functorIS9_EEEE10hipError_tPvRmT1_T2_T3_mT4_P12ihipStream_tbEUlT_E1_NS1_11comp_targetILNS1_3genE2ELNS1_11target_archE906ELNS1_3gpuE6ELNS1_3repE0EEENS1_30default_config_static_selectorELNS0_4arch9wavefront6targetE0EEEvS14_,@function
_ZN7rocprim17ROCPRIM_400000_NS6detail17trampoline_kernelINS0_14default_configENS1_22reduce_config_selectorIN6thrust23THRUST_200600_302600_NS5tupleIblNS6_9null_typeES8_S8_S8_S8_S8_S8_S8_EEEEZNS1_11reduce_implILb1ES3_NS6_12zip_iteratorINS7_INS6_11hip_rocprim26transform_input_iterator_tIbNSD_35transform_pair_of_input_iterators_tIbNS6_6detail15normal_iteratorINS6_10device_ptrIKiEEEESL_NS6_8equal_toIiEEEENSG_9not_fun_tINSD_8identityEEEEENSD_19counting_iterator_tIlEES8_S8_S8_S8_S8_S8_S8_S8_EEEEPS9_S9_NSD_9__find_if7functorIS9_EEEE10hipError_tPvRmT1_T2_T3_mT4_P12ihipStream_tbEUlT_E1_NS1_11comp_targetILNS1_3genE2ELNS1_11target_archE906ELNS1_3gpuE6ELNS1_3repE0EEENS1_30default_config_static_selectorELNS0_4arch9wavefront6targetE0EEEvS14_: ; @_ZN7rocprim17ROCPRIM_400000_NS6detail17trampoline_kernelINS0_14default_configENS1_22reduce_config_selectorIN6thrust23THRUST_200600_302600_NS5tupleIblNS6_9null_typeES8_S8_S8_S8_S8_S8_S8_EEEEZNS1_11reduce_implILb1ES3_NS6_12zip_iteratorINS7_INS6_11hip_rocprim26transform_input_iterator_tIbNSD_35transform_pair_of_input_iterators_tIbNS6_6detail15normal_iteratorINS6_10device_ptrIKiEEEESL_NS6_8equal_toIiEEEENSG_9not_fun_tINSD_8identityEEEEENSD_19counting_iterator_tIlEES8_S8_S8_S8_S8_S8_S8_S8_EEEEPS9_S9_NSD_9__find_if7functorIS9_EEEE10hipError_tPvRmT1_T2_T3_mT4_P12ihipStream_tbEUlT_E1_NS1_11comp_targetILNS1_3genE2ELNS1_11target_archE906ELNS1_3gpuE6ELNS1_3repE0EEENS1_30default_config_static_selectorELNS0_4arch9wavefront6targetE0EEEvS14_
; %bb.0:
	.section	.rodata,"a",@progbits
	.p2align	6, 0x0
	.amdhsa_kernel _ZN7rocprim17ROCPRIM_400000_NS6detail17trampoline_kernelINS0_14default_configENS1_22reduce_config_selectorIN6thrust23THRUST_200600_302600_NS5tupleIblNS6_9null_typeES8_S8_S8_S8_S8_S8_S8_EEEEZNS1_11reduce_implILb1ES3_NS6_12zip_iteratorINS7_INS6_11hip_rocprim26transform_input_iterator_tIbNSD_35transform_pair_of_input_iterators_tIbNS6_6detail15normal_iteratorINS6_10device_ptrIKiEEEESL_NS6_8equal_toIiEEEENSG_9not_fun_tINSD_8identityEEEEENSD_19counting_iterator_tIlEES8_S8_S8_S8_S8_S8_S8_S8_EEEEPS9_S9_NSD_9__find_if7functorIS9_EEEE10hipError_tPvRmT1_T2_T3_mT4_P12ihipStream_tbEUlT_E1_NS1_11comp_targetILNS1_3genE2ELNS1_11target_archE906ELNS1_3gpuE6ELNS1_3repE0EEENS1_30default_config_static_selectorELNS0_4arch9wavefront6targetE0EEEvS14_
		.amdhsa_group_segment_fixed_size 0
		.amdhsa_private_segment_fixed_size 0
		.amdhsa_kernarg_size 88
		.amdhsa_user_sgpr_count 2
		.amdhsa_user_sgpr_dispatch_ptr 0
		.amdhsa_user_sgpr_queue_ptr 0
		.amdhsa_user_sgpr_kernarg_segment_ptr 1
		.amdhsa_user_sgpr_dispatch_id 0
		.amdhsa_user_sgpr_kernarg_preload_length 0
		.amdhsa_user_sgpr_kernarg_preload_offset 0
		.amdhsa_user_sgpr_private_segment_size 0
		.amdhsa_wavefront_size32 1
		.amdhsa_uses_dynamic_stack 0
		.amdhsa_enable_private_segment 0
		.amdhsa_system_sgpr_workgroup_id_x 1
		.amdhsa_system_sgpr_workgroup_id_y 0
		.amdhsa_system_sgpr_workgroup_id_z 0
		.amdhsa_system_sgpr_workgroup_info 0
		.amdhsa_system_vgpr_workitem_id 0
		.amdhsa_next_free_vgpr 1
		.amdhsa_next_free_sgpr 1
		.amdhsa_named_barrier_count 0
		.amdhsa_reserve_vcc 0
		.amdhsa_float_round_mode_32 0
		.amdhsa_float_round_mode_16_64 0
		.amdhsa_float_denorm_mode_32 3
		.amdhsa_float_denorm_mode_16_64 3
		.amdhsa_fp16_overflow 0
		.amdhsa_memory_ordered 1
		.amdhsa_forward_progress 1
		.amdhsa_inst_pref_size 0
		.amdhsa_round_robin_scheduling 0
		.amdhsa_exception_fp_ieee_invalid_op 0
		.amdhsa_exception_fp_denorm_src 0
		.amdhsa_exception_fp_ieee_div_zero 0
		.amdhsa_exception_fp_ieee_overflow 0
		.amdhsa_exception_fp_ieee_underflow 0
		.amdhsa_exception_fp_ieee_inexact 0
		.amdhsa_exception_int_div_zero 0
	.end_amdhsa_kernel
	.section	.text._ZN7rocprim17ROCPRIM_400000_NS6detail17trampoline_kernelINS0_14default_configENS1_22reduce_config_selectorIN6thrust23THRUST_200600_302600_NS5tupleIblNS6_9null_typeES8_S8_S8_S8_S8_S8_S8_EEEEZNS1_11reduce_implILb1ES3_NS6_12zip_iteratorINS7_INS6_11hip_rocprim26transform_input_iterator_tIbNSD_35transform_pair_of_input_iterators_tIbNS6_6detail15normal_iteratorINS6_10device_ptrIKiEEEESL_NS6_8equal_toIiEEEENSG_9not_fun_tINSD_8identityEEEEENSD_19counting_iterator_tIlEES8_S8_S8_S8_S8_S8_S8_S8_EEEEPS9_S9_NSD_9__find_if7functorIS9_EEEE10hipError_tPvRmT1_T2_T3_mT4_P12ihipStream_tbEUlT_E1_NS1_11comp_targetILNS1_3genE2ELNS1_11target_archE906ELNS1_3gpuE6ELNS1_3repE0EEENS1_30default_config_static_selectorELNS0_4arch9wavefront6targetE0EEEvS14_,"axG",@progbits,_ZN7rocprim17ROCPRIM_400000_NS6detail17trampoline_kernelINS0_14default_configENS1_22reduce_config_selectorIN6thrust23THRUST_200600_302600_NS5tupleIblNS6_9null_typeES8_S8_S8_S8_S8_S8_S8_EEEEZNS1_11reduce_implILb1ES3_NS6_12zip_iteratorINS7_INS6_11hip_rocprim26transform_input_iterator_tIbNSD_35transform_pair_of_input_iterators_tIbNS6_6detail15normal_iteratorINS6_10device_ptrIKiEEEESL_NS6_8equal_toIiEEEENSG_9not_fun_tINSD_8identityEEEEENSD_19counting_iterator_tIlEES8_S8_S8_S8_S8_S8_S8_S8_EEEEPS9_S9_NSD_9__find_if7functorIS9_EEEE10hipError_tPvRmT1_T2_T3_mT4_P12ihipStream_tbEUlT_E1_NS1_11comp_targetILNS1_3genE2ELNS1_11target_archE906ELNS1_3gpuE6ELNS1_3repE0EEENS1_30default_config_static_selectorELNS0_4arch9wavefront6targetE0EEEvS14_,comdat
.Lfunc_end274:
	.size	_ZN7rocprim17ROCPRIM_400000_NS6detail17trampoline_kernelINS0_14default_configENS1_22reduce_config_selectorIN6thrust23THRUST_200600_302600_NS5tupleIblNS6_9null_typeES8_S8_S8_S8_S8_S8_S8_EEEEZNS1_11reduce_implILb1ES3_NS6_12zip_iteratorINS7_INS6_11hip_rocprim26transform_input_iterator_tIbNSD_35transform_pair_of_input_iterators_tIbNS6_6detail15normal_iteratorINS6_10device_ptrIKiEEEESL_NS6_8equal_toIiEEEENSG_9not_fun_tINSD_8identityEEEEENSD_19counting_iterator_tIlEES8_S8_S8_S8_S8_S8_S8_S8_EEEEPS9_S9_NSD_9__find_if7functorIS9_EEEE10hipError_tPvRmT1_T2_T3_mT4_P12ihipStream_tbEUlT_E1_NS1_11comp_targetILNS1_3genE2ELNS1_11target_archE906ELNS1_3gpuE6ELNS1_3repE0EEENS1_30default_config_static_selectorELNS0_4arch9wavefront6targetE0EEEvS14_, .Lfunc_end274-_ZN7rocprim17ROCPRIM_400000_NS6detail17trampoline_kernelINS0_14default_configENS1_22reduce_config_selectorIN6thrust23THRUST_200600_302600_NS5tupleIblNS6_9null_typeES8_S8_S8_S8_S8_S8_S8_EEEEZNS1_11reduce_implILb1ES3_NS6_12zip_iteratorINS7_INS6_11hip_rocprim26transform_input_iterator_tIbNSD_35transform_pair_of_input_iterators_tIbNS6_6detail15normal_iteratorINS6_10device_ptrIKiEEEESL_NS6_8equal_toIiEEEENSG_9not_fun_tINSD_8identityEEEEENSD_19counting_iterator_tIlEES8_S8_S8_S8_S8_S8_S8_S8_EEEEPS9_S9_NSD_9__find_if7functorIS9_EEEE10hipError_tPvRmT1_T2_T3_mT4_P12ihipStream_tbEUlT_E1_NS1_11comp_targetILNS1_3genE2ELNS1_11target_archE906ELNS1_3gpuE6ELNS1_3repE0EEENS1_30default_config_static_selectorELNS0_4arch9wavefront6targetE0EEEvS14_
                                        ; -- End function
	.set _ZN7rocprim17ROCPRIM_400000_NS6detail17trampoline_kernelINS0_14default_configENS1_22reduce_config_selectorIN6thrust23THRUST_200600_302600_NS5tupleIblNS6_9null_typeES8_S8_S8_S8_S8_S8_S8_EEEEZNS1_11reduce_implILb1ES3_NS6_12zip_iteratorINS7_INS6_11hip_rocprim26transform_input_iterator_tIbNSD_35transform_pair_of_input_iterators_tIbNS6_6detail15normal_iteratorINS6_10device_ptrIKiEEEESL_NS6_8equal_toIiEEEENSG_9not_fun_tINSD_8identityEEEEENSD_19counting_iterator_tIlEES8_S8_S8_S8_S8_S8_S8_S8_EEEEPS9_S9_NSD_9__find_if7functorIS9_EEEE10hipError_tPvRmT1_T2_T3_mT4_P12ihipStream_tbEUlT_E1_NS1_11comp_targetILNS1_3genE2ELNS1_11target_archE906ELNS1_3gpuE6ELNS1_3repE0EEENS1_30default_config_static_selectorELNS0_4arch9wavefront6targetE0EEEvS14_.num_vgpr, 0
	.set _ZN7rocprim17ROCPRIM_400000_NS6detail17trampoline_kernelINS0_14default_configENS1_22reduce_config_selectorIN6thrust23THRUST_200600_302600_NS5tupleIblNS6_9null_typeES8_S8_S8_S8_S8_S8_S8_EEEEZNS1_11reduce_implILb1ES3_NS6_12zip_iteratorINS7_INS6_11hip_rocprim26transform_input_iterator_tIbNSD_35transform_pair_of_input_iterators_tIbNS6_6detail15normal_iteratorINS6_10device_ptrIKiEEEESL_NS6_8equal_toIiEEEENSG_9not_fun_tINSD_8identityEEEEENSD_19counting_iterator_tIlEES8_S8_S8_S8_S8_S8_S8_S8_EEEEPS9_S9_NSD_9__find_if7functorIS9_EEEE10hipError_tPvRmT1_T2_T3_mT4_P12ihipStream_tbEUlT_E1_NS1_11comp_targetILNS1_3genE2ELNS1_11target_archE906ELNS1_3gpuE6ELNS1_3repE0EEENS1_30default_config_static_selectorELNS0_4arch9wavefront6targetE0EEEvS14_.num_agpr, 0
	.set _ZN7rocprim17ROCPRIM_400000_NS6detail17trampoline_kernelINS0_14default_configENS1_22reduce_config_selectorIN6thrust23THRUST_200600_302600_NS5tupleIblNS6_9null_typeES8_S8_S8_S8_S8_S8_S8_EEEEZNS1_11reduce_implILb1ES3_NS6_12zip_iteratorINS7_INS6_11hip_rocprim26transform_input_iterator_tIbNSD_35transform_pair_of_input_iterators_tIbNS6_6detail15normal_iteratorINS6_10device_ptrIKiEEEESL_NS6_8equal_toIiEEEENSG_9not_fun_tINSD_8identityEEEEENSD_19counting_iterator_tIlEES8_S8_S8_S8_S8_S8_S8_S8_EEEEPS9_S9_NSD_9__find_if7functorIS9_EEEE10hipError_tPvRmT1_T2_T3_mT4_P12ihipStream_tbEUlT_E1_NS1_11comp_targetILNS1_3genE2ELNS1_11target_archE906ELNS1_3gpuE6ELNS1_3repE0EEENS1_30default_config_static_selectorELNS0_4arch9wavefront6targetE0EEEvS14_.numbered_sgpr, 0
	.set _ZN7rocprim17ROCPRIM_400000_NS6detail17trampoline_kernelINS0_14default_configENS1_22reduce_config_selectorIN6thrust23THRUST_200600_302600_NS5tupleIblNS6_9null_typeES8_S8_S8_S8_S8_S8_S8_EEEEZNS1_11reduce_implILb1ES3_NS6_12zip_iteratorINS7_INS6_11hip_rocprim26transform_input_iterator_tIbNSD_35transform_pair_of_input_iterators_tIbNS6_6detail15normal_iteratorINS6_10device_ptrIKiEEEESL_NS6_8equal_toIiEEEENSG_9not_fun_tINSD_8identityEEEEENSD_19counting_iterator_tIlEES8_S8_S8_S8_S8_S8_S8_S8_EEEEPS9_S9_NSD_9__find_if7functorIS9_EEEE10hipError_tPvRmT1_T2_T3_mT4_P12ihipStream_tbEUlT_E1_NS1_11comp_targetILNS1_3genE2ELNS1_11target_archE906ELNS1_3gpuE6ELNS1_3repE0EEENS1_30default_config_static_selectorELNS0_4arch9wavefront6targetE0EEEvS14_.num_named_barrier, 0
	.set _ZN7rocprim17ROCPRIM_400000_NS6detail17trampoline_kernelINS0_14default_configENS1_22reduce_config_selectorIN6thrust23THRUST_200600_302600_NS5tupleIblNS6_9null_typeES8_S8_S8_S8_S8_S8_S8_EEEEZNS1_11reduce_implILb1ES3_NS6_12zip_iteratorINS7_INS6_11hip_rocprim26transform_input_iterator_tIbNSD_35transform_pair_of_input_iterators_tIbNS6_6detail15normal_iteratorINS6_10device_ptrIKiEEEESL_NS6_8equal_toIiEEEENSG_9not_fun_tINSD_8identityEEEEENSD_19counting_iterator_tIlEES8_S8_S8_S8_S8_S8_S8_S8_EEEEPS9_S9_NSD_9__find_if7functorIS9_EEEE10hipError_tPvRmT1_T2_T3_mT4_P12ihipStream_tbEUlT_E1_NS1_11comp_targetILNS1_3genE2ELNS1_11target_archE906ELNS1_3gpuE6ELNS1_3repE0EEENS1_30default_config_static_selectorELNS0_4arch9wavefront6targetE0EEEvS14_.private_seg_size, 0
	.set _ZN7rocprim17ROCPRIM_400000_NS6detail17trampoline_kernelINS0_14default_configENS1_22reduce_config_selectorIN6thrust23THRUST_200600_302600_NS5tupleIblNS6_9null_typeES8_S8_S8_S8_S8_S8_S8_EEEEZNS1_11reduce_implILb1ES3_NS6_12zip_iteratorINS7_INS6_11hip_rocprim26transform_input_iterator_tIbNSD_35transform_pair_of_input_iterators_tIbNS6_6detail15normal_iteratorINS6_10device_ptrIKiEEEESL_NS6_8equal_toIiEEEENSG_9not_fun_tINSD_8identityEEEEENSD_19counting_iterator_tIlEES8_S8_S8_S8_S8_S8_S8_S8_EEEEPS9_S9_NSD_9__find_if7functorIS9_EEEE10hipError_tPvRmT1_T2_T3_mT4_P12ihipStream_tbEUlT_E1_NS1_11comp_targetILNS1_3genE2ELNS1_11target_archE906ELNS1_3gpuE6ELNS1_3repE0EEENS1_30default_config_static_selectorELNS0_4arch9wavefront6targetE0EEEvS14_.uses_vcc, 0
	.set _ZN7rocprim17ROCPRIM_400000_NS6detail17trampoline_kernelINS0_14default_configENS1_22reduce_config_selectorIN6thrust23THRUST_200600_302600_NS5tupleIblNS6_9null_typeES8_S8_S8_S8_S8_S8_S8_EEEEZNS1_11reduce_implILb1ES3_NS6_12zip_iteratorINS7_INS6_11hip_rocprim26transform_input_iterator_tIbNSD_35transform_pair_of_input_iterators_tIbNS6_6detail15normal_iteratorINS6_10device_ptrIKiEEEESL_NS6_8equal_toIiEEEENSG_9not_fun_tINSD_8identityEEEEENSD_19counting_iterator_tIlEES8_S8_S8_S8_S8_S8_S8_S8_EEEEPS9_S9_NSD_9__find_if7functorIS9_EEEE10hipError_tPvRmT1_T2_T3_mT4_P12ihipStream_tbEUlT_E1_NS1_11comp_targetILNS1_3genE2ELNS1_11target_archE906ELNS1_3gpuE6ELNS1_3repE0EEENS1_30default_config_static_selectorELNS0_4arch9wavefront6targetE0EEEvS14_.uses_flat_scratch, 0
	.set _ZN7rocprim17ROCPRIM_400000_NS6detail17trampoline_kernelINS0_14default_configENS1_22reduce_config_selectorIN6thrust23THRUST_200600_302600_NS5tupleIblNS6_9null_typeES8_S8_S8_S8_S8_S8_S8_EEEEZNS1_11reduce_implILb1ES3_NS6_12zip_iteratorINS7_INS6_11hip_rocprim26transform_input_iterator_tIbNSD_35transform_pair_of_input_iterators_tIbNS6_6detail15normal_iteratorINS6_10device_ptrIKiEEEESL_NS6_8equal_toIiEEEENSG_9not_fun_tINSD_8identityEEEEENSD_19counting_iterator_tIlEES8_S8_S8_S8_S8_S8_S8_S8_EEEEPS9_S9_NSD_9__find_if7functorIS9_EEEE10hipError_tPvRmT1_T2_T3_mT4_P12ihipStream_tbEUlT_E1_NS1_11comp_targetILNS1_3genE2ELNS1_11target_archE906ELNS1_3gpuE6ELNS1_3repE0EEENS1_30default_config_static_selectorELNS0_4arch9wavefront6targetE0EEEvS14_.has_dyn_sized_stack, 0
	.set _ZN7rocprim17ROCPRIM_400000_NS6detail17trampoline_kernelINS0_14default_configENS1_22reduce_config_selectorIN6thrust23THRUST_200600_302600_NS5tupleIblNS6_9null_typeES8_S8_S8_S8_S8_S8_S8_EEEEZNS1_11reduce_implILb1ES3_NS6_12zip_iteratorINS7_INS6_11hip_rocprim26transform_input_iterator_tIbNSD_35transform_pair_of_input_iterators_tIbNS6_6detail15normal_iteratorINS6_10device_ptrIKiEEEESL_NS6_8equal_toIiEEEENSG_9not_fun_tINSD_8identityEEEEENSD_19counting_iterator_tIlEES8_S8_S8_S8_S8_S8_S8_S8_EEEEPS9_S9_NSD_9__find_if7functorIS9_EEEE10hipError_tPvRmT1_T2_T3_mT4_P12ihipStream_tbEUlT_E1_NS1_11comp_targetILNS1_3genE2ELNS1_11target_archE906ELNS1_3gpuE6ELNS1_3repE0EEENS1_30default_config_static_selectorELNS0_4arch9wavefront6targetE0EEEvS14_.has_recursion, 0
	.set _ZN7rocprim17ROCPRIM_400000_NS6detail17trampoline_kernelINS0_14default_configENS1_22reduce_config_selectorIN6thrust23THRUST_200600_302600_NS5tupleIblNS6_9null_typeES8_S8_S8_S8_S8_S8_S8_EEEEZNS1_11reduce_implILb1ES3_NS6_12zip_iteratorINS7_INS6_11hip_rocprim26transform_input_iterator_tIbNSD_35transform_pair_of_input_iterators_tIbNS6_6detail15normal_iteratorINS6_10device_ptrIKiEEEESL_NS6_8equal_toIiEEEENSG_9not_fun_tINSD_8identityEEEEENSD_19counting_iterator_tIlEES8_S8_S8_S8_S8_S8_S8_S8_EEEEPS9_S9_NSD_9__find_if7functorIS9_EEEE10hipError_tPvRmT1_T2_T3_mT4_P12ihipStream_tbEUlT_E1_NS1_11comp_targetILNS1_3genE2ELNS1_11target_archE906ELNS1_3gpuE6ELNS1_3repE0EEENS1_30default_config_static_selectorELNS0_4arch9wavefront6targetE0EEEvS14_.has_indirect_call, 0
	.section	.AMDGPU.csdata,"",@progbits
; Kernel info:
; codeLenInByte = 0
; TotalNumSgprs: 0
; NumVgprs: 0
; ScratchSize: 0
; MemoryBound: 0
; FloatMode: 240
; IeeeMode: 1
; LDSByteSize: 0 bytes/workgroup (compile time only)
; SGPRBlocks: 0
; VGPRBlocks: 0
; NumSGPRsForWavesPerEU: 1
; NumVGPRsForWavesPerEU: 1
; NamedBarCnt: 0
; Occupancy: 16
; WaveLimiterHint : 0
; COMPUTE_PGM_RSRC2:SCRATCH_EN: 0
; COMPUTE_PGM_RSRC2:USER_SGPR: 2
; COMPUTE_PGM_RSRC2:TRAP_HANDLER: 0
; COMPUTE_PGM_RSRC2:TGID_X_EN: 1
; COMPUTE_PGM_RSRC2:TGID_Y_EN: 0
; COMPUTE_PGM_RSRC2:TGID_Z_EN: 0
; COMPUTE_PGM_RSRC2:TIDIG_COMP_CNT: 0
	.section	.text._ZN7rocprim17ROCPRIM_400000_NS6detail17trampoline_kernelINS0_14default_configENS1_22reduce_config_selectorIN6thrust23THRUST_200600_302600_NS5tupleIblNS6_9null_typeES8_S8_S8_S8_S8_S8_S8_EEEEZNS1_11reduce_implILb1ES3_NS6_12zip_iteratorINS7_INS6_11hip_rocprim26transform_input_iterator_tIbNSD_35transform_pair_of_input_iterators_tIbNS6_6detail15normal_iteratorINS6_10device_ptrIKiEEEESL_NS6_8equal_toIiEEEENSG_9not_fun_tINSD_8identityEEEEENSD_19counting_iterator_tIlEES8_S8_S8_S8_S8_S8_S8_S8_EEEEPS9_S9_NSD_9__find_if7functorIS9_EEEE10hipError_tPvRmT1_T2_T3_mT4_P12ihipStream_tbEUlT_E1_NS1_11comp_targetILNS1_3genE10ELNS1_11target_archE1201ELNS1_3gpuE5ELNS1_3repE0EEENS1_30default_config_static_selectorELNS0_4arch9wavefront6targetE0EEEvS14_,"axG",@progbits,_ZN7rocprim17ROCPRIM_400000_NS6detail17trampoline_kernelINS0_14default_configENS1_22reduce_config_selectorIN6thrust23THRUST_200600_302600_NS5tupleIblNS6_9null_typeES8_S8_S8_S8_S8_S8_S8_EEEEZNS1_11reduce_implILb1ES3_NS6_12zip_iteratorINS7_INS6_11hip_rocprim26transform_input_iterator_tIbNSD_35transform_pair_of_input_iterators_tIbNS6_6detail15normal_iteratorINS6_10device_ptrIKiEEEESL_NS6_8equal_toIiEEEENSG_9not_fun_tINSD_8identityEEEEENSD_19counting_iterator_tIlEES8_S8_S8_S8_S8_S8_S8_S8_EEEEPS9_S9_NSD_9__find_if7functorIS9_EEEE10hipError_tPvRmT1_T2_T3_mT4_P12ihipStream_tbEUlT_E1_NS1_11comp_targetILNS1_3genE10ELNS1_11target_archE1201ELNS1_3gpuE5ELNS1_3repE0EEENS1_30default_config_static_selectorELNS0_4arch9wavefront6targetE0EEEvS14_,comdat
	.protected	_ZN7rocprim17ROCPRIM_400000_NS6detail17trampoline_kernelINS0_14default_configENS1_22reduce_config_selectorIN6thrust23THRUST_200600_302600_NS5tupleIblNS6_9null_typeES8_S8_S8_S8_S8_S8_S8_EEEEZNS1_11reduce_implILb1ES3_NS6_12zip_iteratorINS7_INS6_11hip_rocprim26transform_input_iterator_tIbNSD_35transform_pair_of_input_iterators_tIbNS6_6detail15normal_iteratorINS6_10device_ptrIKiEEEESL_NS6_8equal_toIiEEEENSG_9not_fun_tINSD_8identityEEEEENSD_19counting_iterator_tIlEES8_S8_S8_S8_S8_S8_S8_S8_EEEEPS9_S9_NSD_9__find_if7functorIS9_EEEE10hipError_tPvRmT1_T2_T3_mT4_P12ihipStream_tbEUlT_E1_NS1_11comp_targetILNS1_3genE10ELNS1_11target_archE1201ELNS1_3gpuE5ELNS1_3repE0EEENS1_30default_config_static_selectorELNS0_4arch9wavefront6targetE0EEEvS14_ ; -- Begin function _ZN7rocprim17ROCPRIM_400000_NS6detail17trampoline_kernelINS0_14default_configENS1_22reduce_config_selectorIN6thrust23THRUST_200600_302600_NS5tupleIblNS6_9null_typeES8_S8_S8_S8_S8_S8_S8_EEEEZNS1_11reduce_implILb1ES3_NS6_12zip_iteratorINS7_INS6_11hip_rocprim26transform_input_iterator_tIbNSD_35transform_pair_of_input_iterators_tIbNS6_6detail15normal_iteratorINS6_10device_ptrIKiEEEESL_NS6_8equal_toIiEEEENSG_9not_fun_tINSD_8identityEEEEENSD_19counting_iterator_tIlEES8_S8_S8_S8_S8_S8_S8_S8_EEEEPS9_S9_NSD_9__find_if7functorIS9_EEEE10hipError_tPvRmT1_T2_T3_mT4_P12ihipStream_tbEUlT_E1_NS1_11comp_targetILNS1_3genE10ELNS1_11target_archE1201ELNS1_3gpuE5ELNS1_3repE0EEENS1_30default_config_static_selectorELNS0_4arch9wavefront6targetE0EEEvS14_
	.globl	_ZN7rocprim17ROCPRIM_400000_NS6detail17trampoline_kernelINS0_14default_configENS1_22reduce_config_selectorIN6thrust23THRUST_200600_302600_NS5tupleIblNS6_9null_typeES8_S8_S8_S8_S8_S8_S8_EEEEZNS1_11reduce_implILb1ES3_NS6_12zip_iteratorINS7_INS6_11hip_rocprim26transform_input_iterator_tIbNSD_35transform_pair_of_input_iterators_tIbNS6_6detail15normal_iteratorINS6_10device_ptrIKiEEEESL_NS6_8equal_toIiEEEENSG_9not_fun_tINSD_8identityEEEEENSD_19counting_iterator_tIlEES8_S8_S8_S8_S8_S8_S8_S8_EEEEPS9_S9_NSD_9__find_if7functorIS9_EEEE10hipError_tPvRmT1_T2_T3_mT4_P12ihipStream_tbEUlT_E1_NS1_11comp_targetILNS1_3genE10ELNS1_11target_archE1201ELNS1_3gpuE5ELNS1_3repE0EEENS1_30default_config_static_selectorELNS0_4arch9wavefront6targetE0EEEvS14_
	.p2align	8
	.type	_ZN7rocprim17ROCPRIM_400000_NS6detail17trampoline_kernelINS0_14default_configENS1_22reduce_config_selectorIN6thrust23THRUST_200600_302600_NS5tupleIblNS6_9null_typeES8_S8_S8_S8_S8_S8_S8_EEEEZNS1_11reduce_implILb1ES3_NS6_12zip_iteratorINS7_INS6_11hip_rocprim26transform_input_iterator_tIbNSD_35transform_pair_of_input_iterators_tIbNS6_6detail15normal_iteratorINS6_10device_ptrIKiEEEESL_NS6_8equal_toIiEEEENSG_9not_fun_tINSD_8identityEEEEENSD_19counting_iterator_tIlEES8_S8_S8_S8_S8_S8_S8_S8_EEEEPS9_S9_NSD_9__find_if7functorIS9_EEEE10hipError_tPvRmT1_T2_T3_mT4_P12ihipStream_tbEUlT_E1_NS1_11comp_targetILNS1_3genE10ELNS1_11target_archE1201ELNS1_3gpuE5ELNS1_3repE0EEENS1_30default_config_static_selectorELNS0_4arch9wavefront6targetE0EEEvS14_,@function
_ZN7rocprim17ROCPRIM_400000_NS6detail17trampoline_kernelINS0_14default_configENS1_22reduce_config_selectorIN6thrust23THRUST_200600_302600_NS5tupleIblNS6_9null_typeES8_S8_S8_S8_S8_S8_S8_EEEEZNS1_11reduce_implILb1ES3_NS6_12zip_iteratorINS7_INS6_11hip_rocprim26transform_input_iterator_tIbNSD_35transform_pair_of_input_iterators_tIbNS6_6detail15normal_iteratorINS6_10device_ptrIKiEEEESL_NS6_8equal_toIiEEEENSG_9not_fun_tINSD_8identityEEEEENSD_19counting_iterator_tIlEES8_S8_S8_S8_S8_S8_S8_S8_EEEEPS9_S9_NSD_9__find_if7functorIS9_EEEE10hipError_tPvRmT1_T2_T3_mT4_P12ihipStream_tbEUlT_E1_NS1_11comp_targetILNS1_3genE10ELNS1_11target_archE1201ELNS1_3gpuE5ELNS1_3repE0EEENS1_30default_config_static_selectorELNS0_4arch9wavefront6targetE0EEEvS14_: ; @_ZN7rocprim17ROCPRIM_400000_NS6detail17trampoline_kernelINS0_14default_configENS1_22reduce_config_selectorIN6thrust23THRUST_200600_302600_NS5tupleIblNS6_9null_typeES8_S8_S8_S8_S8_S8_S8_EEEEZNS1_11reduce_implILb1ES3_NS6_12zip_iteratorINS7_INS6_11hip_rocprim26transform_input_iterator_tIbNSD_35transform_pair_of_input_iterators_tIbNS6_6detail15normal_iteratorINS6_10device_ptrIKiEEEESL_NS6_8equal_toIiEEEENSG_9not_fun_tINSD_8identityEEEEENSD_19counting_iterator_tIlEES8_S8_S8_S8_S8_S8_S8_S8_EEEEPS9_S9_NSD_9__find_if7functorIS9_EEEE10hipError_tPvRmT1_T2_T3_mT4_P12ihipStream_tbEUlT_E1_NS1_11comp_targetILNS1_3genE10ELNS1_11target_archE1201ELNS1_3gpuE5ELNS1_3repE0EEENS1_30default_config_static_selectorELNS0_4arch9wavefront6targetE0EEEvS14_
; %bb.0:
	.section	.rodata,"a",@progbits
	.p2align	6, 0x0
	.amdhsa_kernel _ZN7rocprim17ROCPRIM_400000_NS6detail17trampoline_kernelINS0_14default_configENS1_22reduce_config_selectorIN6thrust23THRUST_200600_302600_NS5tupleIblNS6_9null_typeES8_S8_S8_S8_S8_S8_S8_EEEEZNS1_11reduce_implILb1ES3_NS6_12zip_iteratorINS7_INS6_11hip_rocprim26transform_input_iterator_tIbNSD_35transform_pair_of_input_iterators_tIbNS6_6detail15normal_iteratorINS6_10device_ptrIKiEEEESL_NS6_8equal_toIiEEEENSG_9not_fun_tINSD_8identityEEEEENSD_19counting_iterator_tIlEES8_S8_S8_S8_S8_S8_S8_S8_EEEEPS9_S9_NSD_9__find_if7functorIS9_EEEE10hipError_tPvRmT1_T2_T3_mT4_P12ihipStream_tbEUlT_E1_NS1_11comp_targetILNS1_3genE10ELNS1_11target_archE1201ELNS1_3gpuE5ELNS1_3repE0EEENS1_30default_config_static_selectorELNS0_4arch9wavefront6targetE0EEEvS14_
		.amdhsa_group_segment_fixed_size 0
		.amdhsa_private_segment_fixed_size 0
		.amdhsa_kernarg_size 88
		.amdhsa_user_sgpr_count 2
		.amdhsa_user_sgpr_dispatch_ptr 0
		.amdhsa_user_sgpr_queue_ptr 0
		.amdhsa_user_sgpr_kernarg_segment_ptr 1
		.amdhsa_user_sgpr_dispatch_id 0
		.amdhsa_user_sgpr_kernarg_preload_length 0
		.amdhsa_user_sgpr_kernarg_preload_offset 0
		.amdhsa_user_sgpr_private_segment_size 0
		.amdhsa_wavefront_size32 1
		.amdhsa_uses_dynamic_stack 0
		.amdhsa_enable_private_segment 0
		.amdhsa_system_sgpr_workgroup_id_x 1
		.amdhsa_system_sgpr_workgroup_id_y 0
		.amdhsa_system_sgpr_workgroup_id_z 0
		.amdhsa_system_sgpr_workgroup_info 0
		.amdhsa_system_vgpr_workitem_id 0
		.amdhsa_next_free_vgpr 1
		.amdhsa_next_free_sgpr 1
		.amdhsa_named_barrier_count 0
		.amdhsa_reserve_vcc 0
		.amdhsa_float_round_mode_32 0
		.amdhsa_float_round_mode_16_64 0
		.amdhsa_float_denorm_mode_32 3
		.amdhsa_float_denorm_mode_16_64 3
		.amdhsa_fp16_overflow 0
		.amdhsa_memory_ordered 1
		.amdhsa_forward_progress 1
		.amdhsa_inst_pref_size 0
		.amdhsa_round_robin_scheduling 0
		.amdhsa_exception_fp_ieee_invalid_op 0
		.amdhsa_exception_fp_denorm_src 0
		.amdhsa_exception_fp_ieee_div_zero 0
		.amdhsa_exception_fp_ieee_overflow 0
		.amdhsa_exception_fp_ieee_underflow 0
		.amdhsa_exception_fp_ieee_inexact 0
		.amdhsa_exception_int_div_zero 0
	.end_amdhsa_kernel
	.section	.text._ZN7rocprim17ROCPRIM_400000_NS6detail17trampoline_kernelINS0_14default_configENS1_22reduce_config_selectorIN6thrust23THRUST_200600_302600_NS5tupleIblNS6_9null_typeES8_S8_S8_S8_S8_S8_S8_EEEEZNS1_11reduce_implILb1ES3_NS6_12zip_iteratorINS7_INS6_11hip_rocprim26transform_input_iterator_tIbNSD_35transform_pair_of_input_iterators_tIbNS6_6detail15normal_iteratorINS6_10device_ptrIKiEEEESL_NS6_8equal_toIiEEEENSG_9not_fun_tINSD_8identityEEEEENSD_19counting_iterator_tIlEES8_S8_S8_S8_S8_S8_S8_S8_EEEEPS9_S9_NSD_9__find_if7functorIS9_EEEE10hipError_tPvRmT1_T2_T3_mT4_P12ihipStream_tbEUlT_E1_NS1_11comp_targetILNS1_3genE10ELNS1_11target_archE1201ELNS1_3gpuE5ELNS1_3repE0EEENS1_30default_config_static_selectorELNS0_4arch9wavefront6targetE0EEEvS14_,"axG",@progbits,_ZN7rocprim17ROCPRIM_400000_NS6detail17trampoline_kernelINS0_14default_configENS1_22reduce_config_selectorIN6thrust23THRUST_200600_302600_NS5tupleIblNS6_9null_typeES8_S8_S8_S8_S8_S8_S8_EEEEZNS1_11reduce_implILb1ES3_NS6_12zip_iteratorINS7_INS6_11hip_rocprim26transform_input_iterator_tIbNSD_35transform_pair_of_input_iterators_tIbNS6_6detail15normal_iteratorINS6_10device_ptrIKiEEEESL_NS6_8equal_toIiEEEENSG_9not_fun_tINSD_8identityEEEEENSD_19counting_iterator_tIlEES8_S8_S8_S8_S8_S8_S8_S8_EEEEPS9_S9_NSD_9__find_if7functorIS9_EEEE10hipError_tPvRmT1_T2_T3_mT4_P12ihipStream_tbEUlT_E1_NS1_11comp_targetILNS1_3genE10ELNS1_11target_archE1201ELNS1_3gpuE5ELNS1_3repE0EEENS1_30default_config_static_selectorELNS0_4arch9wavefront6targetE0EEEvS14_,comdat
.Lfunc_end275:
	.size	_ZN7rocprim17ROCPRIM_400000_NS6detail17trampoline_kernelINS0_14default_configENS1_22reduce_config_selectorIN6thrust23THRUST_200600_302600_NS5tupleIblNS6_9null_typeES8_S8_S8_S8_S8_S8_S8_EEEEZNS1_11reduce_implILb1ES3_NS6_12zip_iteratorINS7_INS6_11hip_rocprim26transform_input_iterator_tIbNSD_35transform_pair_of_input_iterators_tIbNS6_6detail15normal_iteratorINS6_10device_ptrIKiEEEESL_NS6_8equal_toIiEEEENSG_9not_fun_tINSD_8identityEEEEENSD_19counting_iterator_tIlEES8_S8_S8_S8_S8_S8_S8_S8_EEEEPS9_S9_NSD_9__find_if7functorIS9_EEEE10hipError_tPvRmT1_T2_T3_mT4_P12ihipStream_tbEUlT_E1_NS1_11comp_targetILNS1_3genE10ELNS1_11target_archE1201ELNS1_3gpuE5ELNS1_3repE0EEENS1_30default_config_static_selectorELNS0_4arch9wavefront6targetE0EEEvS14_, .Lfunc_end275-_ZN7rocprim17ROCPRIM_400000_NS6detail17trampoline_kernelINS0_14default_configENS1_22reduce_config_selectorIN6thrust23THRUST_200600_302600_NS5tupleIblNS6_9null_typeES8_S8_S8_S8_S8_S8_S8_EEEEZNS1_11reduce_implILb1ES3_NS6_12zip_iteratorINS7_INS6_11hip_rocprim26transform_input_iterator_tIbNSD_35transform_pair_of_input_iterators_tIbNS6_6detail15normal_iteratorINS6_10device_ptrIKiEEEESL_NS6_8equal_toIiEEEENSG_9not_fun_tINSD_8identityEEEEENSD_19counting_iterator_tIlEES8_S8_S8_S8_S8_S8_S8_S8_EEEEPS9_S9_NSD_9__find_if7functorIS9_EEEE10hipError_tPvRmT1_T2_T3_mT4_P12ihipStream_tbEUlT_E1_NS1_11comp_targetILNS1_3genE10ELNS1_11target_archE1201ELNS1_3gpuE5ELNS1_3repE0EEENS1_30default_config_static_selectorELNS0_4arch9wavefront6targetE0EEEvS14_
                                        ; -- End function
	.set _ZN7rocprim17ROCPRIM_400000_NS6detail17trampoline_kernelINS0_14default_configENS1_22reduce_config_selectorIN6thrust23THRUST_200600_302600_NS5tupleIblNS6_9null_typeES8_S8_S8_S8_S8_S8_S8_EEEEZNS1_11reduce_implILb1ES3_NS6_12zip_iteratorINS7_INS6_11hip_rocprim26transform_input_iterator_tIbNSD_35transform_pair_of_input_iterators_tIbNS6_6detail15normal_iteratorINS6_10device_ptrIKiEEEESL_NS6_8equal_toIiEEEENSG_9not_fun_tINSD_8identityEEEEENSD_19counting_iterator_tIlEES8_S8_S8_S8_S8_S8_S8_S8_EEEEPS9_S9_NSD_9__find_if7functorIS9_EEEE10hipError_tPvRmT1_T2_T3_mT4_P12ihipStream_tbEUlT_E1_NS1_11comp_targetILNS1_3genE10ELNS1_11target_archE1201ELNS1_3gpuE5ELNS1_3repE0EEENS1_30default_config_static_selectorELNS0_4arch9wavefront6targetE0EEEvS14_.num_vgpr, 0
	.set _ZN7rocprim17ROCPRIM_400000_NS6detail17trampoline_kernelINS0_14default_configENS1_22reduce_config_selectorIN6thrust23THRUST_200600_302600_NS5tupleIblNS6_9null_typeES8_S8_S8_S8_S8_S8_S8_EEEEZNS1_11reduce_implILb1ES3_NS6_12zip_iteratorINS7_INS6_11hip_rocprim26transform_input_iterator_tIbNSD_35transform_pair_of_input_iterators_tIbNS6_6detail15normal_iteratorINS6_10device_ptrIKiEEEESL_NS6_8equal_toIiEEEENSG_9not_fun_tINSD_8identityEEEEENSD_19counting_iterator_tIlEES8_S8_S8_S8_S8_S8_S8_S8_EEEEPS9_S9_NSD_9__find_if7functorIS9_EEEE10hipError_tPvRmT1_T2_T3_mT4_P12ihipStream_tbEUlT_E1_NS1_11comp_targetILNS1_3genE10ELNS1_11target_archE1201ELNS1_3gpuE5ELNS1_3repE0EEENS1_30default_config_static_selectorELNS0_4arch9wavefront6targetE0EEEvS14_.num_agpr, 0
	.set _ZN7rocprim17ROCPRIM_400000_NS6detail17trampoline_kernelINS0_14default_configENS1_22reduce_config_selectorIN6thrust23THRUST_200600_302600_NS5tupleIblNS6_9null_typeES8_S8_S8_S8_S8_S8_S8_EEEEZNS1_11reduce_implILb1ES3_NS6_12zip_iteratorINS7_INS6_11hip_rocprim26transform_input_iterator_tIbNSD_35transform_pair_of_input_iterators_tIbNS6_6detail15normal_iteratorINS6_10device_ptrIKiEEEESL_NS6_8equal_toIiEEEENSG_9not_fun_tINSD_8identityEEEEENSD_19counting_iterator_tIlEES8_S8_S8_S8_S8_S8_S8_S8_EEEEPS9_S9_NSD_9__find_if7functorIS9_EEEE10hipError_tPvRmT1_T2_T3_mT4_P12ihipStream_tbEUlT_E1_NS1_11comp_targetILNS1_3genE10ELNS1_11target_archE1201ELNS1_3gpuE5ELNS1_3repE0EEENS1_30default_config_static_selectorELNS0_4arch9wavefront6targetE0EEEvS14_.numbered_sgpr, 0
	.set _ZN7rocprim17ROCPRIM_400000_NS6detail17trampoline_kernelINS0_14default_configENS1_22reduce_config_selectorIN6thrust23THRUST_200600_302600_NS5tupleIblNS6_9null_typeES8_S8_S8_S8_S8_S8_S8_EEEEZNS1_11reduce_implILb1ES3_NS6_12zip_iteratorINS7_INS6_11hip_rocprim26transform_input_iterator_tIbNSD_35transform_pair_of_input_iterators_tIbNS6_6detail15normal_iteratorINS6_10device_ptrIKiEEEESL_NS6_8equal_toIiEEEENSG_9not_fun_tINSD_8identityEEEEENSD_19counting_iterator_tIlEES8_S8_S8_S8_S8_S8_S8_S8_EEEEPS9_S9_NSD_9__find_if7functorIS9_EEEE10hipError_tPvRmT1_T2_T3_mT4_P12ihipStream_tbEUlT_E1_NS1_11comp_targetILNS1_3genE10ELNS1_11target_archE1201ELNS1_3gpuE5ELNS1_3repE0EEENS1_30default_config_static_selectorELNS0_4arch9wavefront6targetE0EEEvS14_.num_named_barrier, 0
	.set _ZN7rocprim17ROCPRIM_400000_NS6detail17trampoline_kernelINS0_14default_configENS1_22reduce_config_selectorIN6thrust23THRUST_200600_302600_NS5tupleIblNS6_9null_typeES8_S8_S8_S8_S8_S8_S8_EEEEZNS1_11reduce_implILb1ES3_NS6_12zip_iteratorINS7_INS6_11hip_rocprim26transform_input_iterator_tIbNSD_35transform_pair_of_input_iterators_tIbNS6_6detail15normal_iteratorINS6_10device_ptrIKiEEEESL_NS6_8equal_toIiEEEENSG_9not_fun_tINSD_8identityEEEEENSD_19counting_iterator_tIlEES8_S8_S8_S8_S8_S8_S8_S8_EEEEPS9_S9_NSD_9__find_if7functorIS9_EEEE10hipError_tPvRmT1_T2_T3_mT4_P12ihipStream_tbEUlT_E1_NS1_11comp_targetILNS1_3genE10ELNS1_11target_archE1201ELNS1_3gpuE5ELNS1_3repE0EEENS1_30default_config_static_selectorELNS0_4arch9wavefront6targetE0EEEvS14_.private_seg_size, 0
	.set _ZN7rocprim17ROCPRIM_400000_NS6detail17trampoline_kernelINS0_14default_configENS1_22reduce_config_selectorIN6thrust23THRUST_200600_302600_NS5tupleIblNS6_9null_typeES8_S8_S8_S8_S8_S8_S8_EEEEZNS1_11reduce_implILb1ES3_NS6_12zip_iteratorINS7_INS6_11hip_rocprim26transform_input_iterator_tIbNSD_35transform_pair_of_input_iterators_tIbNS6_6detail15normal_iteratorINS6_10device_ptrIKiEEEESL_NS6_8equal_toIiEEEENSG_9not_fun_tINSD_8identityEEEEENSD_19counting_iterator_tIlEES8_S8_S8_S8_S8_S8_S8_S8_EEEEPS9_S9_NSD_9__find_if7functorIS9_EEEE10hipError_tPvRmT1_T2_T3_mT4_P12ihipStream_tbEUlT_E1_NS1_11comp_targetILNS1_3genE10ELNS1_11target_archE1201ELNS1_3gpuE5ELNS1_3repE0EEENS1_30default_config_static_selectorELNS0_4arch9wavefront6targetE0EEEvS14_.uses_vcc, 0
	.set _ZN7rocprim17ROCPRIM_400000_NS6detail17trampoline_kernelINS0_14default_configENS1_22reduce_config_selectorIN6thrust23THRUST_200600_302600_NS5tupleIblNS6_9null_typeES8_S8_S8_S8_S8_S8_S8_EEEEZNS1_11reduce_implILb1ES3_NS6_12zip_iteratorINS7_INS6_11hip_rocprim26transform_input_iterator_tIbNSD_35transform_pair_of_input_iterators_tIbNS6_6detail15normal_iteratorINS6_10device_ptrIKiEEEESL_NS6_8equal_toIiEEEENSG_9not_fun_tINSD_8identityEEEEENSD_19counting_iterator_tIlEES8_S8_S8_S8_S8_S8_S8_S8_EEEEPS9_S9_NSD_9__find_if7functorIS9_EEEE10hipError_tPvRmT1_T2_T3_mT4_P12ihipStream_tbEUlT_E1_NS1_11comp_targetILNS1_3genE10ELNS1_11target_archE1201ELNS1_3gpuE5ELNS1_3repE0EEENS1_30default_config_static_selectorELNS0_4arch9wavefront6targetE0EEEvS14_.uses_flat_scratch, 0
	.set _ZN7rocprim17ROCPRIM_400000_NS6detail17trampoline_kernelINS0_14default_configENS1_22reduce_config_selectorIN6thrust23THRUST_200600_302600_NS5tupleIblNS6_9null_typeES8_S8_S8_S8_S8_S8_S8_EEEEZNS1_11reduce_implILb1ES3_NS6_12zip_iteratorINS7_INS6_11hip_rocprim26transform_input_iterator_tIbNSD_35transform_pair_of_input_iterators_tIbNS6_6detail15normal_iteratorINS6_10device_ptrIKiEEEESL_NS6_8equal_toIiEEEENSG_9not_fun_tINSD_8identityEEEEENSD_19counting_iterator_tIlEES8_S8_S8_S8_S8_S8_S8_S8_EEEEPS9_S9_NSD_9__find_if7functorIS9_EEEE10hipError_tPvRmT1_T2_T3_mT4_P12ihipStream_tbEUlT_E1_NS1_11comp_targetILNS1_3genE10ELNS1_11target_archE1201ELNS1_3gpuE5ELNS1_3repE0EEENS1_30default_config_static_selectorELNS0_4arch9wavefront6targetE0EEEvS14_.has_dyn_sized_stack, 0
	.set _ZN7rocprim17ROCPRIM_400000_NS6detail17trampoline_kernelINS0_14default_configENS1_22reduce_config_selectorIN6thrust23THRUST_200600_302600_NS5tupleIblNS6_9null_typeES8_S8_S8_S8_S8_S8_S8_EEEEZNS1_11reduce_implILb1ES3_NS6_12zip_iteratorINS7_INS6_11hip_rocprim26transform_input_iterator_tIbNSD_35transform_pair_of_input_iterators_tIbNS6_6detail15normal_iteratorINS6_10device_ptrIKiEEEESL_NS6_8equal_toIiEEEENSG_9not_fun_tINSD_8identityEEEEENSD_19counting_iterator_tIlEES8_S8_S8_S8_S8_S8_S8_S8_EEEEPS9_S9_NSD_9__find_if7functorIS9_EEEE10hipError_tPvRmT1_T2_T3_mT4_P12ihipStream_tbEUlT_E1_NS1_11comp_targetILNS1_3genE10ELNS1_11target_archE1201ELNS1_3gpuE5ELNS1_3repE0EEENS1_30default_config_static_selectorELNS0_4arch9wavefront6targetE0EEEvS14_.has_recursion, 0
	.set _ZN7rocprim17ROCPRIM_400000_NS6detail17trampoline_kernelINS0_14default_configENS1_22reduce_config_selectorIN6thrust23THRUST_200600_302600_NS5tupleIblNS6_9null_typeES8_S8_S8_S8_S8_S8_S8_EEEEZNS1_11reduce_implILb1ES3_NS6_12zip_iteratorINS7_INS6_11hip_rocprim26transform_input_iterator_tIbNSD_35transform_pair_of_input_iterators_tIbNS6_6detail15normal_iteratorINS6_10device_ptrIKiEEEESL_NS6_8equal_toIiEEEENSG_9not_fun_tINSD_8identityEEEEENSD_19counting_iterator_tIlEES8_S8_S8_S8_S8_S8_S8_S8_EEEEPS9_S9_NSD_9__find_if7functorIS9_EEEE10hipError_tPvRmT1_T2_T3_mT4_P12ihipStream_tbEUlT_E1_NS1_11comp_targetILNS1_3genE10ELNS1_11target_archE1201ELNS1_3gpuE5ELNS1_3repE0EEENS1_30default_config_static_selectorELNS0_4arch9wavefront6targetE0EEEvS14_.has_indirect_call, 0
	.section	.AMDGPU.csdata,"",@progbits
; Kernel info:
; codeLenInByte = 0
; TotalNumSgprs: 0
; NumVgprs: 0
; ScratchSize: 0
; MemoryBound: 0
; FloatMode: 240
; IeeeMode: 1
; LDSByteSize: 0 bytes/workgroup (compile time only)
; SGPRBlocks: 0
; VGPRBlocks: 0
; NumSGPRsForWavesPerEU: 1
; NumVGPRsForWavesPerEU: 1
; NamedBarCnt: 0
; Occupancy: 16
; WaveLimiterHint : 0
; COMPUTE_PGM_RSRC2:SCRATCH_EN: 0
; COMPUTE_PGM_RSRC2:USER_SGPR: 2
; COMPUTE_PGM_RSRC2:TRAP_HANDLER: 0
; COMPUTE_PGM_RSRC2:TGID_X_EN: 1
; COMPUTE_PGM_RSRC2:TGID_Y_EN: 0
; COMPUTE_PGM_RSRC2:TGID_Z_EN: 0
; COMPUTE_PGM_RSRC2:TIDIG_COMP_CNT: 0
	.section	.text._ZN7rocprim17ROCPRIM_400000_NS6detail17trampoline_kernelINS0_14default_configENS1_22reduce_config_selectorIN6thrust23THRUST_200600_302600_NS5tupleIblNS6_9null_typeES8_S8_S8_S8_S8_S8_S8_EEEEZNS1_11reduce_implILb1ES3_NS6_12zip_iteratorINS7_INS6_11hip_rocprim26transform_input_iterator_tIbNSD_35transform_pair_of_input_iterators_tIbNS6_6detail15normal_iteratorINS6_10device_ptrIKiEEEESL_NS6_8equal_toIiEEEENSG_9not_fun_tINSD_8identityEEEEENSD_19counting_iterator_tIlEES8_S8_S8_S8_S8_S8_S8_S8_EEEEPS9_S9_NSD_9__find_if7functorIS9_EEEE10hipError_tPvRmT1_T2_T3_mT4_P12ihipStream_tbEUlT_E1_NS1_11comp_targetILNS1_3genE10ELNS1_11target_archE1200ELNS1_3gpuE4ELNS1_3repE0EEENS1_30default_config_static_selectorELNS0_4arch9wavefront6targetE0EEEvS14_,"axG",@progbits,_ZN7rocprim17ROCPRIM_400000_NS6detail17trampoline_kernelINS0_14default_configENS1_22reduce_config_selectorIN6thrust23THRUST_200600_302600_NS5tupleIblNS6_9null_typeES8_S8_S8_S8_S8_S8_S8_EEEEZNS1_11reduce_implILb1ES3_NS6_12zip_iteratorINS7_INS6_11hip_rocprim26transform_input_iterator_tIbNSD_35transform_pair_of_input_iterators_tIbNS6_6detail15normal_iteratorINS6_10device_ptrIKiEEEESL_NS6_8equal_toIiEEEENSG_9not_fun_tINSD_8identityEEEEENSD_19counting_iterator_tIlEES8_S8_S8_S8_S8_S8_S8_S8_EEEEPS9_S9_NSD_9__find_if7functorIS9_EEEE10hipError_tPvRmT1_T2_T3_mT4_P12ihipStream_tbEUlT_E1_NS1_11comp_targetILNS1_3genE10ELNS1_11target_archE1200ELNS1_3gpuE4ELNS1_3repE0EEENS1_30default_config_static_selectorELNS0_4arch9wavefront6targetE0EEEvS14_,comdat
	.protected	_ZN7rocprim17ROCPRIM_400000_NS6detail17trampoline_kernelINS0_14default_configENS1_22reduce_config_selectorIN6thrust23THRUST_200600_302600_NS5tupleIblNS6_9null_typeES8_S8_S8_S8_S8_S8_S8_EEEEZNS1_11reduce_implILb1ES3_NS6_12zip_iteratorINS7_INS6_11hip_rocprim26transform_input_iterator_tIbNSD_35transform_pair_of_input_iterators_tIbNS6_6detail15normal_iteratorINS6_10device_ptrIKiEEEESL_NS6_8equal_toIiEEEENSG_9not_fun_tINSD_8identityEEEEENSD_19counting_iterator_tIlEES8_S8_S8_S8_S8_S8_S8_S8_EEEEPS9_S9_NSD_9__find_if7functorIS9_EEEE10hipError_tPvRmT1_T2_T3_mT4_P12ihipStream_tbEUlT_E1_NS1_11comp_targetILNS1_3genE10ELNS1_11target_archE1200ELNS1_3gpuE4ELNS1_3repE0EEENS1_30default_config_static_selectorELNS0_4arch9wavefront6targetE0EEEvS14_ ; -- Begin function _ZN7rocprim17ROCPRIM_400000_NS6detail17trampoline_kernelINS0_14default_configENS1_22reduce_config_selectorIN6thrust23THRUST_200600_302600_NS5tupleIblNS6_9null_typeES8_S8_S8_S8_S8_S8_S8_EEEEZNS1_11reduce_implILb1ES3_NS6_12zip_iteratorINS7_INS6_11hip_rocprim26transform_input_iterator_tIbNSD_35transform_pair_of_input_iterators_tIbNS6_6detail15normal_iteratorINS6_10device_ptrIKiEEEESL_NS6_8equal_toIiEEEENSG_9not_fun_tINSD_8identityEEEEENSD_19counting_iterator_tIlEES8_S8_S8_S8_S8_S8_S8_S8_EEEEPS9_S9_NSD_9__find_if7functorIS9_EEEE10hipError_tPvRmT1_T2_T3_mT4_P12ihipStream_tbEUlT_E1_NS1_11comp_targetILNS1_3genE10ELNS1_11target_archE1200ELNS1_3gpuE4ELNS1_3repE0EEENS1_30default_config_static_selectorELNS0_4arch9wavefront6targetE0EEEvS14_
	.globl	_ZN7rocprim17ROCPRIM_400000_NS6detail17trampoline_kernelINS0_14default_configENS1_22reduce_config_selectorIN6thrust23THRUST_200600_302600_NS5tupleIblNS6_9null_typeES8_S8_S8_S8_S8_S8_S8_EEEEZNS1_11reduce_implILb1ES3_NS6_12zip_iteratorINS7_INS6_11hip_rocprim26transform_input_iterator_tIbNSD_35transform_pair_of_input_iterators_tIbNS6_6detail15normal_iteratorINS6_10device_ptrIKiEEEESL_NS6_8equal_toIiEEEENSG_9not_fun_tINSD_8identityEEEEENSD_19counting_iterator_tIlEES8_S8_S8_S8_S8_S8_S8_S8_EEEEPS9_S9_NSD_9__find_if7functorIS9_EEEE10hipError_tPvRmT1_T2_T3_mT4_P12ihipStream_tbEUlT_E1_NS1_11comp_targetILNS1_3genE10ELNS1_11target_archE1200ELNS1_3gpuE4ELNS1_3repE0EEENS1_30default_config_static_selectorELNS0_4arch9wavefront6targetE0EEEvS14_
	.p2align	8
	.type	_ZN7rocprim17ROCPRIM_400000_NS6detail17trampoline_kernelINS0_14default_configENS1_22reduce_config_selectorIN6thrust23THRUST_200600_302600_NS5tupleIblNS6_9null_typeES8_S8_S8_S8_S8_S8_S8_EEEEZNS1_11reduce_implILb1ES3_NS6_12zip_iteratorINS7_INS6_11hip_rocprim26transform_input_iterator_tIbNSD_35transform_pair_of_input_iterators_tIbNS6_6detail15normal_iteratorINS6_10device_ptrIKiEEEESL_NS6_8equal_toIiEEEENSG_9not_fun_tINSD_8identityEEEEENSD_19counting_iterator_tIlEES8_S8_S8_S8_S8_S8_S8_S8_EEEEPS9_S9_NSD_9__find_if7functorIS9_EEEE10hipError_tPvRmT1_T2_T3_mT4_P12ihipStream_tbEUlT_E1_NS1_11comp_targetILNS1_3genE10ELNS1_11target_archE1200ELNS1_3gpuE4ELNS1_3repE0EEENS1_30default_config_static_selectorELNS0_4arch9wavefront6targetE0EEEvS14_,@function
_ZN7rocprim17ROCPRIM_400000_NS6detail17trampoline_kernelINS0_14default_configENS1_22reduce_config_selectorIN6thrust23THRUST_200600_302600_NS5tupleIblNS6_9null_typeES8_S8_S8_S8_S8_S8_S8_EEEEZNS1_11reduce_implILb1ES3_NS6_12zip_iteratorINS7_INS6_11hip_rocprim26transform_input_iterator_tIbNSD_35transform_pair_of_input_iterators_tIbNS6_6detail15normal_iteratorINS6_10device_ptrIKiEEEESL_NS6_8equal_toIiEEEENSG_9not_fun_tINSD_8identityEEEEENSD_19counting_iterator_tIlEES8_S8_S8_S8_S8_S8_S8_S8_EEEEPS9_S9_NSD_9__find_if7functorIS9_EEEE10hipError_tPvRmT1_T2_T3_mT4_P12ihipStream_tbEUlT_E1_NS1_11comp_targetILNS1_3genE10ELNS1_11target_archE1200ELNS1_3gpuE4ELNS1_3repE0EEENS1_30default_config_static_selectorELNS0_4arch9wavefront6targetE0EEEvS14_: ; @_ZN7rocprim17ROCPRIM_400000_NS6detail17trampoline_kernelINS0_14default_configENS1_22reduce_config_selectorIN6thrust23THRUST_200600_302600_NS5tupleIblNS6_9null_typeES8_S8_S8_S8_S8_S8_S8_EEEEZNS1_11reduce_implILb1ES3_NS6_12zip_iteratorINS7_INS6_11hip_rocprim26transform_input_iterator_tIbNSD_35transform_pair_of_input_iterators_tIbNS6_6detail15normal_iteratorINS6_10device_ptrIKiEEEESL_NS6_8equal_toIiEEEENSG_9not_fun_tINSD_8identityEEEEENSD_19counting_iterator_tIlEES8_S8_S8_S8_S8_S8_S8_S8_EEEEPS9_S9_NSD_9__find_if7functorIS9_EEEE10hipError_tPvRmT1_T2_T3_mT4_P12ihipStream_tbEUlT_E1_NS1_11comp_targetILNS1_3genE10ELNS1_11target_archE1200ELNS1_3gpuE4ELNS1_3repE0EEENS1_30default_config_static_selectorELNS0_4arch9wavefront6targetE0EEEvS14_
; %bb.0:
	.section	.rodata,"a",@progbits
	.p2align	6, 0x0
	.amdhsa_kernel _ZN7rocprim17ROCPRIM_400000_NS6detail17trampoline_kernelINS0_14default_configENS1_22reduce_config_selectorIN6thrust23THRUST_200600_302600_NS5tupleIblNS6_9null_typeES8_S8_S8_S8_S8_S8_S8_EEEEZNS1_11reduce_implILb1ES3_NS6_12zip_iteratorINS7_INS6_11hip_rocprim26transform_input_iterator_tIbNSD_35transform_pair_of_input_iterators_tIbNS6_6detail15normal_iteratorINS6_10device_ptrIKiEEEESL_NS6_8equal_toIiEEEENSG_9not_fun_tINSD_8identityEEEEENSD_19counting_iterator_tIlEES8_S8_S8_S8_S8_S8_S8_S8_EEEEPS9_S9_NSD_9__find_if7functorIS9_EEEE10hipError_tPvRmT1_T2_T3_mT4_P12ihipStream_tbEUlT_E1_NS1_11comp_targetILNS1_3genE10ELNS1_11target_archE1200ELNS1_3gpuE4ELNS1_3repE0EEENS1_30default_config_static_selectorELNS0_4arch9wavefront6targetE0EEEvS14_
		.amdhsa_group_segment_fixed_size 0
		.amdhsa_private_segment_fixed_size 0
		.amdhsa_kernarg_size 88
		.amdhsa_user_sgpr_count 2
		.amdhsa_user_sgpr_dispatch_ptr 0
		.amdhsa_user_sgpr_queue_ptr 0
		.amdhsa_user_sgpr_kernarg_segment_ptr 1
		.amdhsa_user_sgpr_dispatch_id 0
		.amdhsa_user_sgpr_kernarg_preload_length 0
		.amdhsa_user_sgpr_kernarg_preload_offset 0
		.amdhsa_user_sgpr_private_segment_size 0
		.amdhsa_wavefront_size32 1
		.amdhsa_uses_dynamic_stack 0
		.amdhsa_enable_private_segment 0
		.amdhsa_system_sgpr_workgroup_id_x 1
		.amdhsa_system_sgpr_workgroup_id_y 0
		.amdhsa_system_sgpr_workgroup_id_z 0
		.amdhsa_system_sgpr_workgroup_info 0
		.amdhsa_system_vgpr_workitem_id 0
		.amdhsa_next_free_vgpr 1
		.amdhsa_next_free_sgpr 1
		.amdhsa_named_barrier_count 0
		.amdhsa_reserve_vcc 0
		.amdhsa_float_round_mode_32 0
		.amdhsa_float_round_mode_16_64 0
		.amdhsa_float_denorm_mode_32 3
		.amdhsa_float_denorm_mode_16_64 3
		.amdhsa_fp16_overflow 0
		.amdhsa_memory_ordered 1
		.amdhsa_forward_progress 1
		.amdhsa_inst_pref_size 0
		.amdhsa_round_robin_scheduling 0
		.amdhsa_exception_fp_ieee_invalid_op 0
		.amdhsa_exception_fp_denorm_src 0
		.amdhsa_exception_fp_ieee_div_zero 0
		.amdhsa_exception_fp_ieee_overflow 0
		.amdhsa_exception_fp_ieee_underflow 0
		.amdhsa_exception_fp_ieee_inexact 0
		.amdhsa_exception_int_div_zero 0
	.end_amdhsa_kernel
	.section	.text._ZN7rocprim17ROCPRIM_400000_NS6detail17trampoline_kernelINS0_14default_configENS1_22reduce_config_selectorIN6thrust23THRUST_200600_302600_NS5tupleIblNS6_9null_typeES8_S8_S8_S8_S8_S8_S8_EEEEZNS1_11reduce_implILb1ES3_NS6_12zip_iteratorINS7_INS6_11hip_rocprim26transform_input_iterator_tIbNSD_35transform_pair_of_input_iterators_tIbNS6_6detail15normal_iteratorINS6_10device_ptrIKiEEEESL_NS6_8equal_toIiEEEENSG_9not_fun_tINSD_8identityEEEEENSD_19counting_iterator_tIlEES8_S8_S8_S8_S8_S8_S8_S8_EEEEPS9_S9_NSD_9__find_if7functorIS9_EEEE10hipError_tPvRmT1_T2_T3_mT4_P12ihipStream_tbEUlT_E1_NS1_11comp_targetILNS1_3genE10ELNS1_11target_archE1200ELNS1_3gpuE4ELNS1_3repE0EEENS1_30default_config_static_selectorELNS0_4arch9wavefront6targetE0EEEvS14_,"axG",@progbits,_ZN7rocprim17ROCPRIM_400000_NS6detail17trampoline_kernelINS0_14default_configENS1_22reduce_config_selectorIN6thrust23THRUST_200600_302600_NS5tupleIblNS6_9null_typeES8_S8_S8_S8_S8_S8_S8_EEEEZNS1_11reduce_implILb1ES3_NS6_12zip_iteratorINS7_INS6_11hip_rocprim26transform_input_iterator_tIbNSD_35transform_pair_of_input_iterators_tIbNS6_6detail15normal_iteratorINS6_10device_ptrIKiEEEESL_NS6_8equal_toIiEEEENSG_9not_fun_tINSD_8identityEEEEENSD_19counting_iterator_tIlEES8_S8_S8_S8_S8_S8_S8_S8_EEEEPS9_S9_NSD_9__find_if7functorIS9_EEEE10hipError_tPvRmT1_T2_T3_mT4_P12ihipStream_tbEUlT_E1_NS1_11comp_targetILNS1_3genE10ELNS1_11target_archE1200ELNS1_3gpuE4ELNS1_3repE0EEENS1_30default_config_static_selectorELNS0_4arch9wavefront6targetE0EEEvS14_,comdat
.Lfunc_end276:
	.size	_ZN7rocprim17ROCPRIM_400000_NS6detail17trampoline_kernelINS0_14default_configENS1_22reduce_config_selectorIN6thrust23THRUST_200600_302600_NS5tupleIblNS6_9null_typeES8_S8_S8_S8_S8_S8_S8_EEEEZNS1_11reduce_implILb1ES3_NS6_12zip_iteratorINS7_INS6_11hip_rocprim26transform_input_iterator_tIbNSD_35transform_pair_of_input_iterators_tIbNS6_6detail15normal_iteratorINS6_10device_ptrIKiEEEESL_NS6_8equal_toIiEEEENSG_9not_fun_tINSD_8identityEEEEENSD_19counting_iterator_tIlEES8_S8_S8_S8_S8_S8_S8_S8_EEEEPS9_S9_NSD_9__find_if7functorIS9_EEEE10hipError_tPvRmT1_T2_T3_mT4_P12ihipStream_tbEUlT_E1_NS1_11comp_targetILNS1_3genE10ELNS1_11target_archE1200ELNS1_3gpuE4ELNS1_3repE0EEENS1_30default_config_static_selectorELNS0_4arch9wavefront6targetE0EEEvS14_, .Lfunc_end276-_ZN7rocprim17ROCPRIM_400000_NS6detail17trampoline_kernelINS0_14default_configENS1_22reduce_config_selectorIN6thrust23THRUST_200600_302600_NS5tupleIblNS6_9null_typeES8_S8_S8_S8_S8_S8_S8_EEEEZNS1_11reduce_implILb1ES3_NS6_12zip_iteratorINS7_INS6_11hip_rocprim26transform_input_iterator_tIbNSD_35transform_pair_of_input_iterators_tIbNS6_6detail15normal_iteratorINS6_10device_ptrIKiEEEESL_NS6_8equal_toIiEEEENSG_9not_fun_tINSD_8identityEEEEENSD_19counting_iterator_tIlEES8_S8_S8_S8_S8_S8_S8_S8_EEEEPS9_S9_NSD_9__find_if7functorIS9_EEEE10hipError_tPvRmT1_T2_T3_mT4_P12ihipStream_tbEUlT_E1_NS1_11comp_targetILNS1_3genE10ELNS1_11target_archE1200ELNS1_3gpuE4ELNS1_3repE0EEENS1_30default_config_static_selectorELNS0_4arch9wavefront6targetE0EEEvS14_
                                        ; -- End function
	.set _ZN7rocprim17ROCPRIM_400000_NS6detail17trampoline_kernelINS0_14default_configENS1_22reduce_config_selectorIN6thrust23THRUST_200600_302600_NS5tupleIblNS6_9null_typeES8_S8_S8_S8_S8_S8_S8_EEEEZNS1_11reduce_implILb1ES3_NS6_12zip_iteratorINS7_INS6_11hip_rocprim26transform_input_iterator_tIbNSD_35transform_pair_of_input_iterators_tIbNS6_6detail15normal_iteratorINS6_10device_ptrIKiEEEESL_NS6_8equal_toIiEEEENSG_9not_fun_tINSD_8identityEEEEENSD_19counting_iterator_tIlEES8_S8_S8_S8_S8_S8_S8_S8_EEEEPS9_S9_NSD_9__find_if7functorIS9_EEEE10hipError_tPvRmT1_T2_T3_mT4_P12ihipStream_tbEUlT_E1_NS1_11comp_targetILNS1_3genE10ELNS1_11target_archE1200ELNS1_3gpuE4ELNS1_3repE0EEENS1_30default_config_static_selectorELNS0_4arch9wavefront6targetE0EEEvS14_.num_vgpr, 0
	.set _ZN7rocprim17ROCPRIM_400000_NS6detail17trampoline_kernelINS0_14default_configENS1_22reduce_config_selectorIN6thrust23THRUST_200600_302600_NS5tupleIblNS6_9null_typeES8_S8_S8_S8_S8_S8_S8_EEEEZNS1_11reduce_implILb1ES3_NS6_12zip_iteratorINS7_INS6_11hip_rocprim26transform_input_iterator_tIbNSD_35transform_pair_of_input_iterators_tIbNS6_6detail15normal_iteratorINS6_10device_ptrIKiEEEESL_NS6_8equal_toIiEEEENSG_9not_fun_tINSD_8identityEEEEENSD_19counting_iterator_tIlEES8_S8_S8_S8_S8_S8_S8_S8_EEEEPS9_S9_NSD_9__find_if7functorIS9_EEEE10hipError_tPvRmT1_T2_T3_mT4_P12ihipStream_tbEUlT_E1_NS1_11comp_targetILNS1_3genE10ELNS1_11target_archE1200ELNS1_3gpuE4ELNS1_3repE0EEENS1_30default_config_static_selectorELNS0_4arch9wavefront6targetE0EEEvS14_.num_agpr, 0
	.set _ZN7rocprim17ROCPRIM_400000_NS6detail17trampoline_kernelINS0_14default_configENS1_22reduce_config_selectorIN6thrust23THRUST_200600_302600_NS5tupleIblNS6_9null_typeES8_S8_S8_S8_S8_S8_S8_EEEEZNS1_11reduce_implILb1ES3_NS6_12zip_iteratorINS7_INS6_11hip_rocprim26transform_input_iterator_tIbNSD_35transform_pair_of_input_iterators_tIbNS6_6detail15normal_iteratorINS6_10device_ptrIKiEEEESL_NS6_8equal_toIiEEEENSG_9not_fun_tINSD_8identityEEEEENSD_19counting_iterator_tIlEES8_S8_S8_S8_S8_S8_S8_S8_EEEEPS9_S9_NSD_9__find_if7functorIS9_EEEE10hipError_tPvRmT1_T2_T3_mT4_P12ihipStream_tbEUlT_E1_NS1_11comp_targetILNS1_3genE10ELNS1_11target_archE1200ELNS1_3gpuE4ELNS1_3repE0EEENS1_30default_config_static_selectorELNS0_4arch9wavefront6targetE0EEEvS14_.numbered_sgpr, 0
	.set _ZN7rocprim17ROCPRIM_400000_NS6detail17trampoline_kernelINS0_14default_configENS1_22reduce_config_selectorIN6thrust23THRUST_200600_302600_NS5tupleIblNS6_9null_typeES8_S8_S8_S8_S8_S8_S8_EEEEZNS1_11reduce_implILb1ES3_NS6_12zip_iteratorINS7_INS6_11hip_rocprim26transform_input_iterator_tIbNSD_35transform_pair_of_input_iterators_tIbNS6_6detail15normal_iteratorINS6_10device_ptrIKiEEEESL_NS6_8equal_toIiEEEENSG_9not_fun_tINSD_8identityEEEEENSD_19counting_iterator_tIlEES8_S8_S8_S8_S8_S8_S8_S8_EEEEPS9_S9_NSD_9__find_if7functorIS9_EEEE10hipError_tPvRmT1_T2_T3_mT4_P12ihipStream_tbEUlT_E1_NS1_11comp_targetILNS1_3genE10ELNS1_11target_archE1200ELNS1_3gpuE4ELNS1_3repE0EEENS1_30default_config_static_selectorELNS0_4arch9wavefront6targetE0EEEvS14_.num_named_barrier, 0
	.set _ZN7rocprim17ROCPRIM_400000_NS6detail17trampoline_kernelINS0_14default_configENS1_22reduce_config_selectorIN6thrust23THRUST_200600_302600_NS5tupleIblNS6_9null_typeES8_S8_S8_S8_S8_S8_S8_EEEEZNS1_11reduce_implILb1ES3_NS6_12zip_iteratorINS7_INS6_11hip_rocprim26transform_input_iterator_tIbNSD_35transform_pair_of_input_iterators_tIbNS6_6detail15normal_iteratorINS6_10device_ptrIKiEEEESL_NS6_8equal_toIiEEEENSG_9not_fun_tINSD_8identityEEEEENSD_19counting_iterator_tIlEES8_S8_S8_S8_S8_S8_S8_S8_EEEEPS9_S9_NSD_9__find_if7functorIS9_EEEE10hipError_tPvRmT1_T2_T3_mT4_P12ihipStream_tbEUlT_E1_NS1_11comp_targetILNS1_3genE10ELNS1_11target_archE1200ELNS1_3gpuE4ELNS1_3repE0EEENS1_30default_config_static_selectorELNS0_4arch9wavefront6targetE0EEEvS14_.private_seg_size, 0
	.set _ZN7rocprim17ROCPRIM_400000_NS6detail17trampoline_kernelINS0_14default_configENS1_22reduce_config_selectorIN6thrust23THRUST_200600_302600_NS5tupleIblNS6_9null_typeES8_S8_S8_S8_S8_S8_S8_EEEEZNS1_11reduce_implILb1ES3_NS6_12zip_iteratorINS7_INS6_11hip_rocprim26transform_input_iterator_tIbNSD_35transform_pair_of_input_iterators_tIbNS6_6detail15normal_iteratorINS6_10device_ptrIKiEEEESL_NS6_8equal_toIiEEEENSG_9not_fun_tINSD_8identityEEEEENSD_19counting_iterator_tIlEES8_S8_S8_S8_S8_S8_S8_S8_EEEEPS9_S9_NSD_9__find_if7functorIS9_EEEE10hipError_tPvRmT1_T2_T3_mT4_P12ihipStream_tbEUlT_E1_NS1_11comp_targetILNS1_3genE10ELNS1_11target_archE1200ELNS1_3gpuE4ELNS1_3repE0EEENS1_30default_config_static_selectorELNS0_4arch9wavefront6targetE0EEEvS14_.uses_vcc, 0
	.set _ZN7rocprim17ROCPRIM_400000_NS6detail17trampoline_kernelINS0_14default_configENS1_22reduce_config_selectorIN6thrust23THRUST_200600_302600_NS5tupleIblNS6_9null_typeES8_S8_S8_S8_S8_S8_S8_EEEEZNS1_11reduce_implILb1ES3_NS6_12zip_iteratorINS7_INS6_11hip_rocprim26transform_input_iterator_tIbNSD_35transform_pair_of_input_iterators_tIbNS6_6detail15normal_iteratorINS6_10device_ptrIKiEEEESL_NS6_8equal_toIiEEEENSG_9not_fun_tINSD_8identityEEEEENSD_19counting_iterator_tIlEES8_S8_S8_S8_S8_S8_S8_S8_EEEEPS9_S9_NSD_9__find_if7functorIS9_EEEE10hipError_tPvRmT1_T2_T3_mT4_P12ihipStream_tbEUlT_E1_NS1_11comp_targetILNS1_3genE10ELNS1_11target_archE1200ELNS1_3gpuE4ELNS1_3repE0EEENS1_30default_config_static_selectorELNS0_4arch9wavefront6targetE0EEEvS14_.uses_flat_scratch, 0
	.set _ZN7rocprim17ROCPRIM_400000_NS6detail17trampoline_kernelINS0_14default_configENS1_22reduce_config_selectorIN6thrust23THRUST_200600_302600_NS5tupleIblNS6_9null_typeES8_S8_S8_S8_S8_S8_S8_EEEEZNS1_11reduce_implILb1ES3_NS6_12zip_iteratorINS7_INS6_11hip_rocprim26transform_input_iterator_tIbNSD_35transform_pair_of_input_iterators_tIbNS6_6detail15normal_iteratorINS6_10device_ptrIKiEEEESL_NS6_8equal_toIiEEEENSG_9not_fun_tINSD_8identityEEEEENSD_19counting_iterator_tIlEES8_S8_S8_S8_S8_S8_S8_S8_EEEEPS9_S9_NSD_9__find_if7functorIS9_EEEE10hipError_tPvRmT1_T2_T3_mT4_P12ihipStream_tbEUlT_E1_NS1_11comp_targetILNS1_3genE10ELNS1_11target_archE1200ELNS1_3gpuE4ELNS1_3repE0EEENS1_30default_config_static_selectorELNS0_4arch9wavefront6targetE0EEEvS14_.has_dyn_sized_stack, 0
	.set _ZN7rocprim17ROCPRIM_400000_NS6detail17trampoline_kernelINS0_14default_configENS1_22reduce_config_selectorIN6thrust23THRUST_200600_302600_NS5tupleIblNS6_9null_typeES8_S8_S8_S8_S8_S8_S8_EEEEZNS1_11reduce_implILb1ES3_NS6_12zip_iteratorINS7_INS6_11hip_rocprim26transform_input_iterator_tIbNSD_35transform_pair_of_input_iterators_tIbNS6_6detail15normal_iteratorINS6_10device_ptrIKiEEEESL_NS6_8equal_toIiEEEENSG_9not_fun_tINSD_8identityEEEEENSD_19counting_iterator_tIlEES8_S8_S8_S8_S8_S8_S8_S8_EEEEPS9_S9_NSD_9__find_if7functorIS9_EEEE10hipError_tPvRmT1_T2_T3_mT4_P12ihipStream_tbEUlT_E1_NS1_11comp_targetILNS1_3genE10ELNS1_11target_archE1200ELNS1_3gpuE4ELNS1_3repE0EEENS1_30default_config_static_selectorELNS0_4arch9wavefront6targetE0EEEvS14_.has_recursion, 0
	.set _ZN7rocprim17ROCPRIM_400000_NS6detail17trampoline_kernelINS0_14default_configENS1_22reduce_config_selectorIN6thrust23THRUST_200600_302600_NS5tupleIblNS6_9null_typeES8_S8_S8_S8_S8_S8_S8_EEEEZNS1_11reduce_implILb1ES3_NS6_12zip_iteratorINS7_INS6_11hip_rocprim26transform_input_iterator_tIbNSD_35transform_pair_of_input_iterators_tIbNS6_6detail15normal_iteratorINS6_10device_ptrIKiEEEESL_NS6_8equal_toIiEEEENSG_9not_fun_tINSD_8identityEEEEENSD_19counting_iterator_tIlEES8_S8_S8_S8_S8_S8_S8_S8_EEEEPS9_S9_NSD_9__find_if7functorIS9_EEEE10hipError_tPvRmT1_T2_T3_mT4_P12ihipStream_tbEUlT_E1_NS1_11comp_targetILNS1_3genE10ELNS1_11target_archE1200ELNS1_3gpuE4ELNS1_3repE0EEENS1_30default_config_static_selectorELNS0_4arch9wavefront6targetE0EEEvS14_.has_indirect_call, 0
	.section	.AMDGPU.csdata,"",@progbits
; Kernel info:
; codeLenInByte = 0
; TotalNumSgprs: 0
; NumVgprs: 0
; ScratchSize: 0
; MemoryBound: 0
; FloatMode: 240
; IeeeMode: 1
; LDSByteSize: 0 bytes/workgroup (compile time only)
; SGPRBlocks: 0
; VGPRBlocks: 0
; NumSGPRsForWavesPerEU: 1
; NumVGPRsForWavesPerEU: 1
; NamedBarCnt: 0
; Occupancy: 16
; WaveLimiterHint : 0
; COMPUTE_PGM_RSRC2:SCRATCH_EN: 0
; COMPUTE_PGM_RSRC2:USER_SGPR: 2
; COMPUTE_PGM_RSRC2:TRAP_HANDLER: 0
; COMPUTE_PGM_RSRC2:TGID_X_EN: 1
; COMPUTE_PGM_RSRC2:TGID_Y_EN: 0
; COMPUTE_PGM_RSRC2:TGID_Z_EN: 0
; COMPUTE_PGM_RSRC2:TIDIG_COMP_CNT: 0
	.section	.text._ZN7rocprim17ROCPRIM_400000_NS6detail17trampoline_kernelINS0_14default_configENS1_22reduce_config_selectorIN6thrust23THRUST_200600_302600_NS5tupleIblNS6_9null_typeES8_S8_S8_S8_S8_S8_S8_EEEEZNS1_11reduce_implILb1ES3_NS6_12zip_iteratorINS7_INS6_11hip_rocprim26transform_input_iterator_tIbNSD_35transform_pair_of_input_iterators_tIbNS6_6detail15normal_iteratorINS6_10device_ptrIKiEEEESL_NS6_8equal_toIiEEEENSG_9not_fun_tINSD_8identityEEEEENSD_19counting_iterator_tIlEES8_S8_S8_S8_S8_S8_S8_S8_EEEEPS9_S9_NSD_9__find_if7functorIS9_EEEE10hipError_tPvRmT1_T2_T3_mT4_P12ihipStream_tbEUlT_E1_NS1_11comp_targetILNS1_3genE9ELNS1_11target_archE1100ELNS1_3gpuE3ELNS1_3repE0EEENS1_30default_config_static_selectorELNS0_4arch9wavefront6targetE0EEEvS14_,"axG",@progbits,_ZN7rocprim17ROCPRIM_400000_NS6detail17trampoline_kernelINS0_14default_configENS1_22reduce_config_selectorIN6thrust23THRUST_200600_302600_NS5tupleIblNS6_9null_typeES8_S8_S8_S8_S8_S8_S8_EEEEZNS1_11reduce_implILb1ES3_NS6_12zip_iteratorINS7_INS6_11hip_rocprim26transform_input_iterator_tIbNSD_35transform_pair_of_input_iterators_tIbNS6_6detail15normal_iteratorINS6_10device_ptrIKiEEEESL_NS6_8equal_toIiEEEENSG_9not_fun_tINSD_8identityEEEEENSD_19counting_iterator_tIlEES8_S8_S8_S8_S8_S8_S8_S8_EEEEPS9_S9_NSD_9__find_if7functorIS9_EEEE10hipError_tPvRmT1_T2_T3_mT4_P12ihipStream_tbEUlT_E1_NS1_11comp_targetILNS1_3genE9ELNS1_11target_archE1100ELNS1_3gpuE3ELNS1_3repE0EEENS1_30default_config_static_selectorELNS0_4arch9wavefront6targetE0EEEvS14_,comdat
	.protected	_ZN7rocprim17ROCPRIM_400000_NS6detail17trampoline_kernelINS0_14default_configENS1_22reduce_config_selectorIN6thrust23THRUST_200600_302600_NS5tupleIblNS6_9null_typeES8_S8_S8_S8_S8_S8_S8_EEEEZNS1_11reduce_implILb1ES3_NS6_12zip_iteratorINS7_INS6_11hip_rocprim26transform_input_iterator_tIbNSD_35transform_pair_of_input_iterators_tIbNS6_6detail15normal_iteratorINS6_10device_ptrIKiEEEESL_NS6_8equal_toIiEEEENSG_9not_fun_tINSD_8identityEEEEENSD_19counting_iterator_tIlEES8_S8_S8_S8_S8_S8_S8_S8_EEEEPS9_S9_NSD_9__find_if7functorIS9_EEEE10hipError_tPvRmT1_T2_T3_mT4_P12ihipStream_tbEUlT_E1_NS1_11comp_targetILNS1_3genE9ELNS1_11target_archE1100ELNS1_3gpuE3ELNS1_3repE0EEENS1_30default_config_static_selectorELNS0_4arch9wavefront6targetE0EEEvS14_ ; -- Begin function _ZN7rocprim17ROCPRIM_400000_NS6detail17trampoline_kernelINS0_14default_configENS1_22reduce_config_selectorIN6thrust23THRUST_200600_302600_NS5tupleIblNS6_9null_typeES8_S8_S8_S8_S8_S8_S8_EEEEZNS1_11reduce_implILb1ES3_NS6_12zip_iteratorINS7_INS6_11hip_rocprim26transform_input_iterator_tIbNSD_35transform_pair_of_input_iterators_tIbNS6_6detail15normal_iteratorINS6_10device_ptrIKiEEEESL_NS6_8equal_toIiEEEENSG_9not_fun_tINSD_8identityEEEEENSD_19counting_iterator_tIlEES8_S8_S8_S8_S8_S8_S8_S8_EEEEPS9_S9_NSD_9__find_if7functorIS9_EEEE10hipError_tPvRmT1_T2_T3_mT4_P12ihipStream_tbEUlT_E1_NS1_11comp_targetILNS1_3genE9ELNS1_11target_archE1100ELNS1_3gpuE3ELNS1_3repE0EEENS1_30default_config_static_selectorELNS0_4arch9wavefront6targetE0EEEvS14_
	.globl	_ZN7rocprim17ROCPRIM_400000_NS6detail17trampoline_kernelINS0_14default_configENS1_22reduce_config_selectorIN6thrust23THRUST_200600_302600_NS5tupleIblNS6_9null_typeES8_S8_S8_S8_S8_S8_S8_EEEEZNS1_11reduce_implILb1ES3_NS6_12zip_iteratorINS7_INS6_11hip_rocprim26transform_input_iterator_tIbNSD_35transform_pair_of_input_iterators_tIbNS6_6detail15normal_iteratorINS6_10device_ptrIKiEEEESL_NS6_8equal_toIiEEEENSG_9not_fun_tINSD_8identityEEEEENSD_19counting_iterator_tIlEES8_S8_S8_S8_S8_S8_S8_S8_EEEEPS9_S9_NSD_9__find_if7functorIS9_EEEE10hipError_tPvRmT1_T2_T3_mT4_P12ihipStream_tbEUlT_E1_NS1_11comp_targetILNS1_3genE9ELNS1_11target_archE1100ELNS1_3gpuE3ELNS1_3repE0EEENS1_30default_config_static_selectorELNS0_4arch9wavefront6targetE0EEEvS14_
	.p2align	8
	.type	_ZN7rocprim17ROCPRIM_400000_NS6detail17trampoline_kernelINS0_14default_configENS1_22reduce_config_selectorIN6thrust23THRUST_200600_302600_NS5tupleIblNS6_9null_typeES8_S8_S8_S8_S8_S8_S8_EEEEZNS1_11reduce_implILb1ES3_NS6_12zip_iteratorINS7_INS6_11hip_rocprim26transform_input_iterator_tIbNSD_35transform_pair_of_input_iterators_tIbNS6_6detail15normal_iteratorINS6_10device_ptrIKiEEEESL_NS6_8equal_toIiEEEENSG_9not_fun_tINSD_8identityEEEEENSD_19counting_iterator_tIlEES8_S8_S8_S8_S8_S8_S8_S8_EEEEPS9_S9_NSD_9__find_if7functorIS9_EEEE10hipError_tPvRmT1_T2_T3_mT4_P12ihipStream_tbEUlT_E1_NS1_11comp_targetILNS1_3genE9ELNS1_11target_archE1100ELNS1_3gpuE3ELNS1_3repE0EEENS1_30default_config_static_selectorELNS0_4arch9wavefront6targetE0EEEvS14_,@function
_ZN7rocprim17ROCPRIM_400000_NS6detail17trampoline_kernelINS0_14default_configENS1_22reduce_config_selectorIN6thrust23THRUST_200600_302600_NS5tupleIblNS6_9null_typeES8_S8_S8_S8_S8_S8_S8_EEEEZNS1_11reduce_implILb1ES3_NS6_12zip_iteratorINS7_INS6_11hip_rocprim26transform_input_iterator_tIbNSD_35transform_pair_of_input_iterators_tIbNS6_6detail15normal_iteratorINS6_10device_ptrIKiEEEESL_NS6_8equal_toIiEEEENSG_9not_fun_tINSD_8identityEEEEENSD_19counting_iterator_tIlEES8_S8_S8_S8_S8_S8_S8_S8_EEEEPS9_S9_NSD_9__find_if7functorIS9_EEEE10hipError_tPvRmT1_T2_T3_mT4_P12ihipStream_tbEUlT_E1_NS1_11comp_targetILNS1_3genE9ELNS1_11target_archE1100ELNS1_3gpuE3ELNS1_3repE0EEENS1_30default_config_static_selectorELNS0_4arch9wavefront6targetE0EEEvS14_: ; @_ZN7rocprim17ROCPRIM_400000_NS6detail17trampoline_kernelINS0_14default_configENS1_22reduce_config_selectorIN6thrust23THRUST_200600_302600_NS5tupleIblNS6_9null_typeES8_S8_S8_S8_S8_S8_S8_EEEEZNS1_11reduce_implILb1ES3_NS6_12zip_iteratorINS7_INS6_11hip_rocprim26transform_input_iterator_tIbNSD_35transform_pair_of_input_iterators_tIbNS6_6detail15normal_iteratorINS6_10device_ptrIKiEEEESL_NS6_8equal_toIiEEEENSG_9not_fun_tINSD_8identityEEEEENSD_19counting_iterator_tIlEES8_S8_S8_S8_S8_S8_S8_S8_EEEEPS9_S9_NSD_9__find_if7functorIS9_EEEE10hipError_tPvRmT1_T2_T3_mT4_P12ihipStream_tbEUlT_E1_NS1_11comp_targetILNS1_3genE9ELNS1_11target_archE1100ELNS1_3gpuE3ELNS1_3repE0EEENS1_30default_config_static_selectorELNS0_4arch9wavefront6targetE0EEEvS14_
; %bb.0:
	.section	.rodata,"a",@progbits
	.p2align	6, 0x0
	.amdhsa_kernel _ZN7rocprim17ROCPRIM_400000_NS6detail17trampoline_kernelINS0_14default_configENS1_22reduce_config_selectorIN6thrust23THRUST_200600_302600_NS5tupleIblNS6_9null_typeES8_S8_S8_S8_S8_S8_S8_EEEEZNS1_11reduce_implILb1ES3_NS6_12zip_iteratorINS7_INS6_11hip_rocprim26transform_input_iterator_tIbNSD_35transform_pair_of_input_iterators_tIbNS6_6detail15normal_iteratorINS6_10device_ptrIKiEEEESL_NS6_8equal_toIiEEEENSG_9not_fun_tINSD_8identityEEEEENSD_19counting_iterator_tIlEES8_S8_S8_S8_S8_S8_S8_S8_EEEEPS9_S9_NSD_9__find_if7functorIS9_EEEE10hipError_tPvRmT1_T2_T3_mT4_P12ihipStream_tbEUlT_E1_NS1_11comp_targetILNS1_3genE9ELNS1_11target_archE1100ELNS1_3gpuE3ELNS1_3repE0EEENS1_30default_config_static_selectorELNS0_4arch9wavefront6targetE0EEEvS14_
		.amdhsa_group_segment_fixed_size 0
		.amdhsa_private_segment_fixed_size 0
		.amdhsa_kernarg_size 88
		.amdhsa_user_sgpr_count 2
		.amdhsa_user_sgpr_dispatch_ptr 0
		.amdhsa_user_sgpr_queue_ptr 0
		.amdhsa_user_sgpr_kernarg_segment_ptr 1
		.amdhsa_user_sgpr_dispatch_id 0
		.amdhsa_user_sgpr_kernarg_preload_length 0
		.amdhsa_user_sgpr_kernarg_preload_offset 0
		.amdhsa_user_sgpr_private_segment_size 0
		.amdhsa_wavefront_size32 1
		.amdhsa_uses_dynamic_stack 0
		.amdhsa_enable_private_segment 0
		.amdhsa_system_sgpr_workgroup_id_x 1
		.amdhsa_system_sgpr_workgroup_id_y 0
		.amdhsa_system_sgpr_workgroup_id_z 0
		.amdhsa_system_sgpr_workgroup_info 0
		.amdhsa_system_vgpr_workitem_id 0
		.amdhsa_next_free_vgpr 1
		.amdhsa_next_free_sgpr 1
		.amdhsa_named_barrier_count 0
		.amdhsa_reserve_vcc 0
		.amdhsa_float_round_mode_32 0
		.amdhsa_float_round_mode_16_64 0
		.amdhsa_float_denorm_mode_32 3
		.amdhsa_float_denorm_mode_16_64 3
		.amdhsa_fp16_overflow 0
		.amdhsa_memory_ordered 1
		.amdhsa_forward_progress 1
		.amdhsa_inst_pref_size 0
		.amdhsa_round_robin_scheduling 0
		.amdhsa_exception_fp_ieee_invalid_op 0
		.amdhsa_exception_fp_denorm_src 0
		.amdhsa_exception_fp_ieee_div_zero 0
		.amdhsa_exception_fp_ieee_overflow 0
		.amdhsa_exception_fp_ieee_underflow 0
		.amdhsa_exception_fp_ieee_inexact 0
		.amdhsa_exception_int_div_zero 0
	.end_amdhsa_kernel
	.section	.text._ZN7rocprim17ROCPRIM_400000_NS6detail17trampoline_kernelINS0_14default_configENS1_22reduce_config_selectorIN6thrust23THRUST_200600_302600_NS5tupleIblNS6_9null_typeES8_S8_S8_S8_S8_S8_S8_EEEEZNS1_11reduce_implILb1ES3_NS6_12zip_iteratorINS7_INS6_11hip_rocprim26transform_input_iterator_tIbNSD_35transform_pair_of_input_iterators_tIbNS6_6detail15normal_iteratorINS6_10device_ptrIKiEEEESL_NS6_8equal_toIiEEEENSG_9not_fun_tINSD_8identityEEEEENSD_19counting_iterator_tIlEES8_S8_S8_S8_S8_S8_S8_S8_EEEEPS9_S9_NSD_9__find_if7functorIS9_EEEE10hipError_tPvRmT1_T2_T3_mT4_P12ihipStream_tbEUlT_E1_NS1_11comp_targetILNS1_3genE9ELNS1_11target_archE1100ELNS1_3gpuE3ELNS1_3repE0EEENS1_30default_config_static_selectorELNS0_4arch9wavefront6targetE0EEEvS14_,"axG",@progbits,_ZN7rocprim17ROCPRIM_400000_NS6detail17trampoline_kernelINS0_14default_configENS1_22reduce_config_selectorIN6thrust23THRUST_200600_302600_NS5tupleIblNS6_9null_typeES8_S8_S8_S8_S8_S8_S8_EEEEZNS1_11reduce_implILb1ES3_NS6_12zip_iteratorINS7_INS6_11hip_rocprim26transform_input_iterator_tIbNSD_35transform_pair_of_input_iterators_tIbNS6_6detail15normal_iteratorINS6_10device_ptrIKiEEEESL_NS6_8equal_toIiEEEENSG_9not_fun_tINSD_8identityEEEEENSD_19counting_iterator_tIlEES8_S8_S8_S8_S8_S8_S8_S8_EEEEPS9_S9_NSD_9__find_if7functorIS9_EEEE10hipError_tPvRmT1_T2_T3_mT4_P12ihipStream_tbEUlT_E1_NS1_11comp_targetILNS1_3genE9ELNS1_11target_archE1100ELNS1_3gpuE3ELNS1_3repE0EEENS1_30default_config_static_selectorELNS0_4arch9wavefront6targetE0EEEvS14_,comdat
.Lfunc_end277:
	.size	_ZN7rocprim17ROCPRIM_400000_NS6detail17trampoline_kernelINS0_14default_configENS1_22reduce_config_selectorIN6thrust23THRUST_200600_302600_NS5tupleIblNS6_9null_typeES8_S8_S8_S8_S8_S8_S8_EEEEZNS1_11reduce_implILb1ES3_NS6_12zip_iteratorINS7_INS6_11hip_rocprim26transform_input_iterator_tIbNSD_35transform_pair_of_input_iterators_tIbNS6_6detail15normal_iteratorINS6_10device_ptrIKiEEEESL_NS6_8equal_toIiEEEENSG_9not_fun_tINSD_8identityEEEEENSD_19counting_iterator_tIlEES8_S8_S8_S8_S8_S8_S8_S8_EEEEPS9_S9_NSD_9__find_if7functorIS9_EEEE10hipError_tPvRmT1_T2_T3_mT4_P12ihipStream_tbEUlT_E1_NS1_11comp_targetILNS1_3genE9ELNS1_11target_archE1100ELNS1_3gpuE3ELNS1_3repE0EEENS1_30default_config_static_selectorELNS0_4arch9wavefront6targetE0EEEvS14_, .Lfunc_end277-_ZN7rocprim17ROCPRIM_400000_NS6detail17trampoline_kernelINS0_14default_configENS1_22reduce_config_selectorIN6thrust23THRUST_200600_302600_NS5tupleIblNS6_9null_typeES8_S8_S8_S8_S8_S8_S8_EEEEZNS1_11reduce_implILb1ES3_NS6_12zip_iteratorINS7_INS6_11hip_rocprim26transform_input_iterator_tIbNSD_35transform_pair_of_input_iterators_tIbNS6_6detail15normal_iteratorINS6_10device_ptrIKiEEEESL_NS6_8equal_toIiEEEENSG_9not_fun_tINSD_8identityEEEEENSD_19counting_iterator_tIlEES8_S8_S8_S8_S8_S8_S8_S8_EEEEPS9_S9_NSD_9__find_if7functorIS9_EEEE10hipError_tPvRmT1_T2_T3_mT4_P12ihipStream_tbEUlT_E1_NS1_11comp_targetILNS1_3genE9ELNS1_11target_archE1100ELNS1_3gpuE3ELNS1_3repE0EEENS1_30default_config_static_selectorELNS0_4arch9wavefront6targetE0EEEvS14_
                                        ; -- End function
	.set _ZN7rocprim17ROCPRIM_400000_NS6detail17trampoline_kernelINS0_14default_configENS1_22reduce_config_selectorIN6thrust23THRUST_200600_302600_NS5tupleIblNS6_9null_typeES8_S8_S8_S8_S8_S8_S8_EEEEZNS1_11reduce_implILb1ES3_NS6_12zip_iteratorINS7_INS6_11hip_rocprim26transform_input_iterator_tIbNSD_35transform_pair_of_input_iterators_tIbNS6_6detail15normal_iteratorINS6_10device_ptrIKiEEEESL_NS6_8equal_toIiEEEENSG_9not_fun_tINSD_8identityEEEEENSD_19counting_iterator_tIlEES8_S8_S8_S8_S8_S8_S8_S8_EEEEPS9_S9_NSD_9__find_if7functorIS9_EEEE10hipError_tPvRmT1_T2_T3_mT4_P12ihipStream_tbEUlT_E1_NS1_11comp_targetILNS1_3genE9ELNS1_11target_archE1100ELNS1_3gpuE3ELNS1_3repE0EEENS1_30default_config_static_selectorELNS0_4arch9wavefront6targetE0EEEvS14_.num_vgpr, 0
	.set _ZN7rocprim17ROCPRIM_400000_NS6detail17trampoline_kernelINS0_14default_configENS1_22reduce_config_selectorIN6thrust23THRUST_200600_302600_NS5tupleIblNS6_9null_typeES8_S8_S8_S8_S8_S8_S8_EEEEZNS1_11reduce_implILb1ES3_NS6_12zip_iteratorINS7_INS6_11hip_rocprim26transform_input_iterator_tIbNSD_35transform_pair_of_input_iterators_tIbNS6_6detail15normal_iteratorINS6_10device_ptrIKiEEEESL_NS6_8equal_toIiEEEENSG_9not_fun_tINSD_8identityEEEEENSD_19counting_iterator_tIlEES8_S8_S8_S8_S8_S8_S8_S8_EEEEPS9_S9_NSD_9__find_if7functorIS9_EEEE10hipError_tPvRmT1_T2_T3_mT4_P12ihipStream_tbEUlT_E1_NS1_11comp_targetILNS1_3genE9ELNS1_11target_archE1100ELNS1_3gpuE3ELNS1_3repE0EEENS1_30default_config_static_selectorELNS0_4arch9wavefront6targetE0EEEvS14_.num_agpr, 0
	.set _ZN7rocprim17ROCPRIM_400000_NS6detail17trampoline_kernelINS0_14default_configENS1_22reduce_config_selectorIN6thrust23THRUST_200600_302600_NS5tupleIblNS6_9null_typeES8_S8_S8_S8_S8_S8_S8_EEEEZNS1_11reduce_implILb1ES3_NS6_12zip_iteratorINS7_INS6_11hip_rocprim26transform_input_iterator_tIbNSD_35transform_pair_of_input_iterators_tIbNS6_6detail15normal_iteratorINS6_10device_ptrIKiEEEESL_NS6_8equal_toIiEEEENSG_9not_fun_tINSD_8identityEEEEENSD_19counting_iterator_tIlEES8_S8_S8_S8_S8_S8_S8_S8_EEEEPS9_S9_NSD_9__find_if7functorIS9_EEEE10hipError_tPvRmT1_T2_T3_mT4_P12ihipStream_tbEUlT_E1_NS1_11comp_targetILNS1_3genE9ELNS1_11target_archE1100ELNS1_3gpuE3ELNS1_3repE0EEENS1_30default_config_static_selectorELNS0_4arch9wavefront6targetE0EEEvS14_.numbered_sgpr, 0
	.set _ZN7rocprim17ROCPRIM_400000_NS6detail17trampoline_kernelINS0_14default_configENS1_22reduce_config_selectorIN6thrust23THRUST_200600_302600_NS5tupleIblNS6_9null_typeES8_S8_S8_S8_S8_S8_S8_EEEEZNS1_11reduce_implILb1ES3_NS6_12zip_iteratorINS7_INS6_11hip_rocprim26transform_input_iterator_tIbNSD_35transform_pair_of_input_iterators_tIbNS6_6detail15normal_iteratorINS6_10device_ptrIKiEEEESL_NS6_8equal_toIiEEEENSG_9not_fun_tINSD_8identityEEEEENSD_19counting_iterator_tIlEES8_S8_S8_S8_S8_S8_S8_S8_EEEEPS9_S9_NSD_9__find_if7functorIS9_EEEE10hipError_tPvRmT1_T2_T3_mT4_P12ihipStream_tbEUlT_E1_NS1_11comp_targetILNS1_3genE9ELNS1_11target_archE1100ELNS1_3gpuE3ELNS1_3repE0EEENS1_30default_config_static_selectorELNS0_4arch9wavefront6targetE0EEEvS14_.num_named_barrier, 0
	.set _ZN7rocprim17ROCPRIM_400000_NS6detail17trampoline_kernelINS0_14default_configENS1_22reduce_config_selectorIN6thrust23THRUST_200600_302600_NS5tupleIblNS6_9null_typeES8_S8_S8_S8_S8_S8_S8_EEEEZNS1_11reduce_implILb1ES3_NS6_12zip_iteratorINS7_INS6_11hip_rocprim26transform_input_iterator_tIbNSD_35transform_pair_of_input_iterators_tIbNS6_6detail15normal_iteratorINS6_10device_ptrIKiEEEESL_NS6_8equal_toIiEEEENSG_9not_fun_tINSD_8identityEEEEENSD_19counting_iterator_tIlEES8_S8_S8_S8_S8_S8_S8_S8_EEEEPS9_S9_NSD_9__find_if7functorIS9_EEEE10hipError_tPvRmT1_T2_T3_mT4_P12ihipStream_tbEUlT_E1_NS1_11comp_targetILNS1_3genE9ELNS1_11target_archE1100ELNS1_3gpuE3ELNS1_3repE0EEENS1_30default_config_static_selectorELNS0_4arch9wavefront6targetE0EEEvS14_.private_seg_size, 0
	.set _ZN7rocprim17ROCPRIM_400000_NS6detail17trampoline_kernelINS0_14default_configENS1_22reduce_config_selectorIN6thrust23THRUST_200600_302600_NS5tupleIblNS6_9null_typeES8_S8_S8_S8_S8_S8_S8_EEEEZNS1_11reduce_implILb1ES3_NS6_12zip_iteratorINS7_INS6_11hip_rocprim26transform_input_iterator_tIbNSD_35transform_pair_of_input_iterators_tIbNS6_6detail15normal_iteratorINS6_10device_ptrIKiEEEESL_NS6_8equal_toIiEEEENSG_9not_fun_tINSD_8identityEEEEENSD_19counting_iterator_tIlEES8_S8_S8_S8_S8_S8_S8_S8_EEEEPS9_S9_NSD_9__find_if7functorIS9_EEEE10hipError_tPvRmT1_T2_T3_mT4_P12ihipStream_tbEUlT_E1_NS1_11comp_targetILNS1_3genE9ELNS1_11target_archE1100ELNS1_3gpuE3ELNS1_3repE0EEENS1_30default_config_static_selectorELNS0_4arch9wavefront6targetE0EEEvS14_.uses_vcc, 0
	.set _ZN7rocprim17ROCPRIM_400000_NS6detail17trampoline_kernelINS0_14default_configENS1_22reduce_config_selectorIN6thrust23THRUST_200600_302600_NS5tupleIblNS6_9null_typeES8_S8_S8_S8_S8_S8_S8_EEEEZNS1_11reduce_implILb1ES3_NS6_12zip_iteratorINS7_INS6_11hip_rocprim26transform_input_iterator_tIbNSD_35transform_pair_of_input_iterators_tIbNS6_6detail15normal_iteratorINS6_10device_ptrIKiEEEESL_NS6_8equal_toIiEEEENSG_9not_fun_tINSD_8identityEEEEENSD_19counting_iterator_tIlEES8_S8_S8_S8_S8_S8_S8_S8_EEEEPS9_S9_NSD_9__find_if7functorIS9_EEEE10hipError_tPvRmT1_T2_T3_mT4_P12ihipStream_tbEUlT_E1_NS1_11comp_targetILNS1_3genE9ELNS1_11target_archE1100ELNS1_3gpuE3ELNS1_3repE0EEENS1_30default_config_static_selectorELNS0_4arch9wavefront6targetE0EEEvS14_.uses_flat_scratch, 0
	.set _ZN7rocprim17ROCPRIM_400000_NS6detail17trampoline_kernelINS0_14default_configENS1_22reduce_config_selectorIN6thrust23THRUST_200600_302600_NS5tupleIblNS6_9null_typeES8_S8_S8_S8_S8_S8_S8_EEEEZNS1_11reduce_implILb1ES3_NS6_12zip_iteratorINS7_INS6_11hip_rocprim26transform_input_iterator_tIbNSD_35transform_pair_of_input_iterators_tIbNS6_6detail15normal_iteratorINS6_10device_ptrIKiEEEESL_NS6_8equal_toIiEEEENSG_9not_fun_tINSD_8identityEEEEENSD_19counting_iterator_tIlEES8_S8_S8_S8_S8_S8_S8_S8_EEEEPS9_S9_NSD_9__find_if7functorIS9_EEEE10hipError_tPvRmT1_T2_T3_mT4_P12ihipStream_tbEUlT_E1_NS1_11comp_targetILNS1_3genE9ELNS1_11target_archE1100ELNS1_3gpuE3ELNS1_3repE0EEENS1_30default_config_static_selectorELNS0_4arch9wavefront6targetE0EEEvS14_.has_dyn_sized_stack, 0
	.set _ZN7rocprim17ROCPRIM_400000_NS6detail17trampoline_kernelINS0_14default_configENS1_22reduce_config_selectorIN6thrust23THRUST_200600_302600_NS5tupleIblNS6_9null_typeES8_S8_S8_S8_S8_S8_S8_EEEEZNS1_11reduce_implILb1ES3_NS6_12zip_iteratorINS7_INS6_11hip_rocprim26transform_input_iterator_tIbNSD_35transform_pair_of_input_iterators_tIbNS6_6detail15normal_iteratorINS6_10device_ptrIKiEEEESL_NS6_8equal_toIiEEEENSG_9not_fun_tINSD_8identityEEEEENSD_19counting_iterator_tIlEES8_S8_S8_S8_S8_S8_S8_S8_EEEEPS9_S9_NSD_9__find_if7functorIS9_EEEE10hipError_tPvRmT1_T2_T3_mT4_P12ihipStream_tbEUlT_E1_NS1_11comp_targetILNS1_3genE9ELNS1_11target_archE1100ELNS1_3gpuE3ELNS1_3repE0EEENS1_30default_config_static_selectorELNS0_4arch9wavefront6targetE0EEEvS14_.has_recursion, 0
	.set _ZN7rocprim17ROCPRIM_400000_NS6detail17trampoline_kernelINS0_14default_configENS1_22reduce_config_selectorIN6thrust23THRUST_200600_302600_NS5tupleIblNS6_9null_typeES8_S8_S8_S8_S8_S8_S8_EEEEZNS1_11reduce_implILb1ES3_NS6_12zip_iteratorINS7_INS6_11hip_rocprim26transform_input_iterator_tIbNSD_35transform_pair_of_input_iterators_tIbNS6_6detail15normal_iteratorINS6_10device_ptrIKiEEEESL_NS6_8equal_toIiEEEENSG_9not_fun_tINSD_8identityEEEEENSD_19counting_iterator_tIlEES8_S8_S8_S8_S8_S8_S8_S8_EEEEPS9_S9_NSD_9__find_if7functorIS9_EEEE10hipError_tPvRmT1_T2_T3_mT4_P12ihipStream_tbEUlT_E1_NS1_11comp_targetILNS1_3genE9ELNS1_11target_archE1100ELNS1_3gpuE3ELNS1_3repE0EEENS1_30default_config_static_selectorELNS0_4arch9wavefront6targetE0EEEvS14_.has_indirect_call, 0
	.section	.AMDGPU.csdata,"",@progbits
; Kernel info:
; codeLenInByte = 0
; TotalNumSgprs: 0
; NumVgprs: 0
; ScratchSize: 0
; MemoryBound: 0
; FloatMode: 240
; IeeeMode: 1
; LDSByteSize: 0 bytes/workgroup (compile time only)
; SGPRBlocks: 0
; VGPRBlocks: 0
; NumSGPRsForWavesPerEU: 1
; NumVGPRsForWavesPerEU: 1
; NamedBarCnt: 0
; Occupancy: 16
; WaveLimiterHint : 0
; COMPUTE_PGM_RSRC2:SCRATCH_EN: 0
; COMPUTE_PGM_RSRC2:USER_SGPR: 2
; COMPUTE_PGM_RSRC2:TRAP_HANDLER: 0
; COMPUTE_PGM_RSRC2:TGID_X_EN: 1
; COMPUTE_PGM_RSRC2:TGID_Y_EN: 0
; COMPUTE_PGM_RSRC2:TGID_Z_EN: 0
; COMPUTE_PGM_RSRC2:TIDIG_COMP_CNT: 0
	.section	.text._ZN7rocprim17ROCPRIM_400000_NS6detail17trampoline_kernelINS0_14default_configENS1_22reduce_config_selectorIN6thrust23THRUST_200600_302600_NS5tupleIblNS6_9null_typeES8_S8_S8_S8_S8_S8_S8_EEEEZNS1_11reduce_implILb1ES3_NS6_12zip_iteratorINS7_INS6_11hip_rocprim26transform_input_iterator_tIbNSD_35transform_pair_of_input_iterators_tIbNS6_6detail15normal_iteratorINS6_10device_ptrIKiEEEESL_NS6_8equal_toIiEEEENSG_9not_fun_tINSD_8identityEEEEENSD_19counting_iterator_tIlEES8_S8_S8_S8_S8_S8_S8_S8_EEEEPS9_S9_NSD_9__find_if7functorIS9_EEEE10hipError_tPvRmT1_T2_T3_mT4_P12ihipStream_tbEUlT_E1_NS1_11comp_targetILNS1_3genE8ELNS1_11target_archE1030ELNS1_3gpuE2ELNS1_3repE0EEENS1_30default_config_static_selectorELNS0_4arch9wavefront6targetE0EEEvS14_,"axG",@progbits,_ZN7rocprim17ROCPRIM_400000_NS6detail17trampoline_kernelINS0_14default_configENS1_22reduce_config_selectorIN6thrust23THRUST_200600_302600_NS5tupleIblNS6_9null_typeES8_S8_S8_S8_S8_S8_S8_EEEEZNS1_11reduce_implILb1ES3_NS6_12zip_iteratorINS7_INS6_11hip_rocprim26transform_input_iterator_tIbNSD_35transform_pair_of_input_iterators_tIbNS6_6detail15normal_iteratorINS6_10device_ptrIKiEEEESL_NS6_8equal_toIiEEEENSG_9not_fun_tINSD_8identityEEEEENSD_19counting_iterator_tIlEES8_S8_S8_S8_S8_S8_S8_S8_EEEEPS9_S9_NSD_9__find_if7functorIS9_EEEE10hipError_tPvRmT1_T2_T3_mT4_P12ihipStream_tbEUlT_E1_NS1_11comp_targetILNS1_3genE8ELNS1_11target_archE1030ELNS1_3gpuE2ELNS1_3repE0EEENS1_30default_config_static_selectorELNS0_4arch9wavefront6targetE0EEEvS14_,comdat
	.protected	_ZN7rocprim17ROCPRIM_400000_NS6detail17trampoline_kernelINS0_14default_configENS1_22reduce_config_selectorIN6thrust23THRUST_200600_302600_NS5tupleIblNS6_9null_typeES8_S8_S8_S8_S8_S8_S8_EEEEZNS1_11reduce_implILb1ES3_NS6_12zip_iteratorINS7_INS6_11hip_rocprim26transform_input_iterator_tIbNSD_35transform_pair_of_input_iterators_tIbNS6_6detail15normal_iteratorINS6_10device_ptrIKiEEEESL_NS6_8equal_toIiEEEENSG_9not_fun_tINSD_8identityEEEEENSD_19counting_iterator_tIlEES8_S8_S8_S8_S8_S8_S8_S8_EEEEPS9_S9_NSD_9__find_if7functorIS9_EEEE10hipError_tPvRmT1_T2_T3_mT4_P12ihipStream_tbEUlT_E1_NS1_11comp_targetILNS1_3genE8ELNS1_11target_archE1030ELNS1_3gpuE2ELNS1_3repE0EEENS1_30default_config_static_selectorELNS0_4arch9wavefront6targetE0EEEvS14_ ; -- Begin function _ZN7rocprim17ROCPRIM_400000_NS6detail17trampoline_kernelINS0_14default_configENS1_22reduce_config_selectorIN6thrust23THRUST_200600_302600_NS5tupleIblNS6_9null_typeES8_S8_S8_S8_S8_S8_S8_EEEEZNS1_11reduce_implILb1ES3_NS6_12zip_iteratorINS7_INS6_11hip_rocprim26transform_input_iterator_tIbNSD_35transform_pair_of_input_iterators_tIbNS6_6detail15normal_iteratorINS6_10device_ptrIKiEEEESL_NS6_8equal_toIiEEEENSG_9not_fun_tINSD_8identityEEEEENSD_19counting_iterator_tIlEES8_S8_S8_S8_S8_S8_S8_S8_EEEEPS9_S9_NSD_9__find_if7functorIS9_EEEE10hipError_tPvRmT1_T2_T3_mT4_P12ihipStream_tbEUlT_E1_NS1_11comp_targetILNS1_3genE8ELNS1_11target_archE1030ELNS1_3gpuE2ELNS1_3repE0EEENS1_30default_config_static_selectorELNS0_4arch9wavefront6targetE0EEEvS14_
	.globl	_ZN7rocprim17ROCPRIM_400000_NS6detail17trampoline_kernelINS0_14default_configENS1_22reduce_config_selectorIN6thrust23THRUST_200600_302600_NS5tupleIblNS6_9null_typeES8_S8_S8_S8_S8_S8_S8_EEEEZNS1_11reduce_implILb1ES3_NS6_12zip_iteratorINS7_INS6_11hip_rocprim26transform_input_iterator_tIbNSD_35transform_pair_of_input_iterators_tIbNS6_6detail15normal_iteratorINS6_10device_ptrIKiEEEESL_NS6_8equal_toIiEEEENSG_9not_fun_tINSD_8identityEEEEENSD_19counting_iterator_tIlEES8_S8_S8_S8_S8_S8_S8_S8_EEEEPS9_S9_NSD_9__find_if7functorIS9_EEEE10hipError_tPvRmT1_T2_T3_mT4_P12ihipStream_tbEUlT_E1_NS1_11comp_targetILNS1_3genE8ELNS1_11target_archE1030ELNS1_3gpuE2ELNS1_3repE0EEENS1_30default_config_static_selectorELNS0_4arch9wavefront6targetE0EEEvS14_
	.p2align	8
	.type	_ZN7rocprim17ROCPRIM_400000_NS6detail17trampoline_kernelINS0_14default_configENS1_22reduce_config_selectorIN6thrust23THRUST_200600_302600_NS5tupleIblNS6_9null_typeES8_S8_S8_S8_S8_S8_S8_EEEEZNS1_11reduce_implILb1ES3_NS6_12zip_iteratorINS7_INS6_11hip_rocprim26transform_input_iterator_tIbNSD_35transform_pair_of_input_iterators_tIbNS6_6detail15normal_iteratorINS6_10device_ptrIKiEEEESL_NS6_8equal_toIiEEEENSG_9not_fun_tINSD_8identityEEEEENSD_19counting_iterator_tIlEES8_S8_S8_S8_S8_S8_S8_S8_EEEEPS9_S9_NSD_9__find_if7functorIS9_EEEE10hipError_tPvRmT1_T2_T3_mT4_P12ihipStream_tbEUlT_E1_NS1_11comp_targetILNS1_3genE8ELNS1_11target_archE1030ELNS1_3gpuE2ELNS1_3repE0EEENS1_30default_config_static_selectorELNS0_4arch9wavefront6targetE0EEEvS14_,@function
_ZN7rocprim17ROCPRIM_400000_NS6detail17trampoline_kernelINS0_14default_configENS1_22reduce_config_selectorIN6thrust23THRUST_200600_302600_NS5tupleIblNS6_9null_typeES8_S8_S8_S8_S8_S8_S8_EEEEZNS1_11reduce_implILb1ES3_NS6_12zip_iteratorINS7_INS6_11hip_rocprim26transform_input_iterator_tIbNSD_35transform_pair_of_input_iterators_tIbNS6_6detail15normal_iteratorINS6_10device_ptrIKiEEEESL_NS6_8equal_toIiEEEENSG_9not_fun_tINSD_8identityEEEEENSD_19counting_iterator_tIlEES8_S8_S8_S8_S8_S8_S8_S8_EEEEPS9_S9_NSD_9__find_if7functorIS9_EEEE10hipError_tPvRmT1_T2_T3_mT4_P12ihipStream_tbEUlT_E1_NS1_11comp_targetILNS1_3genE8ELNS1_11target_archE1030ELNS1_3gpuE2ELNS1_3repE0EEENS1_30default_config_static_selectorELNS0_4arch9wavefront6targetE0EEEvS14_: ; @_ZN7rocprim17ROCPRIM_400000_NS6detail17trampoline_kernelINS0_14default_configENS1_22reduce_config_selectorIN6thrust23THRUST_200600_302600_NS5tupleIblNS6_9null_typeES8_S8_S8_S8_S8_S8_S8_EEEEZNS1_11reduce_implILb1ES3_NS6_12zip_iteratorINS7_INS6_11hip_rocprim26transform_input_iterator_tIbNSD_35transform_pair_of_input_iterators_tIbNS6_6detail15normal_iteratorINS6_10device_ptrIKiEEEESL_NS6_8equal_toIiEEEENSG_9not_fun_tINSD_8identityEEEEENSD_19counting_iterator_tIlEES8_S8_S8_S8_S8_S8_S8_S8_EEEEPS9_S9_NSD_9__find_if7functorIS9_EEEE10hipError_tPvRmT1_T2_T3_mT4_P12ihipStream_tbEUlT_E1_NS1_11comp_targetILNS1_3genE8ELNS1_11target_archE1030ELNS1_3gpuE2ELNS1_3repE0EEENS1_30default_config_static_selectorELNS0_4arch9wavefront6targetE0EEEvS14_
; %bb.0:
	.section	.rodata,"a",@progbits
	.p2align	6, 0x0
	.amdhsa_kernel _ZN7rocprim17ROCPRIM_400000_NS6detail17trampoline_kernelINS0_14default_configENS1_22reduce_config_selectorIN6thrust23THRUST_200600_302600_NS5tupleIblNS6_9null_typeES8_S8_S8_S8_S8_S8_S8_EEEEZNS1_11reduce_implILb1ES3_NS6_12zip_iteratorINS7_INS6_11hip_rocprim26transform_input_iterator_tIbNSD_35transform_pair_of_input_iterators_tIbNS6_6detail15normal_iteratorINS6_10device_ptrIKiEEEESL_NS6_8equal_toIiEEEENSG_9not_fun_tINSD_8identityEEEEENSD_19counting_iterator_tIlEES8_S8_S8_S8_S8_S8_S8_S8_EEEEPS9_S9_NSD_9__find_if7functorIS9_EEEE10hipError_tPvRmT1_T2_T3_mT4_P12ihipStream_tbEUlT_E1_NS1_11comp_targetILNS1_3genE8ELNS1_11target_archE1030ELNS1_3gpuE2ELNS1_3repE0EEENS1_30default_config_static_selectorELNS0_4arch9wavefront6targetE0EEEvS14_
		.amdhsa_group_segment_fixed_size 0
		.amdhsa_private_segment_fixed_size 0
		.amdhsa_kernarg_size 88
		.amdhsa_user_sgpr_count 2
		.amdhsa_user_sgpr_dispatch_ptr 0
		.amdhsa_user_sgpr_queue_ptr 0
		.amdhsa_user_sgpr_kernarg_segment_ptr 1
		.amdhsa_user_sgpr_dispatch_id 0
		.amdhsa_user_sgpr_kernarg_preload_length 0
		.amdhsa_user_sgpr_kernarg_preload_offset 0
		.amdhsa_user_sgpr_private_segment_size 0
		.amdhsa_wavefront_size32 1
		.amdhsa_uses_dynamic_stack 0
		.amdhsa_enable_private_segment 0
		.amdhsa_system_sgpr_workgroup_id_x 1
		.amdhsa_system_sgpr_workgroup_id_y 0
		.amdhsa_system_sgpr_workgroup_id_z 0
		.amdhsa_system_sgpr_workgroup_info 0
		.amdhsa_system_vgpr_workitem_id 0
		.amdhsa_next_free_vgpr 1
		.amdhsa_next_free_sgpr 1
		.amdhsa_named_barrier_count 0
		.amdhsa_reserve_vcc 0
		.amdhsa_float_round_mode_32 0
		.amdhsa_float_round_mode_16_64 0
		.amdhsa_float_denorm_mode_32 3
		.amdhsa_float_denorm_mode_16_64 3
		.amdhsa_fp16_overflow 0
		.amdhsa_memory_ordered 1
		.amdhsa_forward_progress 1
		.amdhsa_inst_pref_size 0
		.amdhsa_round_robin_scheduling 0
		.amdhsa_exception_fp_ieee_invalid_op 0
		.amdhsa_exception_fp_denorm_src 0
		.amdhsa_exception_fp_ieee_div_zero 0
		.amdhsa_exception_fp_ieee_overflow 0
		.amdhsa_exception_fp_ieee_underflow 0
		.amdhsa_exception_fp_ieee_inexact 0
		.amdhsa_exception_int_div_zero 0
	.end_amdhsa_kernel
	.section	.text._ZN7rocprim17ROCPRIM_400000_NS6detail17trampoline_kernelINS0_14default_configENS1_22reduce_config_selectorIN6thrust23THRUST_200600_302600_NS5tupleIblNS6_9null_typeES8_S8_S8_S8_S8_S8_S8_EEEEZNS1_11reduce_implILb1ES3_NS6_12zip_iteratorINS7_INS6_11hip_rocprim26transform_input_iterator_tIbNSD_35transform_pair_of_input_iterators_tIbNS6_6detail15normal_iteratorINS6_10device_ptrIKiEEEESL_NS6_8equal_toIiEEEENSG_9not_fun_tINSD_8identityEEEEENSD_19counting_iterator_tIlEES8_S8_S8_S8_S8_S8_S8_S8_EEEEPS9_S9_NSD_9__find_if7functorIS9_EEEE10hipError_tPvRmT1_T2_T3_mT4_P12ihipStream_tbEUlT_E1_NS1_11comp_targetILNS1_3genE8ELNS1_11target_archE1030ELNS1_3gpuE2ELNS1_3repE0EEENS1_30default_config_static_selectorELNS0_4arch9wavefront6targetE0EEEvS14_,"axG",@progbits,_ZN7rocprim17ROCPRIM_400000_NS6detail17trampoline_kernelINS0_14default_configENS1_22reduce_config_selectorIN6thrust23THRUST_200600_302600_NS5tupleIblNS6_9null_typeES8_S8_S8_S8_S8_S8_S8_EEEEZNS1_11reduce_implILb1ES3_NS6_12zip_iteratorINS7_INS6_11hip_rocprim26transform_input_iterator_tIbNSD_35transform_pair_of_input_iterators_tIbNS6_6detail15normal_iteratorINS6_10device_ptrIKiEEEESL_NS6_8equal_toIiEEEENSG_9not_fun_tINSD_8identityEEEEENSD_19counting_iterator_tIlEES8_S8_S8_S8_S8_S8_S8_S8_EEEEPS9_S9_NSD_9__find_if7functorIS9_EEEE10hipError_tPvRmT1_T2_T3_mT4_P12ihipStream_tbEUlT_E1_NS1_11comp_targetILNS1_3genE8ELNS1_11target_archE1030ELNS1_3gpuE2ELNS1_3repE0EEENS1_30default_config_static_selectorELNS0_4arch9wavefront6targetE0EEEvS14_,comdat
.Lfunc_end278:
	.size	_ZN7rocprim17ROCPRIM_400000_NS6detail17trampoline_kernelINS0_14default_configENS1_22reduce_config_selectorIN6thrust23THRUST_200600_302600_NS5tupleIblNS6_9null_typeES8_S8_S8_S8_S8_S8_S8_EEEEZNS1_11reduce_implILb1ES3_NS6_12zip_iteratorINS7_INS6_11hip_rocprim26transform_input_iterator_tIbNSD_35transform_pair_of_input_iterators_tIbNS6_6detail15normal_iteratorINS6_10device_ptrIKiEEEESL_NS6_8equal_toIiEEEENSG_9not_fun_tINSD_8identityEEEEENSD_19counting_iterator_tIlEES8_S8_S8_S8_S8_S8_S8_S8_EEEEPS9_S9_NSD_9__find_if7functorIS9_EEEE10hipError_tPvRmT1_T2_T3_mT4_P12ihipStream_tbEUlT_E1_NS1_11comp_targetILNS1_3genE8ELNS1_11target_archE1030ELNS1_3gpuE2ELNS1_3repE0EEENS1_30default_config_static_selectorELNS0_4arch9wavefront6targetE0EEEvS14_, .Lfunc_end278-_ZN7rocprim17ROCPRIM_400000_NS6detail17trampoline_kernelINS0_14default_configENS1_22reduce_config_selectorIN6thrust23THRUST_200600_302600_NS5tupleIblNS6_9null_typeES8_S8_S8_S8_S8_S8_S8_EEEEZNS1_11reduce_implILb1ES3_NS6_12zip_iteratorINS7_INS6_11hip_rocprim26transform_input_iterator_tIbNSD_35transform_pair_of_input_iterators_tIbNS6_6detail15normal_iteratorINS6_10device_ptrIKiEEEESL_NS6_8equal_toIiEEEENSG_9not_fun_tINSD_8identityEEEEENSD_19counting_iterator_tIlEES8_S8_S8_S8_S8_S8_S8_S8_EEEEPS9_S9_NSD_9__find_if7functorIS9_EEEE10hipError_tPvRmT1_T2_T3_mT4_P12ihipStream_tbEUlT_E1_NS1_11comp_targetILNS1_3genE8ELNS1_11target_archE1030ELNS1_3gpuE2ELNS1_3repE0EEENS1_30default_config_static_selectorELNS0_4arch9wavefront6targetE0EEEvS14_
                                        ; -- End function
	.set _ZN7rocprim17ROCPRIM_400000_NS6detail17trampoline_kernelINS0_14default_configENS1_22reduce_config_selectorIN6thrust23THRUST_200600_302600_NS5tupleIblNS6_9null_typeES8_S8_S8_S8_S8_S8_S8_EEEEZNS1_11reduce_implILb1ES3_NS6_12zip_iteratorINS7_INS6_11hip_rocprim26transform_input_iterator_tIbNSD_35transform_pair_of_input_iterators_tIbNS6_6detail15normal_iteratorINS6_10device_ptrIKiEEEESL_NS6_8equal_toIiEEEENSG_9not_fun_tINSD_8identityEEEEENSD_19counting_iterator_tIlEES8_S8_S8_S8_S8_S8_S8_S8_EEEEPS9_S9_NSD_9__find_if7functorIS9_EEEE10hipError_tPvRmT1_T2_T3_mT4_P12ihipStream_tbEUlT_E1_NS1_11comp_targetILNS1_3genE8ELNS1_11target_archE1030ELNS1_3gpuE2ELNS1_3repE0EEENS1_30default_config_static_selectorELNS0_4arch9wavefront6targetE0EEEvS14_.num_vgpr, 0
	.set _ZN7rocprim17ROCPRIM_400000_NS6detail17trampoline_kernelINS0_14default_configENS1_22reduce_config_selectorIN6thrust23THRUST_200600_302600_NS5tupleIblNS6_9null_typeES8_S8_S8_S8_S8_S8_S8_EEEEZNS1_11reduce_implILb1ES3_NS6_12zip_iteratorINS7_INS6_11hip_rocprim26transform_input_iterator_tIbNSD_35transform_pair_of_input_iterators_tIbNS6_6detail15normal_iteratorINS6_10device_ptrIKiEEEESL_NS6_8equal_toIiEEEENSG_9not_fun_tINSD_8identityEEEEENSD_19counting_iterator_tIlEES8_S8_S8_S8_S8_S8_S8_S8_EEEEPS9_S9_NSD_9__find_if7functorIS9_EEEE10hipError_tPvRmT1_T2_T3_mT4_P12ihipStream_tbEUlT_E1_NS1_11comp_targetILNS1_3genE8ELNS1_11target_archE1030ELNS1_3gpuE2ELNS1_3repE0EEENS1_30default_config_static_selectorELNS0_4arch9wavefront6targetE0EEEvS14_.num_agpr, 0
	.set _ZN7rocprim17ROCPRIM_400000_NS6detail17trampoline_kernelINS0_14default_configENS1_22reduce_config_selectorIN6thrust23THRUST_200600_302600_NS5tupleIblNS6_9null_typeES8_S8_S8_S8_S8_S8_S8_EEEEZNS1_11reduce_implILb1ES3_NS6_12zip_iteratorINS7_INS6_11hip_rocprim26transform_input_iterator_tIbNSD_35transform_pair_of_input_iterators_tIbNS6_6detail15normal_iteratorINS6_10device_ptrIKiEEEESL_NS6_8equal_toIiEEEENSG_9not_fun_tINSD_8identityEEEEENSD_19counting_iterator_tIlEES8_S8_S8_S8_S8_S8_S8_S8_EEEEPS9_S9_NSD_9__find_if7functorIS9_EEEE10hipError_tPvRmT1_T2_T3_mT4_P12ihipStream_tbEUlT_E1_NS1_11comp_targetILNS1_3genE8ELNS1_11target_archE1030ELNS1_3gpuE2ELNS1_3repE0EEENS1_30default_config_static_selectorELNS0_4arch9wavefront6targetE0EEEvS14_.numbered_sgpr, 0
	.set _ZN7rocprim17ROCPRIM_400000_NS6detail17trampoline_kernelINS0_14default_configENS1_22reduce_config_selectorIN6thrust23THRUST_200600_302600_NS5tupleIblNS6_9null_typeES8_S8_S8_S8_S8_S8_S8_EEEEZNS1_11reduce_implILb1ES3_NS6_12zip_iteratorINS7_INS6_11hip_rocprim26transform_input_iterator_tIbNSD_35transform_pair_of_input_iterators_tIbNS6_6detail15normal_iteratorINS6_10device_ptrIKiEEEESL_NS6_8equal_toIiEEEENSG_9not_fun_tINSD_8identityEEEEENSD_19counting_iterator_tIlEES8_S8_S8_S8_S8_S8_S8_S8_EEEEPS9_S9_NSD_9__find_if7functorIS9_EEEE10hipError_tPvRmT1_T2_T3_mT4_P12ihipStream_tbEUlT_E1_NS1_11comp_targetILNS1_3genE8ELNS1_11target_archE1030ELNS1_3gpuE2ELNS1_3repE0EEENS1_30default_config_static_selectorELNS0_4arch9wavefront6targetE0EEEvS14_.num_named_barrier, 0
	.set _ZN7rocprim17ROCPRIM_400000_NS6detail17trampoline_kernelINS0_14default_configENS1_22reduce_config_selectorIN6thrust23THRUST_200600_302600_NS5tupleIblNS6_9null_typeES8_S8_S8_S8_S8_S8_S8_EEEEZNS1_11reduce_implILb1ES3_NS6_12zip_iteratorINS7_INS6_11hip_rocprim26transform_input_iterator_tIbNSD_35transform_pair_of_input_iterators_tIbNS6_6detail15normal_iteratorINS6_10device_ptrIKiEEEESL_NS6_8equal_toIiEEEENSG_9not_fun_tINSD_8identityEEEEENSD_19counting_iterator_tIlEES8_S8_S8_S8_S8_S8_S8_S8_EEEEPS9_S9_NSD_9__find_if7functorIS9_EEEE10hipError_tPvRmT1_T2_T3_mT4_P12ihipStream_tbEUlT_E1_NS1_11comp_targetILNS1_3genE8ELNS1_11target_archE1030ELNS1_3gpuE2ELNS1_3repE0EEENS1_30default_config_static_selectorELNS0_4arch9wavefront6targetE0EEEvS14_.private_seg_size, 0
	.set _ZN7rocprim17ROCPRIM_400000_NS6detail17trampoline_kernelINS0_14default_configENS1_22reduce_config_selectorIN6thrust23THRUST_200600_302600_NS5tupleIblNS6_9null_typeES8_S8_S8_S8_S8_S8_S8_EEEEZNS1_11reduce_implILb1ES3_NS6_12zip_iteratorINS7_INS6_11hip_rocprim26transform_input_iterator_tIbNSD_35transform_pair_of_input_iterators_tIbNS6_6detail15normal_iteratorINS6_10device_ptrIKiEEEESL_NS6_8equal_toIiEEEENSG_9not_fun_tINSD_8identityEEEEENSD_19counting_iterator_tIlEES8_S8_S8_S8_S8_S8_S8_S8_EEEEPS9_S9_NSD_9__find_if7functorIS9_EEEE10hipError_tPvRmT1_T2_T3_mT4_P12ihipStream_tbEUlT_E1_NS1_11comp_targetILNS1_3genE8ELNS1_11target_archE1030ELNS1_3gpuE2ELNS1_3repE0EEENS1_30default_config_static_selectorELNS0_4arch9wavefront6targetE0EEEvS14_.uses_vcc, 0
	.set _ZN7rocprim17ROCPRIM_400000_NS6detail17trampoline_kernelINS0_14default_configENS1_22reduce_config_selectorIN6thrust23THRUST_200600_302600_NS5tupleIblNS6_9null_typeES8_S8_S8_S8_S8_S8_S8_EEEEZNS1_11reduce_implILb1ES3_NS6_12zip_iteratorINS7_INS6_11hip_rocprim26transform_input_iterator_tIbNSD_35transform_pair_of_input_iterators_tIbNS6_6detail15normal_iteratorINS6_10device_ptrIKiEEEESL_NS6_8equal_toIiEEEENSG_9not_fun_tINSD_8identityEEEEENSD_19counting_iterator_tIlEES8_S8_S8_S8_S8_S8_S8_S8_EEEEPS9_S9_NSD_9__find_if7functorIS9_EEEE10hipError_tPvRmT1_T2_T3_mT4_P12ihipStream_tbEUlT_E1_NS1_11comp_targetILNS1_3genE8ELNS1_11target_archE1030ELNS1_3gpuE2ELNS1_3repE0EEENS1_30default_config_static_selectorELNS0_4arch9wavefront6targetE0EEEvS14_.uses_flat_scratch, 0
	.set _ZN7rocprim17ROCPRIM_400000_NS6detail17trampoline_kernelINS0_14default_configENS1_22reduce_config_selectorIN6thrust23THRUST_200600_302600_NS5tupleIblNS6_9null_typeES8_S8_S8_S8_S8_S8_S8_EEEEZNS1_11reduce_implILb1ES3_NS6_12zip_iteratorINS7_INS6_11hip_rocprim26transform_input_iterator_tIbNSD_35transform_pair_of_input_iterators_tIbNS6_6detail15normal_iteratorINS6_10device_ptrIKiEEEESL_NS6_8equal_toIiEEEENSG_9not_fun_tINSD_8identityEEEEENSD_19counting_iterator_tIlEES8_S8_S8_S8_S8_S8_S8_S8_EEEEPS9_S9_NSD_9__find_if7functorIS9_EEEE10hipError_tPvRmT1_T2_T3_mT4_P12ihipStream_tbEUlT_E1_NS1_11comp_targetILNS1_3genE8ELNS1_11target_archE1030ELNS1_3gpuE2ELNS1_3repE0EEENS1_30default_config_static_selectorELNS0_4arch9wavefront6targetE0EEEvS14_.has_dyn_sized_stack, 0
	.set _ZN7rocprim17ROCPRIM_400000_NS6detail17trampoline_kernelINS0_14default_configENS1_22reduce_config_selectorIN6thrust23THRUST_200600_302600_NS5tupleIblNS6_9null_typeES8_S8_S8_S8_S8_S8_S8_EEEEZNS1_11reduce_implILb1ES3_NS6_12zip_iteratorINS7_INS6_11hip_rocprim26transform_input_iterator_tIbNSD_35transform_pair_of_input_iterators_tIbNS6_6detail15normal_iteratorINS6_10device_ptrIKiEEEESL_NS6_8equal_toIiEEEENSG_9not_fun_tINSD_8identityEEEEENSD_19counting_iterator_tIlEES8_S8_S8_S8_S8_S8_S8_S8_EEEEPS9_S9_NSD_9__find_if7functorIS9_EEEE10hipError_tPvRmT1_T2_T3_mT4_P12ihipStream_tbEUlT_E1_NS1_11comp_targetILNS1_3genE8ELNS1_11target_archE1030ELNS1_3gpuE2ELNS1_3repE0EEENS1_30default_config_static_selectorELNS0_4arch9wavefront6targetE0EEEvS14_.has_recursion, 0
	.set _ZN7rocprim17ROCPRIM_400000_NS6detail17trampoline_kernelINS0_14default_configENS1_22reduce_config_selectorIN6thrust23THRUST_200600_302600_NS5tupleIblNS6_9null_typeES8_S8_S8_S8_S8_S8_S8_EEEEZNS1_11reduce_implILb1ES3_NS6_12zip_iteratorINS7_INS6_11hip_rocprim26transform_input_iterator_tIbNSD_35transform_pair_of_input_iterators_tIbNS6_6detail15normal_iteratorINS6_10device_ptrIKiEEEESL_NS6_8equal_toIiEEEENSG_9not_fun_tINSD_8identityEEEEENSD_19counting_iterator_tIlEES8_S8_S8_S8_S8_S8_S8_S8_EEEEPS9_S9_NSD_9__find_if7functorIS9_EEEE10hipError_tPvRmT1_T2_T3_mT4_P12ihipStream_tbEUlT_E1_NS1_11comp_targetILNS1_3genE8ELNS1_11target_archE1030ELNS1_3gpuE2ELNS1_3repE0EEENS1_30default_config_static_selectorELNS0_4arch9wavefront6targetE0EEEvS14_.has_indirect_call, 0
	.section	.AMDGPU.csdata,"",@progbits
; Kernel info:
; codeLenInByte = 0
; TotalNumSgprs: 0
; NumVgprs: 0
; ScratchSize: 0
; MemoryBound: 0
; FloatMode: 240
; IeeeMode: 1
; LDSByteSize: 0 bytes/workgroup (compile time only)
; SGPRBlocks: 0
; VGPRBlocks: 0
; NumSGPRsForWavesPerEU: 1
; NumVGPRsForWavesPerEU: 1
; NamedBarCnt: 0
; Occupancy: 16
; WaveLimiterHint : 0
; COMPUTE_PGM_RSRC2:SCRATCH_EN: 0
; COMPUTE_PGM_RSRC2:USER_SGPR: 2
; COMPUTE_PGM_RSRC2:TRAP_HANDLER: 0
; COMPUTE_PGM_RSRC2:TGID_X_EN: 1
; COMPUTE_PGM_RSRC2:TGID_Y_EN: 0
; COMPUTE_PGM_RSRC2:TGID_Z_EN: 0
; COMPUTE_PGM_RSRC2:TIDIG_COMP_CNT: 0
	.section	.text._ZN6thrust23THRUST_200600_302600_NS11hip_rocprim14__parallel_for6kernelILj256ENS1_20__uninitialized_fill7functorINS0_10device_ptrIsEEsEEmLj1EEEvT0_T1_SA_,"axG",@progbits,_ZN6thrust23THRUST_200600_302600_NS11hip_rocprim14__parallel_for6kernelILj256ENS1_20__uninitialized_fill7functorINS0_10device_ptrIsEEsEEmLj1EEEvT0_T1_SA_,comdat
	.protected	_ZN6thrust23THRUST_200600_302600_NS11hip_rocprim14__parallel_for6kernelILj256ENS1_20__uninitialized_fill7functorINS0_10device_ptrIsEEsEEmLj1EEEvT0_T1_SA_ ; -- Begin function _ZN6thrust23THRUST_200600_302600_NS11hip_rocprim14__parallel_for6kernelILj256ENS1_20__uninitialized_fill7functorINS0_10device_ptrIsEEsEEmLj1EEEvT0_T1_SA_
	.globl	_ZN6thrust23THRUST_200600_302600_NS11hip_rocprim14__parallel_for6kernelILj256ENS1_20__uninitialized_fill7functorINS0_10device_ptrIsEEsEEmLj1EEEvT0_T1_SA_
	.p2align	8
	.type	_ZN6thrust23THRUST_200600_302600_NS11hip_rocprim14__parallel_for6kernelILj256ENS1_20__uninitialized_fill7functorINS0_10device_ptrIsEEsEEmLj1EEEvT0_T1_SA_,@function
_ZN6thrust23THRUST_200600_302600_NS11hip_rocprim14__parallel_for6kernelILj256ENS1_20__uninitialized_fill7functorINS0_10device_ptrIsEEsEEmLj1EEEvT0_T1_SA_: ; @_ZN6thrust23THRUST_200600_302600_NS11hip_rocprim14__parallel_for6kernelILj256ENS1_20__uninitialized_fill7functorINS0_10device_ptrIsEEsEEmLj1EEEvT0_T1_SA_
; %bb.0:
	s_load_b128 s[8:11], s[0:1], 0x10
	s_bfe_u32 s2, ttmp6, 0x4000c
	s_and_b32 s3, ttmp6, 15
	s_add_co_i32 s2, s2, 1
	s_getreg_b32 s4, hwreg(HW_REG_IB_STS2, 6, 4)
	s_mul_i32 s2, ttmp9, s2
	s_delay_alu instid0(SALU_CYCLE_1)
	s_add_co_i32 s3, s3, s2
	s_cmp_eq_u32 s4, 0
	s_load_b96 s[4:6], s[0:1], 0x0
	s_wait_xcnt 0x0
	s_cselect_b32 s0, ttmp9, s3
	s_mov_b32 s1, 0
	s_lshl_b32 s0, s0, 8
	s_wait_kmcnt 0x0
	s_add_nc_u64 s[0:1], s[10:11], s[0:1]
	s_delay_alu instid0(SALU_CYCLE_1) | instskip(NEXT) | instid1(SALU_CYCLE_1)
	s_sub_nc_u64 s[2:3], s[8:9], s[0:1]
	v_cmp_lt_u64_e64 s3, 0xff, s[2:3]
	s_and_b32 vcc_lo, exec_lo, s3
	s_mov_b32 s3, -1
	s_cbranch_vccz .LBB279_3
; %bb.1:
	s_and_not1_b32 vcc_lo, exec_lo, s3
	s_cbranch_vccz .LBB279_6
.LBB279_2:
	s_endpgm
.LBB279_3:
	v_cmp_gt_u32_e32 vcc_lo, s2, v0
	s_and_saveexec_b32 s2, vcc_lo
	s_cbranch_execz .LBB279_5
; %bb.4:
	v_mov_b32_e32 v1, s6
	s_lshl_b64 s[8:9], s[0:1], 1
	s_delay_alu instid0(SALU_CYCLE_1)
	s_add_nc_u64 s[8:9], s[4:5], s[8:9]
	flat_store_b16 v0, v1, s[8:9] scale_offset
.LBB279_5:
	s_wait_xcnt 0x0
	s_or_b32 exec_lo, exec_lo, s2
	s_cbranch_execnz .LBB279_2
.LBB279_6:
	v_mov_b32_e32 v1, s6
	s_lshl_b64 s[0:1], s[0:1], 1
	s_delay_alu instid0(SALU_CYCLE_1)
	s_add_nc_u64 s[0:1], s[4:5], s[0:1]
	flat_store_b16 v0, v1, s[0:1] scale_offset
	s_endpgm
	.section	.rodata,"a",@progbits
	.p2align	6, 0x0
	.amdhsa_kernel _ZN6thrust23THRUST_200600_302600_NS11hip_rocprim14__parallel_for6kernelILj256ENS1_20__uninitialized_fill7functorINS0_10device_ptrIsEEsEEmLj1EEEvT0_T1_SA_
		.amdhsa_group_segment_fixed_size 0
		.amdhsa_private_segment_fixed_size 0
		.amdhsa_kernarg_size 32
		.amdhsa_user_sgpr_count 2
		.amdhsa_user_sgpr_dispatch_ptr 0
		.amdhsa_user_sgpr_queue_ptr 0
		.amdhsa_user_sgpr_kernarg_segment_ptr 1
		.amdhsa_user_sgpr_dispatch_id 0
		.amdhsa_user_sgpr_kernarg_preload_length 0
		.amdhsa_user_sgpr_kernarg_preload_offset 0
		.amdhsa_user_sgpr_private_segment_size 0
		.amdhsa_wavefront_size32 1
		.amdhsa_uses_dynamic_stack 0
		.amdhsa_enable_private_segment 0
		.amdhsa_system_sgpr_workgroup_id_x 1
		.amdhsa_system_sgpr_workgroup_id_y 0
		.amdhsa_system_sgpr_workgroup_id_z 0
		.amdhsa_system_sgpr_workgroup_info 0
		.amdhsa_system_vgpr_workitem_id 0
		.amdhsa_next_free_vgpr 2
		.amdhsa_next_free_sgpr 12
		.amdhsa_named_barrier_count 0
		.amdhsa_reserve_vcc 1
		.amdhsa_float_round_mode_32 0
		.amdhsa_float_round_mode_16_64 0
		.amdhsa_float_denorm_mode_32 3
		.amdhsa_float_denorm_mode_16_64 3
		.amdhsa_fp16_overflow 0
		.amdhsa_memory_ordered 1
		.amdhsa_forward_progress 1
		.amdhsa_inst_pref_size 2
		.amdhsa_round_robin_scheduling 0
		.amdhsa_exception_fp_ieee_invalid_op 0
		.amdhsa_exception_fp_denorm_src 0
		.amdhsa_exception_fp_ieee_div_zero 0
		.amdhsa_exception_fp_ieee_overflow 0
		.amdhsa_exception_fp_ieee_underflow 0
		.amdhsa_exception_fp_ieee_inexact 0
		.amdhsa_exception_int_div_zero 0
	.end_amdhsa_kernel
	.section	.text._ZN6thrust23THRUST_200600_302600_NS11hip_rocprim14__parallel_for6kernelILj256ENS1_20__uninitialized_fill7functorINS0_10device_ptrIsEEsEEmLj1EEEvT0_T1_SA_,"axG",@progbits,_ZN6thrust23THRUST_200600_302600_NS11hip_rocprim14__parallel_for6kernelILj256ENS1_20__uninitialized_fill7functorINS0_10device_ptrIsEEsEEmLj1EEEvT0_T1_SA_,comdat
.Lfunc_end279:
	.size	_ZN6thrust23THRUST_200600_302600_NS11hip_rocprim14__parallel_for6kernelILj256ENS1_20__uninitialized_fill7functorINS0_10device_ptrIsEEsEEmLj1EEEvT0_T1_SA_, .Lfunc_end279-_ZN6thrust23THRUST_200600_302600_NS11hip_rocprim14__parallel_for6kernelILj256ENS1_20__uninitialized_fill7functorINS0_10device_ptrIsEEsEEmLj1EEEvT0_T1_SA_
                                        ; -- End function
	.set _ZN6thrust23THRUST_200600_302600_NS11hip_rocprim14__parallel_for6kernelILj256ENS1_20__uninitialized_fill7functorINS0_10device_ptrIsEEsEEmLj1EEEvT0_T1_SA_.num_vgpr, 2
	.set _ZN6thrust23THRUST_200600_302600_NS11hip_rocprim14__parallel_for6kernelILj256ENS1_20__uninitialized_fill7functorINS0_10device_ptrIsEEsEEmLj1EEEvT0_T1_SA_.num_agpr, 0
	.set _ZN6thrust23THRUST_200600_302600_NS11hip_rocprim14__parallel_for6kernelILj256ENS1_20__uninitialized_fill7functorINS0_10device_ptrIsEEsEEmLj1EEEvT0_T1_SA_.numbered_sgpr, 12
	.set _ZN6thrust23THRUST_200600_302600_NS11hip_rocprim14__parallel_for6kernelILj256ENS1_20__uninitialized_fill7functorINS0_10device_ptrIsEEsEEmLj1EEEvT0_T1_SA_.num_named_barrier, 0
	.set _ZN6thrust23THRUST_200600_302600_NS11hip_rocprim14__parallel_for6kernelILj256ENS1_20__uninitialized_fill7functorINS0_10device_ptrIsEEsEEmLj1EEEvT0_T1_SA_.private_seg_size, 0
	.set _ZN6thrust23THRUST_200600_302600_NS11hip_rocprim14__parallel_for6kernelILj256ENS1_20__uninitialized_fill7functorINS0_10device_ptrIsEEsEEmLj1EEEvT0_T1_SA_.uses_vcc, 1
	.set _ZN6thrust23THRUST_200600_302600_NS11hip_rocprim14__parallel_for6kernelILj256ENS1_20__uninitialized_fill7functorINS0_10device_ptrIsEEsEEmLj1EEEvT0_T1_SA_.uses_flat_scratch, 0
	.set _ZN6thrust23THRUST_200600_302600_NS11hip_rocprim14__parallel_for6kernelILj256ENS1_20__uninitialized_fill7functorINS0_10device_ptrIsEEsEEmLj1EEEvT0_T1_SA_.has_dyn_sized_stack, 0
	.set _ZN6thrust23THRUST_200600_302600_NS11hip_rocprim14__parallel_for6kernelILj256ENS1_20__uninitialized_fill7functorINS0_10device_ptrIsEEsEEmLj1EEEvT0_T1_SA_.has_recursion, 0
	.set _ZN6thrust23THRUST_200600_302600_NS11hip_rocprim14__parallel_for6kernelILj256ENS1_20__uninitialized_fill7functorINS0_10device_ptrIsEEsEEmLj1EEEvT0_T1_SA_.has_indirect_call, 0
	.section	.AMDGPU.csdata,"",@progbits
; Kernel info:
; codeLenInByte = 204
; TotalNumSgprs: 14
; NumVgprs: 2
; ScratchSize: 0
; MemoryBound: 0
; FloatMode: 240
; IeeeMode: 1
; LDSByteSize: 0 bytes/workgroup (compile time only)
; SGPRBlocks: 0
; VGPRBlocks: 0
; NumSGPRsForWavesPerEU: 14
; NumVGPRsForWavesPerEU: 2
; NamedBarCnt: 0
; Occupancy: 16
; WaveLimiterHint : 0
; COMPUTE_PGM_RSRC2:SCRATCH_EN: 0
; COMPUTE_PGM_RSRC2:USER_SGPR: 2
; COMPUTE_PGM_RSRC2:TRAP_HANDLER: 0
; COMPUTE_PGM_RSRC2:TGID_X_EN: 1
; COMPUTE_PGM_RSRC2:TGID_Y_EN: 0
; COMPUTE_PGM_RSRC2:TGID_Z_EN: 0
; COMPUTE_PGM_RSRC2:TIDIG_COMP_CNT: 0
	.section	.text._ZN7rocprim17ROCPRIM_400000_NS6detail17trampoline_kernelINS0_14default_configENS1_21merge_config_selectorINS0_5tupleIJssEEENS0_10empty_typeEEEZNS1_10merge_implIS3_NS0_12zip_iteratorINS5_IJN6thrust23THRUST_200600_302600_NS6detail15normal_iteratorINSC_10device_ptrIKsEEEESI_EEEEESK_NSA_INS5_IJNSE_INSF_IsEEEESM_EEEEEPS7_SP_SP_NSC_11hip_rocprim7__merge17predicate_wrapperIssNSC_4lessIsEEEEEE10hipError_tPvRmT0_T1_T2_T3_T4_T5_mmT6_P12ihipStream_tbEUlT_E_NS1_11comp_targetILNS1_3genE0ELNS1_11target_archE4294967295ELNS1_3gpuE0ELNS1_3repE0EEENS1_30default_config_static_selectorELNS0_4arch9wavefront6targetE0EEEvS10_,"axG",@progbits,_ZN7rocprim17ROCPRIM_400000_NS6detail17trampoline_kernelINS0_14default_configENS1_21merge_config_selectorINS0_5tupleIJssEEENS0_10empty_typeEEEZNS1_10merge_implIS3_NS0_12zip_iteratorINS5_IJN6thrust23THRUST_200600_302600_NS6detail15normal_iteratorINSC_10device_ptrIKsEEEESI_EEEEESK_NSA_INS5_IJNSE_INSF_IsEEEESM_EEEEEPS7_SP_SP_NSC_11hip_rocprim7__merge17predicate_wrapperIssNSC_4lessIsEEEEEE10hipError_tPvRmT0_T1_T2_T3_T4_T5_mmT6_P12ihipStream_tbEUlT_E_NS1_11comp_targetILNS1_3genE0ELNS1_11target_archE4294967295ELNS1_3gpuE0ELNS1_3repE0EEENS1_30default_config_static_selectorELNS0_4arch9wavefront6targetE0EEEvS10_,comdat
	.protected	_ZN7rocprim17ROCPRIM_400000_NS6detail17trampoline_kernelINS0_14default_configENS1_21merge_config_selectorINS0_5tupleIJssEEENS0_10empty_typeEEEZNS1_10merge_implIS3_NS0_12zip_iteratorINS5_IJN6thrust23THRUST_200600_302600_NS6detail15normal_iteratorINSC_10device_ptrIKsEEEESI_EEEEESK_NSA_INS5_IJNSE_INSF_IsEEEESM_EEEEEPS7_SP_SP_NSC_11hip_rocprim7__merge17predicate_wrapperIssNSC_4lessIsEEEEEE10hipError_tPvRmT0_T1_T2_T3_T4_T5_mmT6_P12ihipStream_tbEUlT_E_NS1_11comp_targetILNS1_3genE0ELNS1_11target_archE4294967295ELNS1_3gpuE0ELNS1_3repE0EEENS1_30default_config_static_selectorELNS0_4arch9wavefront6targetE0EEEvS10_ ; -- Begin function _ZN7rocprim17ROCPRIM_400000_NS6detail17trampoline_kernelINS0_14default_configENS1_21merge_config_selectorINS0_5tupleIJssEEENS0_10empty_typeEEEZNS1_10merge_implIS3_NS0_12zip_iteratorINS5_IJN6thrust23THRUST_200600_302600_NS6detail15normal_iteratorINSC_10device_ptrIKsEEEESI_EEEEESK_NSA_INS5_IJNSE_INSF_IsEEEESM_EEEEEPS7_SP_SP_NSC_11hip_rocprim7__merge17predicate_wrapperIssNSC_4lessIsEEEEEE10hipError_tPvRmT0_T1_T2_T3_T4_T5_mmT6_P12ihipStream_tbEUlT_E_NS1_11comp_targetILNS1_3genE0ELNS1_11target_archE4294967295ELNS1_3gpuE0ELNS1_3repE0EEENS1_30default_config_static_selectorELNS0_4arch9wavefront6targetE0EEEvS10_
	.globl	_ZN7rocprim17ROCPRIM_400000_NS6detail17trampoline_kernelINS0_14default_configENS1_21merge_config_selectorINS0_5tupleIJssEEENS0_10empty_typeEEEZNS1_10merge_implIS3_NS0_12zip_iteratorINS5_IJN6thrust23THRUST_200600_302600_NS6detail15normal_iteratorINSC_10device_ptrIKsEEEESI_EEEEESK_NSA_INS5_IJNSE_INSF_IsEEEESM_EEEEEPS7_SP_SP_NSC_11hip_rocprim7__merge17predicate_wrapperIssNSC_4lessIsEEEEEE10hipError_tPvRmT0_T1_T2_T3_T4_T5_mmT6_P12ihipStream_tbEUlT_E_NS1_11comp_targetILNS1_3genE0ELNS1_11target_archE4294967295ELNS1_3gpuE0ELNS1_3repE0EEENS1_30default_config_static_selectorELNS0_4arch9wavefront6targetE0EEEvS10_
	.p2align	8
	.type	_ZN7rocprim17ROCPRIM_400000_NS6detail17trampoline_kernelINS0_14default_configENS1_21merge_config_selectorINS0_5tupleIJssEEENS0_10empty_typeEEEZNS1_10merge_implIS3_NS0_12zip_iteratorINS5_IJN6thrust23THRUST_200600_302600_NS6detail15normal_iteratorINSC_10device_ptrIKsEEEESI_EEEEESK_NSA_INS5_IJNSE_INSF_IsEEEESM_EEEEEPS7_SP_SP_NSC_11hip_rocprim7__merge17predicate_wrapperIssNSC_4lessIsEEEEEE10hipError_tPvRmT0_T1_T2_T3_T4_T5_mmT6_P12ihipStream_tbEUlT_E_NS1_11comp_targetILNS1_3genE0ELNS1_11target_archE4294967295ELNS1_3gpuE0ELNS1_3repE0EEENS1_30default_config_static_selectorELNS0_4arch9wavefront6targetE0EEEvS10_,@function
_ZN7rocprim17ROCPRIM_400000_NS6detail17trampoline_kernelINS0_14default_configENS1_21merge_config_selectorINS0_5tupleIJssEEENS0_10empty_typeEEEZNS1_10merge_implIS3_NS0_12zip_iteratorINS5_IJN6thrust23THRUST_200600_302600_NS6detail15normal_iteratorINSC_10device_ptrIKsEEEESI_EEEEESK_NSA_INS5_IJNSE_INSF_IsEEEESM_EEEEEPS7_SP_SP_NSC_11hip_rocprim7__merge17predicate_wrapperIssNSC_4lessIsEEEEEE10hipError_tPvRmT0_T1_T2_T3_T4_T5_mmT6_P12ihipStream_tbEUlT_E_NS1_11comp_targetILNS1_3genE0ELNS1_11target_archE4294967295ELNS1_3gpuE0ELNS1_3repE0EEENS1_30default_config_static_selectorELNS0_4arch9wavefront6targetE0EEEvS10_: ; @_ZN7rocprim17ROCPRIM_400000_NS6detail17trampoline_kernelINS0_14default_configENS1_21merge_config_selectorINS0_5tupleIJssEEENS0_10empty_typeEEEZNS1_10merge_implIS3_NS0_12zip_iteratorINS5_IJN6thrust23THRUST_200600_302600_NS6detail15normal_iteratorINSC_10device_ptrIKsEEEESI_EEEEESK_NSA_INS5_IJNSE_INSF_IsEEEESM_EEEEEPS7_SP_SP_NSC_11hip_rocprim7__merge17predicate_wrapperIssNSC_4lessIsEEEEEE10hipError_tPvRmT0_T1_T2_T3_T4_T5_mmT6_P12ihipStream_tbEUlT_E_NS1_11comp_targetILNS1_3genE0ELNS1_11target_archE4294967295ELNS1_3gpuE0ELNS1_3repE0EEENS1_30default_config_static_selectorELNS0_4arch9wavefront6targetE0EEEvS10_
; %bb.0:
	s_clause 0x2
	s_load_b32 s4, s[0:1], 0x38
	s_load_b32 s2, s[0:1], 0x4c
	s_load_b128 s[8:11], s[0:1], 0x28
	s_getreg_b32 s7, hwreg(HW_REG_IB_STS2, 6, 4)
	s_wait_kmcnt 0x0
	s_cvt_f32_u32 s3, s4
	s_and_b32 s6, s2, 0xffff
	s_and_b32 s2, ttmp6, 15
	s_delay_alu instid0(SALU_CYCLE_1) | instskip(SKIP_1) | instid1(SALU_CYCLE_1)
	v_rcp_iflag_f32_e32 v1, s3
	s_bfe_u32 s3, ttmp6, 0x4000c
	s_add_co_i32 s3, s3, 1
	s_delay_alu instid0(SALU_CYCLE_1) | instskip(NEXT) | instid1(SALU_CYCLE_1)
	s_mul_i32 s3, ttmp9, s3
	s_add_co_i32 s2, s2, s3
	v_nop
	s_delay_alu instid0(TRANS32_DEP_1)
	v_readfirstlane_b32 s5, v1
	s_cmp_eq_u32 s7, 0
	s_cselect_b32 s7, ttmp9, s2
	s_sub_co_i32 s12, 0, s4
	s_mul_f32 s5, s5, 0x4f7ffffe
	s_add_nc_u64 s[2:3], s[10:11], s[8:9]
	v_mad_u32 v6, s7, s6, v0
	s_add_co_i32 s13, s4, s2
	s_cvt_u32_f32 s5, s5
	s_add_co_i32 s13, s13, -1
	s_delay_alu instid0(SALU_CYCLE_2) | instskip(NEXT) | instid1(SALU_CYCLE_1)
	s_mul_i32 s12, s12, s5
	s_mul_hi_u32 s12, s5, s12
	s_delay_alu instid0(SALU_CYCLE_1) | instskip(NEXT) | instid1(SALU_CYCLE_1)
	s_add_co_i32 s5, s5, s12
	s_mul_hi_u32 s5, s13, s5
	s_delay_alu instid0(SALU_CYCLE_1) | instskip(SKIP_2) | instid1(SALU_CYCLE_1)
	s_mul_i32 s12, s5, s4
	s_add_co_i32 s7, s5, 1
	s_sub_co_i32 s6, s13, s12
	s_sub_co_i32 s12, s6, s4
	s_cmp_ge_u32 s6, s4
	s_cselect_b32 s5, s7, s5
	s_cselect_b32 s6, s12, s6
	s_add_co_i32 s7, s5, 1
	s_cmp_ge_u32 s6, s4
	s_cselect_b32 s5, s7, s5
	s_delay_alu instid0(SALU_CYCLE_1)
	v_cmp_ge_u32_e32 vcc_lo, s5, v6
	s_and_saveexec_b32 s5, vcc_lo
	s_cbranch_execz .LBB280_6
; %bb.1:
	v_mul_lo_u32 v0, v6, s4
	v_mov_b32_e32 v1, 0
	s_load_b128 s[4:7], s[0:1], 0x0
	s_delay_alu instid0(VALU_DEP_1) | instskip(SKIP_1) | instid1(VALU_DEP_1)
	v_min_u64 v[4:5], v[0:1], s[2:3]
	s_mov_b32 s2, exec_lo
	v_max_u64 v[0:1], v[4:5], s[10:11]
	v_min_u64 v[2:3], v[4:5], s[8:9]
	s_delay_alu instid0(VALU_DEP_2) | instskip(NEXT) | instid1(VALU_DEP_1)
	v_sub_nc_u64_e64 v[0:1], v[0:1], s[10:11]
	v_cmpx_lt_u64_e64 v[0:1], v[2:3]
	s_cbranch_execz .LBB280_5
; %bb.2:
	s_wait_xcnt 0x0
	s_load_b64 s[0:1], s[0:1], 0x18
	s_wait_kmcnt 0x0
	v_lshl_add_u64 v[4:5], v[4:5], 1, s[0:1]
	s_mov_b32 s0, 0
.LBB280_3:                              ; =>This Inner Loop Header: Depth=1
	v_add_nc_u64_e32 v[8:9], v[2:3], v[0:1]
	s_delay_alu instid0(VALU_DEP_1) | instskip(SKIP_2) | instid1(VALU_DEP_2)
	v_lshrrev_b64 v[10:11], 1, v[8:9]
	v_and_b32_e32 v8, -2, v8
	v_xor_b32_e32 v13, -1, v9
	v_xor_b32_e32 v12, -2, v8
	v_add_nc_u64_e32 v[8:9], s[6:7], v[8:9]
	s_delay_alu instid0(VALU_DEP_2)
	v_add_nc_u64_e32 v[12:13], v[4:5], v[12:13]
	global_load_u16 v7, v[8:9], off
	global_load_u16 v14, v[12:13], off
	s_wait_xcnt 0x1
	v_add_nc_u64_e32 v[8:9], 1, v[10:11]
	s_wait_loadcnt 0x0
	v_cmp_lt_i16_e32 vcc_lo, v14, v7
	v_dual_cndmask_b32 v3, v3, v11 :: v_dual_cndmask_b32 v2, v2, v10
	s_delay_alu instid0(VALU_DEP_3) | instskip(NEXT) | instid1(VALU_DEP_1)
	v_dual_cndmask_b32 v1, v9, v1 :: v_dual_cndmask_b32 v0, v8, v0
	v_cmp_ge_u64_e32 vcc_lo, v[0:1], v[2:3]
	s_or_b32 s0, vcc_lo, s0
	s_delay_alu instid0(SALU_CYCLE_1)
	s_and_not1_b32 exec_lo, exec_lo, s0
	s_cbranch_execnz .LBB280_3
; %bb.4:
	s_or_b32 exec_lo, exec_lo, s0
.LBB280_5:
	s_delay_alu instid0(SALU_CYCLE_1)
	s_or_b32 exec_lo, exec_lo, s2
	s_wait_kmcnt 0x0
	global_store_b32 v6, v0, s[4:5] scale_offset
.LBB280_6:
	s_endpgm
	.section	.rodata,"a",@progbits
	.p2align	6, 0x0
	.amdhsa_kernel _ZN7rocprim17ROCPRIM_400000_NS6detail17trampoline_kernelINS0_14default_configENS1_21merge_config_selectorINS0_5tupleIJssEEENS0_10empty_typeEEEZNS1_10merge_implIS3_NS0_12zip_iteratorINS5_IJN6thrust23THRUST_200600_302600_NS6detail15normal_iteratorINSC_10device_ptrIKsEEEESI_EEEEESK_NSA_INS5_IJNSE_INSF_IsEEEESM_EEEEEPS7_SP_SP_NSC_11hip_rocprim7__merge17predicate_wrapperIssNSC_4lessIsEEEEEE10hipError_tPvRmT0_T1_T2_T3_T4_T5_mmT6_P12ihipStream_tbEUlT_E_NS1_11comp_targetILNS1_3genE0ELNS1_11target_archE4294967295ELNS1_3gpuE0ELNS1_3repE0EEENS1_30default_config_static_selectorELNS0_4arch9wavefront6targetE0EEEvS10_
		.amdhsa_group_segment_fixed_size 0
		.amdhsa_private_segment_fixed_size 0
		.amdhsa_kernarg_size 320
		.amdhsa_user_sgpr_count 2
		.amdhsa_user_sgpr_dispatch_ptr 0
		.amdhsa_user_sgpr_queue_ptr 0
		.amdhsa_user_sgpr_kernarg_segment_ptr 1
		.amdhsa_user_sgpr_dispatch_id 0
		.amdhsa_user_sgpr_kernarg_preload_length 0
		.amdhsa_user_sgpr_kernarg_preload_offset 0
		.amdhsa_user_sgpr_private_segment_size 0
		.amdhsa_wavefront_size32 1
		.amdhsa_uses_dynamic_stack 0
		.amdhsa_enable_private_segment 0
		.amdhsa_system_sgpr_workgroup_id_x 1
		.amdhsa_system_sgpr_workgroup_id_y 0
		.amdhsa_system_sgpr_workgroup_id_z 0
		.amdhsa_system_sgpr_workgroup_info 0
		.amdhsa_system_vgpr_workitem_id 0
		.amdhsa_next_free_vgpr 15
		.amdhsa_next_free_sgpr 14
		.amdhsa_named_barrier_count 0
		.amdhsa_reserve_vcc 1
		.amdhsa_float_round_mode_32 0
		.amdhsa_float_round_mode_16_64 0
		.amdhsa_float_denorm_mode_32 3
		.amdhsa_float_denorm_mode_16_64 3
		.amdhsa_fp16_overflow 0
		.amdhsa_memory_ordered 1
		.amdhsa_forward_progress 1
		.amdhsa_inst_pref_size 4
		.amdhsa_round_robin_scheduling 0
		.amdhsa_exception_fp_ieee_invalid_op 0
		.amdhsa_exception_fp_denorm_src 0
		.amdhsa_exception_fp_ieee_div_zero 0
		.amdhsa_exception_fp_ieee_overflow 0
		.amdhsa_exception_fp_ieee_underflow 0
		.amdhsa_exception_fp_ieee_inexact 0
		.amdhsa_exception_int_div_zero 0
	.end_amdhsa_kernel
	.section	.text._ZN7rocprim17ROCPRIM_400000_NS6detail17trampoline_kernelINS0_14default_configENS1_21merge_config_selectorINS0_5tupleIJssEEENS0_10empty_typeEEEZNS1_10merge_implIS3_NS0_12zip_iteratorINS5_IJN6thrust23THRUST_200600_302600_NS6detail15normal_iteratorINSC_10device_ptrIKsEEEESI_EEEEESK_NSA_INS5_IJNSE_INSF_IsEEEESM_EEEEEPS7_SP_SP_NSC_11hip_rocprim7__merge17predicate_wrapperIssNSC_4lessIsEEEEEE10hipError_tPvRmT0_T1_T2_T3_T4_T5_mmT6_P12ihipStream_tbEUlT_E_NS1_11comp_targetILNS1_3genE0ELNS1_11target_archE4294967295ELNS1_3gpuE0ELNS1_3repE0EEENS1_30default_config_static_selectorELNS0_4arch9wavefront6targetE0EEEvS10_,"axG",@progbits,_ZN7rocprim17ROCPRIM_400000_NS6detail17trampoline_kernelINS0_14default_configENS1_21merge_config_selectorINS0_5tupleIJssEEENS0_10empty_typeEEEZNS1_10merge_implIS3_NS0_12zip_iteratorINS5_IJN6thrust23THRUST_200600_302600_NS6detail15normal_iteratorINSC_10device_ptrIKsEEEESI_EEEEESK_NSA_INS5_IJNSE_INSF_IsEEEESM_EEEEEPS7_SP_SP_NSC_11hip_rocprim7__merge17predicate_wrapperIssNSC_4lessIsEEEEEE10hipError_tPvRmT0_T1_T2_T3_T4_T5_mmT6_P12ihipStream_tbEUlT_E_NS1_11comp_targetILNS1_3genE0ELNS1_11target_archE4294967295ELNS1_3gpuE0ELNS1_3repE0EEENS1_30default_config_static_selectorELNS0_4arch9wavefront6targetE0EEEvS10_,comdat
.Lfunc_end280:
	.size	_ZN7rocprim17ROCPRIM_400000_NS6detail17trampoline_kernelINS0_14default_configENS1_21merge_config_selectorINS0_5tupleIJssEEENS0_10empty_typeEEEZNS1_10merge_implIS3_NS0_12zip_iteratorINS5_IJN6thrust23THRUST_200600_302600_NS6detail15normal_iteratorINSC_10device_ptrIKsEEEESI_EEEEESK_NSA_INS5_IJNSE_INSF_IsEEEESM_EEEEEPS7_SP_SP_NSC_11hip_rocprim7__merge17predicate_wrapperIssNSC_4lessIsEEEEEE10hipError_tPvRmT0_T1_T2_T3_T4_T5_mmT6_P12ihipStream_tbEUlT_E_NS1_11comp_targetILNS1_3genE0ELNS1_11target_archE4294967295ELNS1_3gpuE0ELNS1_3repE0EEENS1_30default_config_static_selectorELNS0_4arch9wavefront6targetE0EEEvS10_, .Lfunc_end280-_ZN7rocprim17ROCPRIM_400000_NS6detail17trampoline_kernelINS0_14default_configENS1_21merge_config_selectorINS0_5tupleIJssEEENS0_10empty_typeEEEZNS1_10merge_implIS3_NS0_12zip_iteratorINS5_IJN6thrust23THRUST_200600_302600_NS6detail15normal_iteratorINSC_10device_ptrIKsEEEESI_EEEEESK_NSA_INS5_IJNSE_INSF_IsEEEESM_EEEEEPS7_SP_SP_NSC_11hip_rocprim7__merge17predicate_wrapperIssNSC_4lessIsEEEEEE10hipError_tPvRmT0_T1_T2_T3_T4_T5_mmT6_P12ihipStream_tbEUlT_E_NS1_11comp_targetILNS1_3genE0ELNS1_11target_archE4294967295ELNS1_3gpuE0ELNS1_3repE0EEENS1_30default_config_static_selectorELNS0_4arch9wavefront6targetE0EEEvS10_
                                        ; -- End function
	.set _ZN7rocprim17ROCPRIM_400000_NS6detail17trampoline_kernelINS0_14default_configENS1_21merge_config_selectorINS0_5tupleIJssEEENS0_10empty_typeEEEZNS1_10merge_implIS3_NS0_12zip_iteratorINS5_IJN6thrust23THRUST_200600_302600_NS6detail15normal_iteratorINSC_10device_ptrIKsEEEESI_EEEEESK_NSA_INS5_IJNSE_INSF_IsEEEESM_EEEEEPS7_SP_SP_NSC_11hip_rocprim7__merge17predicate_wrapperIssNSC_4lessIsEEEEEE10hipError_tPvRmT0_T1_T2_T3_T4_T5_mmT6_P12ihipStream_tbEUlT_E_NS1_11comp_targetILNS1_3genE0ELNS1_11target_archE4294967295ELNS1_3gpuE0ELNS1_3repE0EEENS1_30default_config_static_selectorELNS0_4arch9wavefront6targetE0EEEvS10_.num_vgpr, 15
	.set _ZN7rocprim17ROCPRIM_400000_NS6detail17trampoline_kernelINS0_14default_configENS1_21merge_config_selectorINS0_5tupleIJssEEENS0_10empty_typeEEEZNS1_10merge_implIS3_NS0_12zip_iteratorINS5_IJN6thrust23THRUST_200600_302600_NS6detail15normal_iteratorINSC_10device_ptrIKsEEEESI_EEEEESK_NSA_INS5_IJNSE_INSF_IsEEEESM_EEEEEPS7_SP_SP_NSC_11hip_rocprim7__merge17predicate_wrapperIssNSC_4lessIsEEEEEE10hipError_tPvRmT0_T1_T2_T3_T4_T5_mmT6_P12ihipStream_tbEUlT_E_NS1_11comp_targetILNS1_3genE0ELNS1_11target_archE4294967295ELNS1_3gpuE0ELNS1_3repE0EEENS1_30default_config_static_selectorELNS0_4arch9wavefront6targetE0EEEvS10_.num_agpr, 0
	.set _ZN7rocprim17ROCPRIM_400000_NS6detail17trampoline_kernelINS0_14default_configENS1_21merge_config_selectorINS0_5tupleIJssEEENS0_10empty_typeEEEZNS1_10merge_implIS3_NS0_12zip_iteratorINS5_IJN6thrust23THRUST_200600_302600_NS6detail15normal_iteratorINSC_10device_ptrIKsEEEESI_EEEEESK_NSA_INS5_IJNSE_INSF_IsEEEESM_EEEEEPS7_SP_SP_NSC_11hip_rocprim7__merge17predicate_wrapperIssNSC_4lessIsEEEEEE10hipError_tPvRmT0_T1_T2_T3_T4_T5_mmT6_P12ihipStream_tbEUlT_E_NS1_11comp_targetILNS1_3genE0ELNS1_11target_archE4294967295ELNS1_3gpuE0ELNS1_3repE0EEENS1_30default_config_static_selectorELNS0_4arch9wavefront6targetE0EEEvS10_.numbered_sgpr, 14
	.set _ZN7rocprim17ROCPRIM_400000_NS6detail17trampoline_kernelINS0_14default_configENS1_21merge_config_selectorINS0_5tupleIJssEEENS0_10empty_typeEEEZNS1_10merge_implIS3_NS0_12zip_iteratorINS5_IJN6thrust23THRUST_200600_302600_NS6detail15normal_iteratorINSC_10device_ptrIKsEEEESI_EEEEESK_NSA_INS5_IJNSE_INSF_IsEEEESM_EEEEEPS7_SP_SP_NSC_11hip_rocprim7__merge17predicate_wrapperIssNSC_4lessIsEEEEEE10hipError_tPvRmT0_T1_T2_T3_T4_T5_mmT6_P12ihipStream_tbEUlT_E_NS1_11comp_targetILNS1_3genE0ELNS1_11target_archE4294967295ELNS1_3gpuE0ELNS1_3repE0EEENS1_30default_config_static_selectorELNS0_4arch9wavefront6targetE0EEEvS10_.num_named_barrier, 0
	.set _ZN7rocprim17ROCPRIM_400000_NS6detail17trampoline_kernelINS0_14default_configENS1_21merge_config_selectorINS0_5tupleIJssEEENS0_10empty_typeEEEZNS1_10merge_implIS3_NS0_12zip_iteratorINS5_IJN6thrust23THRUST_200600_302600_NS6detail15normal_iteratorINSC_10device_ptrIKsEEEESI_EEEEESK_NSA_INS5_IJNSE_INSF_IsEEEESM_EEEEEPS7_SP_SP_NSC_11hip_rocprim7__merge17predicate_wrapperIssNSC_4lessIsEEEEEE10hipError_tPvRmT0_T1_T2_T3_T4_T5_mmT6_P12ihipStream_tbEUlT_E_NS1_11comp_targetILNS1_3genE0ELNS1_11target_archE4294967295ELNS1_3gpuE0ELNS1_3repE0EEENS1_30default_config_static_selectorELNS0_4arch9wavefront6targetE0EEEvS10_.private_seg_size, 0
	.set _ZN7rocprim17ROCPRIM_400000_NS6detail17trampoline_kernelINS0_14default_configENS1_21merge_config_selectorINS0_5tupleIJssEEENS0_10empty_typeEEEZNS1_10merge_implIS3_NS0_12zip_iteratorINS5_IJN6thrust23THRUST_200600_302600_NS6detail15normal_iteratorINSC_10device_ptrIKsEEEESI_EEEEESK_NSA_INS5_IJNSE_INSF_IsEEEESM_EEEEEPS7_SP_SP_NSC_11hip_rocprim7__merge17predicate_wrapperIssNSC_4lessIsEEEEEE10hipError_tPvRmT0_T1_T2_T3_T4_T5_mmT6_P12ihipStream_tbEUlT_E_NS1_11comp_targetILNS1_3genE0ELNS1_11target_archE4294967295ELNS1_3gpuE0ELNS1_3repE0EEENS1_30default_config_static_selectorELNS0_4arch9wavefront6targetE0EEEvS10_.uses_vcc, 1
	.set _ZN7rocprim17ROCPRIM_400000_NS6detail17trampoline_kernelINS0_14default_configENS1_21merge_config_selectorINS0_5tupleIJssEEENS0_10empty_typeEEEZNS1_10merge_implIS3_NS0_12zip_iteratorINS5_IJN6thrust23THRUST_200600_302600_NS6detail15normal_iteratorINSC_10device_ptrIKsEEEESI_EEEEESK_NSA_INS5_IJNSE_INSF_IsEEEESM_EEEEEPS7_SP_SP_NSC_11hip_rocprim7__merge17predicate_wrapperIssNSC_4lessIsEEEEEE10hipError_tPvRmT0_T1_T2_T3_T4_T5_mmT6_P12ihipStream_tbEUlT_E_NS1_11comp_targetILNS1_3genE0ELNS1_11target_archE4294967295ELNS1_3gpuE0ELNS1_3repE0EEENS1_30default_config_static_selectorELNS0_4arch9wavefront6targetE0EEEvS10_.uses_flat_scratch, 0
	.set _ZN7rocprim17ROCPRIM_400000_NS6detail17trampoline_kernelINS0_14default_configENS1_21merge_config_selectorINS0_5tupleIJssEEENS0_10empty_typeEEEZNS1_10merge_implIS3_NS0_12zip_iteratorINS5_IJN6thrust23THRUST_200600_302600_NS6detail15normal_iteratorINSC_10device_ptrIKsEEEESI_EEEEESK_NSA_INS5_IJNSE_INSF_IsEEEESM_EEEEEPS7_SP_SP_NSC_11hip_rocprim7__merge17predicate_wrapperIssNSC_4lessIsEEEEEE10hipError_tPvRmT0_T1_T2_T3_T4_T5_mmT6_P12ihipStream_tbEUlT_E_NS1_11comp_targetILNS1_3genE0ELNS1_11target_archE4294967295ELNS1_3gpuE0ELNS1_3repE0EEENS1_30default_config_static_selectorELNS0_4arch9wavefront6targetE0EEEvS10_.has_dyn_sized_stack, 0
	.set _ZN7rocprim17ROCPRIM_400000_NS6detail17trampoline_kernelINS0_14default_configENS1_21merge_config_selectorINS0_5tupleIJssEEENS0_10empty_typeEEEZNS1_10merge_implIS3_NS0_12zip_iteratorINS5_IJN6thrust23THRUST_200600_302600_NS6detail15normal_iteratorINSC_10device_ptrIKsEEEESI_EEEEESK_NSA_INS5_IJNSE_INSF_IsEEEESM_EEEEEPS7_SP_SP_NSC_11hip_rocprim7__merge17predicate_wrapperIssNSC_4lessIsEEEEEE10hipError_tPvRmT0_T1_T2_T3_T4_T5_mmT6_P12ihipStream_tbEUlT_E_NS1_11comp_targetILNS1_3genE0ELNS1_11target_archE4294967295ELNS1_3gpuE0ELNS1_3repE0EEENS1_30default_config_static_selectorELNS0_4arch9wavefront6targetE0EEEvS10_.has_recursion, 0
	.set _ZN7rocprim17ROCPRIM_400000_NS6detail17trampoline_kernelINS0_14default_configENS1_21merge_config_selectorINS0_5tupleIJssEEENS0_10empty_typeEEEZNS1_10merge_implIS3_NS0_12zip_iteratorINS5_IJN6thrust23THRUST_200600_302600_NS6detail15normal_iteratorINSC_10device_ptrIKsEEEESI_EEEEESK_NSA_INS5_IJNSE_INSF_IsEEEESM_EEEEEPS7_SP_SP_NSC_11hip_rocprim7__merge17predicate_wrapperIssNSC_4lessIsEEEEEE10hipError_tPvRmT0_T1_T2_T3_T4_T5_mmT6_P12ihipStream_tbEUlT_E_NS1_11comp_targetILNS1_3genE0ELNS1_11target_archE4294967295ELNS1_3gpuE0ELNS1_3repE0EEENS1_30default_config_static_selectorELNS0_4arch9wavefront6targetE0EEEvS10_.has_indirect_call, 0
	.section	.AMDGPU.csdata,"",@progbits
; Kernel info:
; codeLenInByte = 480
; TotalNumSgprs: 16
; NumVgprs: 15
; ScratchSize: 0
; MemoryBound: 0
; FloatMode: 240
; IeeeMode: 1
; LDSByteSize: 0 bytes/workgroup (compile time only)
; SGPRBlocks: 0
; VGPRBlocks: 0
; NumSGPRsForWavesPerEU: 16
; NumVGPRsForWavesPerEU: 15
; NamedBarCnt: 0
; Occupancy: 16
; WaveLimiterHint : 0
; COMPUTE_PGM_RSRC2:SCRATCH_EN: 0
; COMPUTE_PGM_RSRC2:USER_SGPR: 2
; COMPUTE_PGM_RSRC2:TRAP_HANDLER: 0
; COMPUTE_PGM_RSRC2:TGID_X_EN: 1
; COMPUTE_PGM_RSRC2:TGID_Y_EN: 0
; COMPUTE_PGM_RSRC2:TGID_Z_EN: 0
; COMPUTE_PGM_RSRC2:TIDIG_COMP_CNT: 0
	.section	.text._ZN7rocprim17ROCPRIM_400000_NS6detail17trampoline_kernelINS0_14default_configENS1_21merge_config_selectorINS0_5tupleIJssEEENS0_10empty_typeEEEZNS1_10merge_implIS3_NS0_12zip_iteratorINS5_IJN6thrust23THRUST_200600_302600_NS6detail15normal_iteratorINSC_10device_ptrIKsEEEESI_EEEEESK_NSA_INS5_IJNSE_INSF_IsEEEESM_EEEEEPS7_SP_SP_NSC_11hip_rocprim7__merge17predicate_wrapperIssNSC_4lessIsEEEEEE10hipError_tPvRmT0_T1_T2_T3_T4_T5_mmT6_P12ihipStream_tbEUlT_E_NS1_11comp_targetILNS1_3genE5ELNS1_11target_archE942ELNS1_3gpuE9ELNS1_3repE0EEENS1_30default_config_static_selectorELNS0_4arch9wavefront6targetE0EEEvS10_,"axG",@progbits,_ZN7rocprim17ROCPRIM_400000_NS6detail17trampoline_kernelINS0_14default_configENS1_21merge_config_selectorINS0_5tupleIJssEEENS0_10empty_typeEEEZNS1_10merge_implIS3_NS0_12zip_iteratorINS5_IJN6thrust23THRUST_200600_302600_NS6detail15normal_iteratorINSC_10device_ptrIKsEEEESI_EEEEESK_NSA_INS5_IJNSE_INSF_IsEEEESM_EEEEEPS7_SP_SP_NSC_11hip_rocprim7__merge17predicate_wrapperIssNSC_4lessIsEEEEEE10hipError_tPvRmT0_T1_T2_T3_T4_T5_mmT6_P12ihipStream_tbEUlT_E_NS1_11comp_targetILNS1_3genE5ELNS1_11target_archE942ELNS1_3gpuE9ELNS1_3repE0EEENS1_30default_config_static_selectorELNS0_4arch9wavefront6targetE0EEEvS10_,comdat
	.protected	_ZN7rocprim17ROCPRIM_400000_NS6detail17trampoline_kernelINS0_14default_configENS1_21merge_config_selectorINS0_5tupleIJssEEENS0_10empty_typeEEEZNS1_10merge_implIS3_NS0_12zip_iteratorINS5_IJN6thrust23THRUST_200600_302600_NS6detail15normal_iteratorINSC_10device_ptrIKsEEEESI_EEEEESK_NSA_INS5_IJNSE_INSF_IsEEEESM_EEEEEPS7_SP_SP_NSC_11hip_rocprim7__merge17predicate_wrapperIssNSC_4lessIsEEEEEE10hipError_tPvRmT0_T1_T2_T3_T4_T5_mmT6_P12ihipStream_tbEUlT_E_NS1_11comp_targetILNS1_3genE5ELNS1_11target_archE942ELNS1_3gpuE9ELNS1_3repE0EEENS1_30default_config_static_selectorELNS0_4arch9wavefront6targetE0EEEvS10_ ; -- Begin function _ZN7rocprim17ROCPRIM_400000_NS6detail17trampoline_kernelINS0_14default_configENS1_21merge_config_selectorINS0_5tupleIJssEEENS0_10empty_typeEEEZNS1_10merge_implIS3_NS0_12zip_iteratorINS5_IJN6thrust23THRUST_200600_302600_NS6detail15normal_iteratorINSC_10device_ptrIKsEEEESI_EEEEESK_NSA_INS5_IJNSE_INSF_IsEEEESM_EEEEEPS7_SP_SP_NSC_11hip_rocprim7__merge17predicate_wrapperIssNSC_4lessIsEEEEEE10hipError_tPvRmT0_T1_T2_T3_T4_T5_mmT6_P12ihipStream_tbEUlT_E_NS1_11comp_targetILNS1_3genE5ELNS1_11target_archE942ELNS1_3gpuE9ELNS1_3repE0EEENS1_30default_config_static_selectorELNS0_4arch9wavefront6targetE0EEEvS10_
	.globl	_ZN7rocprim17ROCPRIM_400000_NS6detail17trampoline_kernelINS0_14default_configENS1_21merge_config_selectorINS0_5tupleIJssEEENS0_10empty_typeEEEZNS1_10merge_implIS3_NS0_12zip_iteratorINS5_IJN6thrust23THRUST_200600_302600_NS6detail15normal_iteratorINSC_10device_ptrIKsEEEESI_EEEEESK_NSA_INS5_IJNSE_INSF_IsEEEESM_EEEEEPS7_SP_SP_NSC_11hip_rocprim7__merge17predicate_wrapperIssNSC_4lessIsEEEEEE10hipError_tPvRmT0_T1_T2_T3_T4_T5_mmT6_P12ihipStream_tbEUlT_E_NS1_11comp_targetILNS1_3genE5ELNS1_11target_archE942ELNS1_3gpuE9ELNS1_3repE0EEENS1_30default_config_static_selectorELNS0_4arch9wavefront6targetE0EEEvS10_
	.p2align	8
	.type	_ZN7rocprim17ROCPRIM_400000_NS6detail17trampoline_kernelINS0_14default_configENS1_21merge_config_selectorINS0_5tupleIJssEEENS0_10empty_typeEEEZNS1_10merge_implIS3_NS0_12zip_iteratorINS5_IJN6thrust23THRUST_200600_302600_NS6detail15normal_iteratorINSC_10device_ptrIKsEEEESI_EEEEESK_NSA_INS5_IJNSE_INSF_IsEEEESM_EEEEEPS7_SP_SP_NSC_11hip_rocprim7__merge17predicate_wrapperIssNSC_4lessIsEEEEEE10hipError_tPvRmT0_T1_T2_T3_T4_T5_mmT6_P12ihipStream_tbEUlT_E_NS1_11comp_targetILNS1_3genE5ELNS1_11target_archE942ELNS1_3gpuE9ELNS1_3repE0EEENS1_30default_config_static_selectorELNS0_4arch9wavefront6targetE0EEEvS10_,@function
_ZN7rocprim17ROCPRIM_400000_NS6detail17trampoline_kernelINS0_14default_configENS1_21merge_config_selectorINS0_5tupleIJssEEENS0_10empty_typeEEEZNS1_10merge_implIS3_NS0_12zip_iteratorINS5_IJN6thrust23THRUST_200600_302600_NS6detail15normal_iteratorINSC_10device_ptrIKsEEEESI_EEEEESK_NSA_INS5_IJNSE_INSF_IsEEEESM_EEEEEPS7_SP_SP_NSC_11hip_rocprim7__merge17predicate_wrapperIssNSC_4lessIsEEEEEE10hipError_tPvRmT0_T1_T2_T3_T4_T5_mmT6_P12ihipStream_tbEUlT_E_NS1_11comp_targetILNS1_3genE5ELNS1_11target_archE942ELNS1_3gpuE9ELNS1_3repE0EEENS1_30default_config_static_selectorELNS0_4arch9wavefront6targetE0EEEvS10_: ; @_ZN7rocprim17ROCPRIM_400000_NS6detail17trampoline_kernelINS0_14default_configENS1_21merge_config_selectorINS0_5tupleIJssEEENS0_10empty_typeEEEZNS1_10merge_implIS3_NS0_12zip_iteratorINS5_IJN6thrust23THRUST_200600_302600_NS6detail15normal_iteratorINSC_10device_ptrIKsEEEESI_EEEEESK_NSA_INS5_IJNSE_INSF_IsEEEESM_EEEEEPS7_SP_SP_NSC_11hip_rocprim7__merge17predicate_wrapperIssNSC_4lessIsEEEEEE10hipError_tPvRmT0_T1_T2_T3_T4_T5_mmT6_P12ihipStream_tbEUlT_E_NS1_11comp_targetILNS1_3genE5ELNS1_11target_archE942ELNS1_3gpuE9ELNS1_3repE0EEENS1_30default_config_static_selectorELNS0_4arch9wavefront6targetE0EEEvS10_
; %bb.0:
	.section	.rodata,"a",@progbits
	.p2align	6, 0x0
	.amdhsa_kernel _ZN7rocprim17ROCPRIM_400000_NS6detail17trampoline_kernelINS0_14default_configENS1_21merge_config_selectorINS0_5tupleIJssEEENS0_10empty_typeEEEZNS1_10merge_implIS3_NS0_12zip_iteratorINS5_IJN6thrust23THRUST_200600_302600_NS6detail15normal_iteratorINSC_10device_ptrIKsEEEESI_EEEEESK_NSA_INS5_IJNSE_INSF_IsEEEESM_EEEEEPS7_SP_SP_NSC_11hip_rocprim7__merge17predicate_wrapperIssNSC_4lessIsEEEEEE10hipError_tPvRmT0_T1_T2_T3_T4_T5_mmT6_P12ihipStream_tbEUlT_E_NS1_11comp_targetILNS1_3genE5ELNS1_11target_archE942ELNS1_3gpuE9ELNS1_3repE0EEENS1_30default_config_static_selectorELNS0_4arch9wavefront6targetE0EEEvS10_
		.amdhsa_group_segment_fixed_size 0
		.amdhsa_private_segment_fixed_size 0
		.amdhsa_kernarg_size 64
		.amdhsa_user_sgpr_count 2
		.amdhsa_user_sgpr_dispatch_ptr 0
		.amdhsa_user_sgpr_queue_ptr 0
		.amdhsa_user_sgpr_kernarg_segment_ptr 1
		.amdhsa_user_sgpr_dispatch_id 0
		.amdhsa_user_sgpr_kernarg_preload_length 0
		.amdhsa_user_sgpr_kernarg_preload_offset 0
		.amdhsa_user_sgpr_private_segment_size 0
		.amdhsa_wavefront_size32 1
		.amdhsa_uses_dynamic_stack 0
		.amdhsa_enable_private_segment 0
		.amdhsa_system_sgpr_workgroup_id_x 1
		.amdhsa_system_sgpr_workgroup_id_y 0
		.amdhsa_system_sgpr_workgroup_id_z 0
		.amdhsa_system_sgpr_workgroup_info 0
		.amdhsa_system_vgpr_workitem_id 0
		.amdhsa_next_free_vgpr 1
		.amdhsa_next_free_sgpr 1
		.amdhsa_named_barrier_count 0
		.amdhsa_reserve_vcc 0
		.amdhsa_float_round_mode_32 0
		.amdhsa_float_round_mode_16_64 0
		.amdhsa_float_denorm_mode_32 3
		.amdhsa_float_denorm_mode_16_64 3
		.amdhsa_fp16_overflow 0
		.amdhsa_memory_ordered 1
		.amdhsa_forward_progress 1
		.amdhsa_inst_pref_size 0
		.amdhsa_round_robin_scheduling 0
		.amdhsa_exception_fp_ieee_invalid_op 0
		.amdhsa_exception_fp_denorm_src 0
		.amdhsa_exception_fp_ieee_div_zero 0
		.amdhsa_exception_fp_ieee_overflow 0
		.amdhsa_exception_fp_ieee_underflow 0
		.amdhsa_exception_fp_ieee_inexact 0
		.amdhsa_exception_int_div_zero 0
	.end_amdhsa_kernel
	.section	.text._ZN7rocprim17ROCPRIM_400000_NS6detail17trampoline_kernelINS0_14default_configENS1_21merge_config_selectorINS0_5tupleIJssEEENS0_10empty_typeEEEZNS1_10merge_implIS3_NS0_12zip_iteratorINS5_IJN6thrust23THRUST_200600_302600_NS6detail15normal_iteratorINSC_10device_ptrIKsEEEESI_EEEEESK_NSA_INS5_IJNSE_INSF_IsEEEESM_EEEEEPS7_SP_SP_NSC_11hip_rocprim7__merge17predicate_wrapperIssNSC_4lessIsEEEEEE10hipError_tPvRmT0_T1_T2_T3_T4_T5_mmT6_P12ihipStream_tbEUlT_E_NS1_11comp_targetILNS1_3genE5ELNS1_11target_archE942ELNS1_3gpuE9ELNS1_3repE0EEENS1_30default_config_static_selectorELNS0_4arch9wavefront6targetE0EEEvS10_,"axG",@progbits,_ZN7rocprim17ROCPRIM_400000_NS6detail17trampoline_kernelINS0_14default_configENS1_21merge_config_selectorINS0_5tupleIJssEEENS0_10empty_typeEEEZNS1_10merge_implIS3_NS0_12zip_iteratorINS5_IJN6thrust23THRUST_200600_302600_NS6detail15normal_iteratorINSC_10device_ptrIKsEEEESI_EEEEESK_NSA_INS5_IJNSE_INSF_IsEEEESM_EEEEEPS7_SP_SP_NSC_11hip_rocprim7__merge17predicate_wrapperIssNSC_4lessIsEEEEEE10hipError_tPvRmT0_T1_T2_T3_T4_T5_mmT6_P12ihipStream_tbEUlT_E_NS1_11comp_targetILNS1_3genE5ELNS1_11target_archE942ELNS1_3gpuE9ELNS1_3repE0EEENS1_30default_config_static_selectorELNS0_4arch9wavefront6targetE0EEEvS10_,comdat
.Lfunc_end281:
	.size	_ZN7rocprim17ROCPRIM_400000_NS6detail17trampoline_kernelINS0_14default_configENS1_21merge_config_selectorINS0_5tupleIJssEEENS0_10empty_typeEEEZNS1_10merge_implIS3_NS0_12zip_iteratorINS5_IJN6thrust23THRUST_200600_302600_NS6detail15normal_iteratorINSC_10device_ptrIKsEEEESI_EEEEESK_NSA_INS5_IJNSE_INSF_IsEEEESM_EEEEEPS7_SP_SP_NSC_11hip_rocprim7__merge17predicate_wrapperIssNSC_4lessIsEEEEEE10hipError_tPvRmT0_T1_T2_T3_T4_T5_mmT6_P12ihipStream_tbEUlT_E_NS1_11comp_targetILNS1_3genE5ELNS1_11target_archE942ELNS1_3gpuE9ELNS1_3repE0EEENS1_30default_config_static_selectorELNS0_4arch9wavefront6targetE0EEEvS10_, .Lfunc_end281-_ZN7rocprim17ROCPRIM_400000_NS6detail17trampoline_kernelINS0_14default_configENS1_21merge_config_selectorINS0_5tupleIJssEEENS0_10empty_typeEEEZNS1_10merge_implIS3_NS0_12zip_iteratorINS5_IJN6thrust23THRUST_200600_302600_NS6detail15normal_iteratorINSC_10device_ptrIKsEEEESI_EEEEESK_NSA_INS5_IJNSE_INSF_IsEEEESM_EEEEEPS7_SP_SP_NSC_11hip_rocprim7__merge17predicate_wrapperIssNSC_4lessIsEEEEEE10hipError_tPvRmT0_T1_T2_T3_T4_T5_mmT6_P12ihipStream_tbEUlT_E_NS1_11comp_targetILNS1_3genE5ELNS1_11target_archE942ELNS1_3gpuE9ELNS1_3repE0EEENS1_30default_config_static_selectorELNS0_4arch9wavefront6targetE0EEEvS10_
                                        ; -- End function
	.set _ZN7rocprim17ROCPRIM_400000_NS6detail17trampoline_kernelINS0_14default_configENS1_21merge_config_selectorINS0_5tupleIJssEEENS0_10empty_typeEEEZNS1_10merge_implIS3_NS0_12zip_iteratorINS5_IJN6thrust23THRUST_200600_302600_NS6detail15normal_iteratorINSC_10device_ptrIKsEEEESI_EEEEESK_NSA_INS5_IJNSE_INSF_IsEEEESM_EEEEEPS7_SP_SP_NSC_11hip_rocprim7__merge17predicate_wrapperIssNSC_4lessIsEEEEEE10hipError_tPvRmT0_T1_T2_T3_T4_T5_mmT6_P12ihipStream_tbEUlT_E_NS1_11comp_targetILNS1_3genE5ELNS1_11target_archE942ELNS1_3gpuE9ELNS1_3repE0EEENS1_30default_config_static_selectorELNS0_4arch9wavefront6targetE0EEEvS10_.num_vgpr, 0
	.set _ZN7rocprim17ROCPRIM_400000_NS6detail17trampoline_kernelINS0_14default_configENS1_21merge_config_selectorINS0_5tupleIJssEEENS0_10empty_typeEEEZNS1_10merge_implIS3_NS0_12zip_iteratorINS5_IJN6thrust23THRUST_200600_302600_NS6detail15normal_iteratorINSC_10device_ptrIKsEEEESI_EEEEESK_NSA_INS5_IJNSE_INSF_IsEEEESM_EEEEEPS7_SP_SP_NSC_11hip_rocprim7__merge17predicate_wrapperIssNSC_4lessIsEEEEEE10hipError_tPvRmT0_T1_T2_T3_T4_T5_mmT6_P12ihipStream_tbEUlT_E_NS1_11comp_targetILNS1_3genE5ELNS1_11target_archE942ELNS1_3gpuE9ELNS1_3repE0EEENS1_30default_config_static_selectorELNS0_4arch9wavefront6targetE0EEEvS10_.num_agpr, 0
	.set _ZN7rocprim17ROCPRIM_400000_NS6detail17trampoline_kernelINS0_14default_configENS1_21merge_config_selectorINS0_5tupleIJssEEENS0_10empty_typeEEEZNS1_10merge_implIS3_NS0_12zip_iteratorINS5_IJN6thrust23THRUST_200600_302600_NS6detail15normal_iteratorINSC_10device_ptrIKsEEEESI_EEEEESK_NSA_INS5_IJNSE_INSF_IsEEEESM_EEEEEPS7_SP_SP_NSC_11hip_rocprim7__merge17predicate_wrapperIssNSC_4lessIsEEEEEE10hipError_tPvRmT0_T1_T2_T3_T4_T5_mmT6_P12ihipStream_tbEUlT_E_NS1_11comp_targetILNS1_3genE5ELNS1_11target_archE942ELNS1_3gpuE9ELNS1_3repE0EEENS1_30default_config_static_selectorELNS0_4arch9wavefront6targetE0EEEvS10_.numbered_sgpr, 0
	.set _ZN7rocprim17ROCPRIM_400000_NS6detail17trampoline_kernelINS0_14default_configENS1_21merge_config_selectorINS0_5tupleIJssEEENS0_10empty_typeEEEZNS1_10merge_implIS3_NS0_12zip_iteratorINS5_IJN6thrust23THRUST_200600_302600_NS6detail15normal_iteratorINSC_10device_ptrIKsEEEESI_EEEEESK_NSA_INS5_IJNSE_INSF_IsEEEESM_EEEEEPS7_SP_SP_NSC_11hip_rocprim7__merge17predicate_wrapperIssNSC_4lessIsEEEEEE10hipError_tPvRmT0_T1_T2_T3_T4_T5_mmT6_P12ihipStream_tbEUlT_E_NS1_11comp_targetILNS1_3genE5ELNS1_11target_archE942ELNS1_3gpuE9ELNS1_3repE0EEENS1_30default_config_static_selectorELNS0_4arch9wavefront6targetE0EEEvS10_.num_named_barrier, 0
	.set _ZN7rocprim17ROCPRIM_400000_NS6detail17trampoline_kernelINS0_14default_configENS1_21merge_config_selectorINS0_5tupleIJssEEENS0_10empty_typeEEEZNS1_10merge_implIS3_NS0_12zip_iteratorINS5_IJN6thrust23THRUST_200600_302600_NS6detail15normal_iteratorINSC_10device_ptrIKsEEEESI_EEEEESK_NSA_INS5_IJNSE_INSF_IsEEEESM_EEEEEPS7_SP_SP_NSC_11hip_rocprim7__merge17predicate_wrapperIssNSC_4lessIsEEEEEE10hipError_tPvRmT0_T1_T2_T3_T4_T5_mmT6_P12ihipStream_tbEUlT_E_NS1_11comp_targetILNS1_3genE5ELNS1_11target_archE942ELNS1_3gpuE9ELNS1_3repE0EEENS1_30default_config_static_selectorELNS0_4arch9wavefront6targetE0EEEvS10_.private_seg_size, 0
	.set _ZN7rocprim17ROCPRIM_400000_NS6detail17trampoline_kernelINS0_14default_configENS1_21merge_config_selectorINS0_5tupleIJssEEENS0_10empty_typeEEEZNS1_10merge_implIS3_NS0_12zip_iteratorINS5_IJN6thrust23THRUST_200600_302600_NS6detail15normal_iteratorINSC_10device_ptrIKsEEEESI_EEEEESK_NSA_INS5_IJNSE_INSF_IsEEEESM_EEEEEPS7_SP_SP_NSC_11hip_rocprim7__merge17predicate_wrapperIssNSC_4lessIsEEEEEE10hipError_tPvRmT0_T1_T2_T3_T4_T5_mmT6_P12ihipStream_tbEUlT_E_NS1_11comp_targetILNS1_3genE5ELNS1_11target_archE942ELNS1_3gpuE9ELNS1_3repE0EEENS1_30default_config_static_selectorELNS0_4arch9wavefront6targetE0EEEvS10_.uses_vcc, 0
	.set _ZN7rocprim17ROCPRIM_400000_NS6detail17trampoline_kernelINS0_14default_configENS1_21merge_config_selectorINS0_5tupleIJssEEENS0_10empty_typeEEEZNS1_10merge_implIS3_NS0_12zip_iteratorINS5_IJN6thrust23THRUST_200600_302600_NS6detail15normal_iteratorINSC_10device_ptrIKsEEEESI_EEEEESK_NSA_INS5_IJNSE_INSF_IsEEEESM_EEEEEPS7_SP_SP_NSC_11hip_rocprim7__merge17predicate_wrapperIssNSC_4lessIsEEEEEE10hipError_tPvRmT0_T1_T2_T3_T4_T5_mmT6_P12ihipStream_tbEUlT_E_NS1_11comp_targetILNS1_3genE5ELNS1_11target_archE942ELNS1_3gpuE9ELNS1_3repE0EEENS1_30default_config_static_selectorELNS0_4arch9wavefront6targetE0EEEvS10_.uses_flat_scratch, 0
	.set _ZN7rocprim17ROCPRIM_400000_NS6detail17trampoline_kernelINS0_14default_configENS1_21merge_config_selectorINS0_5tupleIJssEEENS0_10empty_typeEEEZNS1_10merge_implIS3_NS0_12zip_iteratorINS5_IJN6thrust23THRUST_200600_302600_NS6detail15normal_iteratorINSC_10device_ptrIKsEEEESI_EEEEESK_NSA_INS5_IJNSE_INSF_IsEEEESM_EEEEEPS7_SP_SP_NSC_11hip_rocprim7__merge17predicate_wrapperIssNSC_4lessIsEEEEEE10hipError_tPvRmT0_T1_T2_T3_T4_T5_mmT6_P12ihipStream_tbEUlT_E_NS1_11comp_targetILNS1_3genE5ELNS1_11target_archE942ELNS1_3gpuE9ELNS1_3repE0EEENS1_30default_config_static_selectorELNS0_4arch9wavefront6targetE0EEEvS10_.has_dyn_sized_stack, 0
	.set _ZN7rocprim17ROCPRIM_400000_NS6detail17trampoline_kernelINS0_14default_configENS1_21merge_config_selectorINS0_5tupleIJssEEENS0_10empty_typeEEEZNS1_10merge_implIS3_NS0_12zip_iteratorINS5_IJN6thrust23THRUST_200600_302600_NS6detail15normal_iteratorINSC_10device_ptrIKsEEEESI_EEEEESK_NSA_INS5_IJNSE_INSF_IsEEEESM_EEEEEPS7_SP_SP_NSC_11hip_rocprim7__merge17predicate_wrapperIssNSC_4lessIsEEEEEE10hipError_tPvRmT0_T1_T2_T3_T4_T5_mmT6_P12ihipStream_tbEUlT_E_NS1_11comp_targetILNS1_3genE5ELNS1_11target_archE942ELNS1_3gpuE9ELNS1_3repE0EEENS1_30default_config_static_selectorELNS0_4arch9wavefront6targetE0EEEvS10_.has_recursion, 0
	.set _ZN7rocprim17ROCPRIM_400000_NS6detail17trampoline_kernelINS0_14default_configENS1_21merge_config_selectorINS0_5tupleIJssEEENS0_10empty_typeEEEZNS1_10merge_implIS3_NS0_12zip_iteratorINS5_IJN6thrust23THRUST_200600_302600_NS6detail15normal_iteratorINSC_10device_ptrIKsEEEESI_EEEEESK_NSA_INS5_IJNSE_INSF_IsEEEESM_EEEEEPS7_SP_SP_NSC_11hip_rocprim7__merge17predicate_wrapperIssNSC_4lessIsEEEEEE10hipError_tPvRmT0_T1_T2_T3_T4_T5_mmT6_P12ihipStream_tbEUlT_E_NS1_11comp_targetILNS1_3genE5ELNS1_11target_archE942ELNS1_3gpuE9ELNS1_3repE0EEENS1_30default_config_static_selectorELNS0_4arch9wavefront6targetE0EEEvS10_.has_indirect_call, 0
	.section	.AMDGPU.csdata,"",@progbits
; Kernel info:
; codeLenInByte = 0
; TotalNumSgprs: 0
; NumVgprs: 0
; ScratchSize: 0
; MemoryBound: 0
; FloatMode: 240
; IeeeMode: 1
; LDSByteSize: 0 bytes/workgroup (compile time only)
; SGPRBlocks: 0
; VGPRBlocks: 0
; NumSGPRsForWavesPerEU: 1
; NumVGPRsForWavesPerEU: 1
; NamedBarCnt: 0
; Occupancy: 16
; WaveLimiterHint : 0
; COMPUTE_PGM_RSRC2:SCRATCH_EN: 0
; COMPUTE_PGM_RSRC2:USER_SGPR: 2
; COMPUTE_PGM_RSRC2:TRAP_HANDLER: 0
; COMPUTE_PGM_RSRC2:TGID_X_EN: 1
; COMPUTE_PGM_RSRC2:TGID_Y_EN: 0
; COMPUTE_PGM_RSRC2:TGID_Z_EN: 0
; COMPUTE_PGM_RSRC2:TIDIG_COMP_CNT: 0
	.section	.text._ZN7rocprim17ROCPRIM_400000_NS6detail17trampoline_kernelINS0_14default_configENS1_21merge_config_selectorINS0_5tupleIJssEEENS0_10empty_typeEEEZNS1_10merge_implIS3_NS0_12zip_iteratorINS5_IJN6thrust23THRUST_200600_302600_NS6detail15normal_iteratorINSC_10device_ptrIKsEEEESI_EEEEESK_NSA_INS5_IJNSE_INSF_IsEEEESM_EEEEEPS7_SP_SP_NSC_11hip_rocprim7__merge17predicate_wrapperIssNSC_4lessIsEEEEEE10hipError_tPvRmT0_T1_T2_T3_T4_T5_mmT6_P12ihipStream_tbEUlT_E_NS1_11comp_targetILNS1_3genE4ELNS1_11target_archE910ELNS1_3gpuE8ELNS1_3repE0EEENS1_30default_config_static_selectorELNS0_4arch9wavefront6targetE0EEEvS10_,"axG",@progbits,_ZN7rocprim17ROCPRIM_400000_NS6detail17trampoline_kernelINS0_14default_configENS1_21merge_config_selectorINS0_5tupleIJssEEENS0_10empty_typeEEEZNS1_10merge_implIS3_NS0_12zip_iteratorINS5_IJN6thrust23THRUST_200600_302600_NS6detail15normal_iteratorINSC_10device_ptrIKsEEEESI_EEEEESK_NSA_INS5_IJNSE_INSF_IsEEEESM_EEEEEPS7_SP_SP_NSC_11hip_rocprim7__merge17predicate_wrapperIssNSC_4lessIsEEEEEE10hipError_tPvRmT0_T1_T2_T3_T4_T5_mmT6_P12ihipStream_tbEUlT_E_NS1_11comp_targetILNS1_3genE4ELNS1_11target_archE910ELNS1_3gpuE8ELNS1_3repE0EEENS1_30default_config_static_selectorELNS0_4arch9wavefront6targetE0EEEvS10_,comdat
	.protected	_ZN7rocprim17ROCPRIM_400000_NS6detail17trampoline_kernelINS0_14default_configENS1_21merge_config_selectorINS0_5tupleIJssEEENS0_10empty_typeEEEZNS1_10merge_implIS3_NS0_12zip_iteratorINS5_IJN6thrust23THRUST_200600_302600_NS6detail15normal_iteratorINSC_10device_ptrIKsEEEESI_EEEEESK_NSA_INS5_IJNSE_INSF_IsEEEESM_EEEEEPS7_SP_SP_NSC_11hip_rocprim7__merge17predicate_wrapperIssNSC_4lessIsEEEEEE10hipError_tPvRmT0_T1_T2_T3_T4_T5_mmT6_P12ihipStream_tbEUlT_E_NS1_11comp_targetILNS1_3genE4ELNS1_11target_archE910ELNS1_3gpuE8ELNS1_3repE0EEENS1_30default_config_static_selectorELNS0_4arch9wavefront6targetE0EEEvS10_ ; -- Begin function _ZN7rocprim17ROCPRIM_400000_NS6detail17trampoline_kernelINS0_14default_configENS1_21merge_config_selectorINS0_5tupleIJssEEENS0_10empty_typeEEEZNS1_10merge_implIS3_NS0_12zip_iteratorINS5_IJN6thrust23THRUST_200600_302600_NS6detail15normal_iteratorINSC_10device_ptrIKsEEEESI_EEEEESK_NSA_INS5_IJNSE_INSF_IsEEEESM_EEEEEPS7_SP_SP_NSC_11hip_rocprim7__merge17predicate_wrapperIssNSC_4lessIsEEEEEE10hipError_tPvRmT0_T1_T2_T3_T4_T5_mmT6_P12ihipStream_tbEUlT_E_NS1_11comp_targetILNS1_3genE4ELNS1_11target_archE910ELNS1_3gpuE8ELNS1_3repE0EEENS1_30default_config_static_selectorELNS0_4arch9wavefront6targetE0EEEvS10_
	.globl	_ZN7rocprim17ROCPRIM_400000_NS6detail17trampoline_kernelINS0_14default_configENS1_21merge_config_selectorINS0_5tupleIJssEEENS0_10empty_typeEEEZNS1_10merge_implIS3_NS0_12zip_iteratorINS5_IJN6thrust23THRUST_200600_302600_NS6detail15normal_iteratorINSC_10device_ptrIKsEEEESI_EEEEESK_NSA_INS5_IJNSE_INSF_IsEEEESM_EEEEEPS7_SP_SP_NSC_11hip_rocprim7__merge17predicate_wrapperIssNSC_4lessIsEEEEEE10hipError_tPvRmT0_T1_T2_T3_T4_T5_mmT6_P12ihipStream_tbEUlT_E_NS1_11comp_targetILNS1_3genE4ELNS1_11target_archE910ELNS1_3gpuE8ELNS1_3repE0EEENS1_30default_config_static_selectorELNS0_4arch9wavefront6targetE0EEEvS10_
	.p2align	8
	.type	_ZN7rocprim17ROCPRIM_400000_NS6detail17trampoline_kernelINS0_14default_configENS1_21merge_config_selectorINS0_5tupleIJssEEENS0_10empty_typeEEEZNS1_10merge_implIS3_NS0_12zip_iteratorINS5_IJN6thrust23THRUST_200600_302600_NS6detail15normal_iteratorINSC_10device_ptrIKsEEEESI_EEEEESK_NSA_INS5_IJNSE_INSF_IsEEEESM_EEEEEPS7_SP_SP_NSC_11hip_rocprim7__merge17predicate_wrapperIssNSC_4lessIsEEEEEE10hipError_tPvRmT0_T1_T2_T3_T4_T5_mmT6_P12ihipStream_tbEUlT_E_NS1_11comp_targetILNS1_3genE4ELNS1_11target_archE910ELNS1_3gpuE8ELNS1_3repE0EEENS1_30default_config_static_selectorELNS0_4arch9wavefront6targetE0EEEvS10_,@function
_ZN7rocprim17ROCPRIM_400000_NS6detail17trampoline_kernelINS0_14default_configENS1_21merge_config_selectorINS0_5tupleIJssEEENS0_10empty_typeEEEZNS1_10merge_implIS3_NS0_12zip_iteratorINS5_IJN6thrust23THRUST_200600_302600_NS6detail15normal_iteratorINSC_10device_ptrIKsEEEESI_EEEEESK_NSA_INS5_IJNSE_INSF_IsEEEESM_EEEEEPS7_SP_SP_NSC_11hip_rocprim7__merge17predicate_wrapperIssNSC_4lessIsEEEEEE10hipError_tPvRmT0_T1_T2_T3_T4_T5_mmT6_P12ihipStream_tbEUlT_E_NS1_11comp_targetILNS1_3genE4ELNS1_11target_archE910ELNS1_3gpuE8ELNS1_3repE0EEENS1_30default_config_static_selectorELNS0_4arch9wavefront6targetE0EEEvS10_: ; @_ZN7rocprim17ROCPRIM_400000_NS6detail17trampoline_kernelINS0_14default_configENS1_21merge_config_selectorINS0_5tupleIJssEEENS0_10empty_typeEEEZNS1_10merge_implIS3_NS0_12zip_iteratorINS5_IJN6thrust23THRUST_200600_302600_NS6detail15normal_iteratorINSC_10device_ptrIKsEEEESI_EEEEESK_NSA_INS5_IJNSE_INSF_IsEEEESM_EEEEEPS7_SP_SP_NSC_11hip_rocprim7__merge17predicate_wrapperIssNSC_4lessIsEEEEEE10hipError_tPvRmT0_T1_T2_T3_T4_T5_mmT6_P12ihipStream_tbEUlT_E_NS1_11comp_targetILNS1_3genE4ELNS1_11target_archE910ELNS1_3gpuE8ELNS1_3repE0EEENS1_30default_config_static_selectorELNS0_4arch9wavefront6targetE0EEEvS10_
; %bb.0:
	.section	.rodata,"a",@progbits
	.p2align	6, 0x0
	.amdhsa_kernel _ZN7rocprim17ROCPRIM_400000_NS6detail17trampoline_kernelINS0_14default_configENS1_21merge_config_selectorINS0_5tupleIJssEEENS0_10empty_typeEEEZNS1_10merge_implIS3_NS0_12zip_iteratorINS5_IJN6thrust23THRUST_200600_302600_NS6detail15normal_iteratorINSC_10device_ptrIKsEEEESI_EEEEESK_NSA_INS5_IJNSE_INSF_IsEEEESM_EEEEEPS7_SP_SP_NSC_11hip_rocprim7__merge17predicate_wrapperIssNSC_4lessIsEEEEEE10hipError_tPvRmT0_T1_T2_T3_T4_T5_mmT6_P12ihipStream_tbEUlT_E_NS1_11comp_targetILNS1_3genE4ELNS1_11target_archE910ELNS1_3gpuE8ELNS1_3repE0EEENS1_30default_config_static_selectorELNS0_4arch9wavefront6targetE0EEEvS10_
		.amdhsa_group_segment_fixed_size 0
		.amdhsa_private_segment_fixed_size 0
		.amdhsa_kernarg_size 64
		.amdhsa_user_sgpr_count 2
		.amdhsa_user_sgpr_dispatch_ptr 0
		.amdhsa_user_sgpr_queue_ptr 0
		.amdhsa_user_sgpr_kernarg_segment_ptr 1
		.amdhsa_user_sgpr_dispatch_id 0
		.amdhsa_user_sgpr_kernarg_preload_length 0
		.amdhsa_user_sgpr_kernarg_preload_offset 0
		.amdhsa_user_sgpr_private_segment_size 0
		.amdhsa_wavefront_size32 1
		.amdhsa_uses_dynamic_stack 0
		.amdhsa_enable_private_segment 0
		.amdhsa_system_sgpr_workgroup_id_x 1
		.amdhsa_system_sgpr_workgroup_id_y 0
		.amdhsa_system_sgpr_workgroup_id_z 0
		.amdhsa_system_sgpr_workgroup_info 0
		.amdhsa_system_vgpr_workitem_id 0
		.amdhsa_next_free_vgpr 1
		.amdhsa_next_free_sgpr 1
		.amdhsa_named_barrier_count 0
		.amdhsa_reserve_vcc 0
		.amdhsa_float_round_mode_32 0
		.amdhsa_float_round_mode_16_64 0
		.amdhsa_float_denorm_mode_32 3
		.amdhsa_float_denorm_mode_16_64 3
		.amdhsa_fp16_overflow 0
		.amdhsa_memory_ordered 1
		.amdhsa_forward_progress 1
		.amdhsa_inst_pref_size 0
		.amdhsa_round_robin_scheduling 0
		.amdhsa_exception_fp_ieee_invalid_op 0
		.amdhsa_exception_fp_denorm_src 0
		.amdhsa_exception_fp_ieee_div_zero 0
		.amdhsa_exception_fp_ieee_overflow 0
		.amdhsa_exception_fp_ieee_underflow 0
		.amdhsa_exception_fp_ieee_inexact 0
		.amdhsa_exception_int_div_zero 0
	.end_amdhsa_kernel
	.section	.text._ZN7rocprim17ROCPRIM_400000_NS6detail17trampoline_kernelINS0_14default_configENS1_21merge_config_selectorINS0_5tupleIJssEEENS0_10empty_typeEEEZNS1_10merge_implIS3_NS0_12zip_iteratorINS5_IJN6thrust23THRUST_200600_302600_NS6detail15normal_iteratorINSC_10device_ptrIKsEEEESI_EEEEESK_NSA_INS5_IJNSE_INSF_IsEEEESM_EEEEEPS7_SP_SP_NSC_11hip_rocprim7__merge17predicate_wrapperIssNSC_4lessIsEEEEEE10hipError_tPvRmT0_T1_T2_T3_T4_T5_mmT6_P12ihipStream_tbEUlT_E_NS1_11comp_targetILNS1_3genE4ELNS1_11target_archE910ELNS1_3gpuE8ELNS1_3repE0EEENS1_30default_config_static_selectorELNS0_4arch9wavefront6targetE0EEEvS10_,"axG",@progbits,_ZN7rocprim17ROCPRIM_400000_NS6detail17trampoline_kernelINS0_14default_configENS1_21merge_config_selectorINS0_5tupleIJssEEENS0_10empty_typeEEEZNS1_10merge_implIS3_NS0_12zip_iteratorINS5_IJN6thrust23THRUST_200600_302600_NS6detail15normal_iteratorINSC_10device_ptrIKsEEEESI_EEEEESK_NSA_INS5_IJNSE_INSF_IsEEEESM_EEEEEPS7_SP_SP_NSC_11hip_rocprim7__merge17predicate_wrapperIssNSC_4lessIsEEEEEE10hipError_tPvRmT0_T1_T2_T3_T4_T5_mmT6_P12ihipStream_tbEUlT_E_NS1_11comp_targetILNS1_3genE4ELNS1_11target_archE910ELNS1_3gpuE8ELNS1_3repE0EEENS1_30default_config_static_selectorELNS0_4arch9wavefront6targetE0EEEvS10_,comdat
.Lfunc_end282:
	.size	_ZN7rocprim17ROCPRIM_400000_NS6detail17trampoline_kernelINS0_14default_configENS1_21merge_config_selectorINS0_5tupleIJssEEENS0_10empty_typeEEEZNS1_10merge_implIS3_NS0_12zip_iteratorINS5_IJN6thrust23THRUST_200600_302600_NS6detail15normal_iteratorINSC_10device_ptrIKsEEEESI_EEEEESK_NSA_INS5_IJNSE_INSF_IsEEEESM_EEEEEPS7_SP_SP_NSC_11hip_rocprim7__merge17predicate_wrapperIssNSC_4lessIsEEEEEE10hipError_tPvRmT0_T1_T2_T3_T4_T5_mmT6_P12ihipStream_tbEUlT_E_NS1_11comp_targetILNS1_3genE4ELNS1_11target_archE910ELNS1_3gpuE8ELNS1_3repE0EEENS1_30default_config_static_selectorELNS0_4arch9wavefront6targetE0EEEvS10_, .Lfunc_end282-_ZN7rocprim17ROCPRIM_400000_NS6detail17trampoline_kernelINS0_14default_configENS1_21merge_config_selectorINS0_5tupleIJssEEENS0_10empty_typeEEEZNS1_10merge_implIS3_NS0_12zip_iteratorINS5_IJN6thrust23THRUST_200600_302600_NS6detail15normal_iteratorINSC_10device_ptrIKsEEEESI_EEEEESK_NSA_INS5_IJNSE_INSF_IsEEEESM_EEEEEPS7_SP_SP_NSC_11hip_rocprim7__merge17predicate_wrapperIssNSC_4lessIsEEEEEE10hipError_tPvRmT0_T1_T2_T3_T4_T5_mmT6_P12ihipStream_tbEUlT_E_NS1_11comp_targetILNS1_3genE4ELNS1_11target_archE910ELNS1_3gpuE8ELNS1_3repE0EEENS1_30default_config_static_selectorELNS0_4arch9wavefront6targetE0EEEvS10_
                                        ; -- End function
	.set _ZN7rocprim17ROCPRIM_400000_NS6detail17trampoline_kernelINS0_14default_configENS1_21merge_config_selectorINS0_5tupleIJssEEENS0_10empty_typeEEEZNS1_10merge_implIS3_NS0_12zip_iteratorINS5_IJN6thrust23THRUST_200600_302600_NS6detail15normal_iteratorINSC_10device_ptrIKsEEEESI_EEEEESK_NSA_INS5_IJNSE_INSF_IsEEEESM_EEEEEPS7_SP_SP_NSC_11hip_rocprim7__merge17predicate_wrapperIssNSC_4lessIsEEEEEE10hipError_tPvRmT0_T1_T2_T3_T4_T5_mmT6_P12ihipStream_tbEUlT_E_NS1_11comp_targetILNS1_3genE4ELNS1_11target_archE910ELNS1_3gpuE8ELNS1_3repE0EEENS1_30default_config_static_selectorELNS0_4arch9wavefront6targetE0EEEvS10_.num_vgpr, 0
	.set _ZN7rocprim17ROCPRIM_400000_NS6detail17trampoline_kernelINS0_14default_configENS1_21merge_config_selectorINS0_5tupleIJssEEENS0_10empty_typeEEEZNS1_10merge_implIS3_NS0_12zip_iteratorINS5_IJN6thrust23THRUST_200600_302600_NS6detail15normal_iteratorINSC_10device_ptrIKsEEEESI_EEEEESK_NSA_INS5_IJNSE_INSF_IsEEEESM_EEEEEPS7_SP_SP_NSC_11hip_rocprim7__merge17predicate_wrapperIssNSC_4lessIsEEEEEE10hipError_tPvRmT0_T1_T2_T3_T4_T5_mmT6_P12ihipStream_tbEUlT_E_NS1_11comp_targetILNS1_3genE4ELNS1_11target_archE910ELNS1_3gpuE8ELNS1_3repE0EEENS1_30default_config_static_selectorELNS0_4arch9wavefront6targetE0EEEvS10_.num_agpr, 0
	.set _ZN7rocprim17ROCPRIM_400000_NS6detail17trampoline_kernelINS0_14default_configENS1_21merge_config_selectorINS0_5tupleIJssEEENS0_10empty_typeEEEZNS1_10merge_implIS3_NS0_12zip_iteratorINS5_IJN6thrust23THRUST_200600_302600_NS6detail15normal_iteratorINSC_10device_ptrIKsEEEESI_EEEEESK_NSA_INS5_IJNSE_INSF_IsEEEESM_EEEEEPS7_SP_SP_NSC_11hip_rocprim7__merge17predicate_wrapperIssNSC_4lessIsEEEEEE10hipError_tPvRmT0_T1_T2_T3_T4_T5_mmT6_P12ihipStream_tbEUlT_E_NS1_11comp_targetILNS1_3genE4ELNS1_11target_archE910ELNS1_3gpuE8ELNS1_3repE0EEENS1_30default_config_static_selectorELNS0_4arch9wavefront6targetE0EEEvS10_.numbered_sgpr, 0
	.set _ZN7rocprim17ROCPRIM_400000_NS6detail17trampoline_kernelINS0_14default_configENS1_21merge_config_selectorINS0_5tupleIJssEEENS0_10empty_typeEEEZNS1_10merge_implIS3_NS0_12zip_iteratorINS5_IJN6thrust23THRUST_200600_302600_NS6detail15normal_iteratorINSC_10device_ptrIKsEEEESI_EEEEESK_NSA_INS5_IJNSE_INSF_IsEEEESM_EEEEEPS7_SP_SP_NSC_11hip_rocprim7__merge17predicate_wrapperIssNSC_4lessIsEEEEEE10hipError_tPvRmT0_T1_T2_T3_T4_T5_mmT6_P12ihipStream_tbEUlT_E_NS1_11comp_targetILNS1_3genE4ELNS1_11target_archE910ELNS1_3gpuE8ELNS1_3repE0EEENS1_30default_config_static_selectorELNS0_4arch9wavefront6targetE0EEEvS10_.num_named_barrier, 0
	.set _ZN7rocprim17ROCPRIM_400000_NS6detail17trampoline_kernelINS0_14default_configENS1_21merge_config_selectorINS0_5tupleIJssEEENS0_10empty_typeEEEZNS1_10merge_implIS3_NS0_12zip_iteratorINS5_IJN6thrust23THRUST_200600_302600_NS6detail15normal_iteratorINSC_10device_ptrIKsEEEESI_EEEEESK_NSA_INS5_IJNSE_INSF_IsEEEESM_EEEEEPS7_SP_SP_NSC_11hip_rocprim7__merge17predicate_wrapperIssNSC_4lessIsEEEEEE10hipError_tPvRmT0_T1_T2_T3_T4_T5_mmT6_P12ihipStream_tbEUlT_E_NS1_11comp_targetILNS1_3genE4ELNS1_11target_archE910ELNS1_3gpuE8ELNS1_3repE0EEENS1_30default_config_static_selectorELNS0_4arch9wavefront6targetE0EEEvS10_.private_seg_size, 0
	.set _ZN7rocprim17ROCPRIM_400000_NS6detail17trampoline_kernelINS0_14default_configENS1_21merge_config_selectorINS0_5tupleIJssEEENS0_10empty_typeEEEZNS1_10merge_implIS3_NS0_12zip_iteratorINS5_IJN6thrust23THRUST_200600_302600_NS6detail15normal_iteratorINSC_10device_ptrIKsEEEESI_EEEEESK_NSA_INS5_IJNSE_INSF_IsEEEESM_EEEEEPS7_SP_SP_NSC_11hip_rocprim7__merge17predicate_wrapperIssNSC_4lessIsEEEEEE10hipError_tPvRmT0_T1_T2_T3_T4_T5_mmT6_P12ihipStream_tbEUlT_E_NS1_11comp_targetILNS1_3genE4ELNS1_11target_archE910ELNS1_3gpuE8ELNS1_3repE0EEENS1_30default_config_static_selectorELNS0_4arch9wavefront6targetE0EEEvS10_.uses_vcc, 0
	.set _ZN7rocprim17ROCPRIM_400000_NS6detail17trampoline_kernelINS0_14default_configENS1_21merge_config_selectorINS0_5tupleIJssEEENS0_10empty_typeEEEZNS1_10merge_implIS3_NS0_12zip_iteratorINS5_IJN6thrust23THRUST_200600_302600_NS6detail15normal_iteratorINSC_10device_ptrIKsEEEESI_EEEEESK_NSA_INS5_IJNSE_INSF_IsEEEESM_EEEEEPS7_SP_SP_NSC_11hip_rocprim7__merge17predicate_wrapperIssNSC_4lessIsEEEEEE10hipError_tPvRmT0_T1_T2_T3_T4_T5_mmT6_P12ihipStream_tbEUlT_E_NS1_11comp_targetILNS1_3genE4ELNS1_11target_archE910ELNS1_3gpuE8ELNS1_3repE0EEENS1_30default_config_static_selectorELNS0_4arch9wavefront6targetE0EEEvS10_.uses_flat_scratch, 0
	.set _ZN7rocprim17ROCPRIM_400000_NS6detail17trampoline_kernelINS0_14default_configENS1_21merge_config_selectorINS0_5tupleIJssEEENS0_10empty_typeEEEZNS1_10merge_implIS3_NS0_12zip_iteratorINS5_IJN6thrust23THRUST_200600_302600_NS6detail15normal_iteratorINSC_10device_ptrIKsEEEESI_EEEEESK_NSA_INS5_IJNSE_INSF_IsEEEESM_EEEEEPS7_SP_SP_NSC_11hip_rocprim7__merge17predicate_wrapperIssNSC_4lessIsEEEEEE10hipError_tPvRmT0_T1_T2_T3_T4_T5_mmT6_P12ihipStream_tbEUlT_E_NS1_11comp_targetILNS1_3genE4ELNS1_11target_archE910ELNS1_3gpuE8ELNS1_3repE0EEENS1_30default_config_static_selectorELNS0_4arch9wavefront6targetE0EEEvS10_.has_dyn_sized_stack, 0
	.set _ZN7rocprim17ROCPRIM_400000_NS6detail17trampoline_kernelINS0_14default_configENS1_21merge_config_selectorINS0_5tupleIJssEEENS0_10empty_typeEEEZNS1_10merge_implIS3_NS0_12zip_iteratorINS5_IJN6thrust23THRUST_200600_302600_NS6detail15normal_iteratorINSC_10device_ptrIKsEEEESI_EEEEESK_NSA_INS5_IJNSE_INSF_IsEEEESM_EEEEEPS7_SP_SP_NSC_11hip_rocprim7__merge17predicate_wrapperIssNSC_4lessIsEEEEEE10hipError_tPvRmT0_T1_T2_T3_T4_T5_mmT6_P12ihipStream_tbEUlT_E_NS1_11comp_targetILNS1_3genE4ELNS1_11target_archE910ELNS1_3gpuE8ELNS1_3repE0EEENS1_30default_config_static_selectorELNS0_4arch9wavefront6targetE0EEEvS10_.has_recursion, 0
	.set _ZN7rocprim17ROCPRIM_400000_NS6detail17trampoline_kernelINS0_14default_configENS1_21merge_config_selectorINS0_5tupleIJssEEENS0_10empty_typeEEEZNS1_10merge_implIS3_NS0_12zip_iteratorINS5_IJN6thrust23THRUST_200600_302600_NS6detail15normal_iteratorINSC_10device_ptrIKsEEEESI_EEEEESK_NSA_INS5_IJNSE_INSF_IsEEEESM_EEEEEPS7_SP_SP_NSC_11hip_rocprim7__merge17predicate_wrapperIssNSC_4lessIsEEEEEE10hipError_tPvRmT0_T1_T2_T3_T4_T5_mmT6_P12ihipStream_tbEUlT_E_NS1_11comp_targetILNS1_3genE4ELNS1_11target_archE910ELNS1_3gpuE8ELNS1_3repE0EEENS1_30default_config_static_selectorELNS0_4arch9wavefront6targetE0EEEvS10_.has_indirect_call, 0
	.section	.AMDGPU.csdata,"",@progbits
; Kernel info:
; codeLenInByte = 0
; TotalNumSgprs: 0
; NumVgprs: 0
; ScratchSize: 0
; MemoryBound: 0
; FloatMode: 240
; IeeeMode: 1
; LDSByteSize: 0 bytes/workgroup (compile time only)
; SGPRBlocks: 0
; VGPRBlocks: 0
; NumSGPRsForWavesPerEU: 1
; NumVGPRsForWavesPerEU: 1
; NamedBarCnt: 0
; Occupancy: 16
; WaveLimiterHint : 0
; COMPUTE_PGM_RSRC2:SCRATCH_EN: 0
; COMPUTE_PGM_RSRC2:USER_SGPR: 2
; COMPUTE_PGM_RSRC2:TRAP_HANDLER: 0
; COMPUTE_PGM_RSRC2:TGID_X_EN: 1
; COMPUTE_PGM_RSRC2:TGID_Y_EN: 0
; COMPUTE_PGM_RSRC2:TGID_Z_EN: 0
; COMPUTE_PGM_RSRC2:TIDIG_COMP_CNT: 0
	.section	.text._ZN7rocprim17ROCPRIM_400000_NS6detail17trampoline_kernelINS0_14default_configENS1_21merge_config_selectorINS0_5tupleIJssEEENS0_10empty_typeEEEZNS1_10merge_implIS3_NS0_12zip_iteratorINS5_IJN6thrust23THRUST_200600_302600_NS6detail15normal_iteratorINSC_10device_ptrIKsEEEESI_EEEEESK_NSA_INS5_IJNSE_INSF_IsEEEESM_EEEEEPS7_SP_SP_NSC_11hip_rocprim7__merge17predicate_wrapperIssNSC_4lessIsEEEEEE10hipError_tPvRmT0_T1_T2_T3_T4_T5_mmT6_P12ihipStream_tbEUlT_E_NS1_11comp_targetILNS1_3genE3ELNS1_11target_archE908ELNS1_3gpuE7ELNS1_3repE0EEENS1_30default_config_static_selectorELNS0_4arch9wavefront6targetE0EEEvS10_,"axG",@progbits,_ZN7rocprim17ROCPRIM_400000_NS6detail17trampoline_kernelINS0_14default_configENS1_21merge_config_selectorINS0_5tupleIJssEEENS0_10empty_typeEEEZNS1_10merge_implIS3_NS0_12zip_iteratorINS5_IJN6thrust23THRUST_200600_302600_NS6detail15normal_iteratorINSC_10device_ptrIKsEEEESI_EEEEESK_NSA_INS5_IJNSE_INSF_IsEEEESM_EEEEEPS7_SP_SP_NSC_11hip_rocprim7__merge17predicate_wrapperIssNSC_4lessIsEEEEEE10hipError_tPvRmT0_T1_T2_T3_T4_T5_mmT6_P12ihipStream_tbEUlT_E_NS1_11comp_targetILNS1_3genE3ELNS1_11target_archE908ELNS1_3gpuE7ELNS1_3repE0EEENS1_30default_config_static_selectorELNS0_4arch9wavefront6targetE0EEEvS10_,comdat
	.protected	_ZN7rocprim17ROCPRIM_400000_NS6detail17trampoline_kernelINS0_14default_configENS1_21merge_config_selectorINS0_5tupleIJssEEENS0_10empty_typeEEEZNS1_10merge_implIS3_NS0_12zip_iteratorINS5_IJN6thrust23THRUST_200600_302600_NS6detail15normal_iteratorINSC_10device_ptrIKsEEEESI_EEEEESK_NSA_INS5_IJNSE_INSF_IsEEEESM_EEEEEPS7_SP_SP_NSC_11hip_rocprim7__merge17predicate_wrapperIssNSC_4lessIsEEEEEE10hipError_tPvRmT0_T1_T2_T3_T4_T5_mmT6_P12ihipStream_tbEUlT_E_NS1_11comp_targetILNS1_3genE3ELNS1_11target_archE908ELNS1_3gpuE7ELNS1_3repE0EEENS1_30default_config_static_selectorELNS0_4arch9wavefront6targetE0EEEvS10_ ; -- Begin function _ZN7rocprim17ROCPRIM_400000_NS6detail17trampoline_kernelINS0_14default_configENS1_21merge_config_selectorINS0_5tupleIJssEEENS0_10empty_typeEEEZNS1_10merge_implIS3_NS0_12zip_iteratorINS5_IJN6thrust23THRUST_200600_302600_NS6detail15normal_iteratorINSC_10device_ptrIKsEEEESI_EEEEESK_NSA_INS5_IJNSE_INSF_IsEEEESM_EEEEEPS7_SP_SP_NSC_11hip_rocprim7__merge17predicate_wrapperIssNSC_4lessIsEEEEEE10hipError_tPvRmT0_T1_T2_T3_T4_T5_mmT6_P12ihipStream_tbEUlT_E_NS1_11comp_targetILNS1_3genE3ELNS1_11target_archE908ELNS1_3gpuE7ELNS1_3repE0EEENS1_30default_config_static_selectorELNS0_4arch9wavefront6targetE0EEEvS10_
	.globl	_ZN7rocprim17ROCPRIM_400000_NS6detail17trampoline_kernelINS0_14default_configENS1_21merge_config_selectorINS0_5tupleIJssEEENS0_10empty_typeEEEZNS1_10merge_implIS3_NS0_12zip_iteratorINS5_IJN6thrust23THRUST_200600_302600_NS6detail15normal_iteratorINSC_10device_ptrIKsEEEESI_EEEEESK_NSA_INS5_IJNSE_INSF_IsEEEESM_EEEEEPS7_SP_SP_NSC_11hip_rocprim7__merge17predicate_wrapperIssNSC_4lessIsEEEEEE10hipError_tPvRmT0_T1_T2_T3_T4_T5_mmT6_P12ihipStream_tbEUlT_E_NS1_11comp_targetILNS1_3genE3ELNS1_11target_archE908ELNS1_3gpuE7ELNS1_3repE0EEENS1_30default_config_static_selectorELNS0_4arch9wavefront6targetE0EEEvS10_
	.p2align	8
	.type	_ZN7rocprim17ROCPRIM_400000_NS6detail17trampoline_kernelINS0_14default_configENS1_21merge_config_selectorINS0_5tupleIJssEEENS0_10empty_typeEEEZNS1_10merge_implIS3_NS0_12zip_iteratorINS5_IJN6thrust23THRUST_200600_302600_NS6detail15normal_iteratorINSC_10device_ptrIKsEEEESI_EEEEESK_NSA_INS5_IJNSE_INSF_IsEEEESM_EEEEEPS7_SP_SP_NSC_11hip_rocprim7__merge17predicate_wrapperIssNSC_4lessIsEEEEEE10hipError_tPvRmT0_T1_T2_T3_T4_T5_mmT6_P12ihipStream_tbEUlT_E_NS1_11comp_targetILNS1_3genE3ELNS1_11target_archE908ELNS1_3gpuE7ELNS1_3repE0EEENS1_30default_config_static_selectorELNS0_4arch9wavefront6targetE0EEEvS10_,@function
_ZN7rocprim17ROCPRIM_400000_NS6detail17trampoline_kernelINS0_14default_configENS1_21merge_config_selectorINS0_5tupleIJssEEENS0_10empty_typeEEEZNS1_10merge_implIS3_NS0_12zip_iteratorINS5_IJN6thrust23THRUST_200600_302600_NS6detail15normal_iteratorINSC_10device_ptrIKsEEEESI_EEEEESK_NSA_INS5_IJNSE_INSF_IsEEEESM_EEEEEPS7_SP_SP_NSC_11hip_rocprim7__merge17predicate_wrapperIssNSC_4lessIsEEEEEE10hipError_tPvRmT0_T1_T2_T3_T4_T5_mmT6_P12ihipStream_tbEUlT_E_NS1_11comp_targetILNS1_3genE3ELNS1_11target_archE908ELNS1_3gpuE7ELNS1_3repE0EEENS1_30default_config_static_selectorELNS0_4arch9wavefront6targetE0EEEvS10_: ; @_ZN7rocprim17ROCPRIM_400000_NS6detail17trampoline_kernelINS0_14default_configENS1_21merge_config_selectorINS0_5tupleIJssEEENS0_10empty_typeEEEZNS1_10merge_implIS3_NS0_12zip_iteratorINS5_IJN6thrust23THRUST_200600_302600_NS6detail15normal_iteratorINSC_10device_ptrIKsEEEESI_EEEEESK_NSA_INS5_IJNSE_INSF_IsEEEESM_EEEEEPS7_SP_SP_NSC_11hip_rocprim7__merge17predicate_wrapperIssNSC_4lessIsEEEEEE10hipError_tPvRmT0_T1_T2_T3_T4_T5_mmT6_P12ihipStream_tbEUlT_E_NS1_11comp_targetILNS1_3genE3ELNS1_11target_archE908ELNS1_3gpuE7ELNS1_3repE0EEENS1_30default_config_static_selectorELNS0_4arch9wavefront6targetE0EEEvS10_
; %bb.0:
	.section	.rodata,"a",@progbits
	.p2align	6, 0x0
	.amdhsa_kernel _ZN7rocprim17ROCPRIM_400000_NS6detail17trampoline_kernelINS0_14default_configENS1_21merge_config_selectorINS0_5tupleIJssEEENS0_10empty_typeEEEZNS1_10merge_implIS3_NS0_12zip_iteratorINS5_IJN6thrust23THRUST_200600_302600_NS6detail15normal_iteratorINSC_10device_ptrIKsEEEESI_EEEEESK_NSA_INS5_IJNSE_INSF_IsEEEESM_EEEEEPS7_SP_SP_NSC_11hip_rocprim7__merge17predicate_wrapperIssNSC_4lessIsEEEEEE10hipError_tPvRmT0_T1_T2_T3_T4_T5_mmT6_P12ihipStream_tbEUlT_E_NS1_11comp_targetILNS1_3genE3ELNS1_11target_archE908ELNS1_3gpuE7ELNS1_3repE0EEENS1_30default_config_static_selectorELNS0_4arch9wavefront6targetE0EEEvS10_
		.amdhsa_group_segment_fixed_size 0
		.amdhsa_private_segment_fixed_size 0
		.amdhsa_kernarg_size 64
		.amdhsa_user_sgpr_count 2
		.amdhsa_user_sgpr_dispatch_ptr 0
		.amdhsa_user_sgpr_queue_ptr 0
		.amdhsa_user_sgpr_kernarg_segment_ptr 1
		.amdhsa_user_sgpr_dispatch_id 0
		.amdhsa_user_sgpr_kernarg_preload_length 0
		.amdhsa_user_sgpr_kernarg_preload_offset 0
		.amdhsa_user_sgpr_private_segment_size 0
		.amdhsa_wavefront_size32 1
		.amdhsa_uses_dynamic_stack 0
		.amdhsa_enable_private_segment 0
		.amdhsa_system_sgpr_workgroup_id_x 1
		.amdhsa_system_sgpr_workgroup_id_y 0
		.amdhsa_system_sgpr_workgroup_id_z 0
		.amdhsa_system_sgpr_workgroup_info 0
		.amdhsa_system_vgpr_workitem_id 0
		.amdhsa_next_free_vgpr 1
		.amdhsa_next_free_sgpr 1
		.amdhsa_named_barrier_count 0
		.amdhsa_reserve_vcc 0
		.amdhsa_float_round_mode_32 0
		.amdhsa_float_round_mode_16_64 0
		.amdhsa_float_denorm_mode_32 3
		.amdhsa_float_denorm_mode_16_64 3
		.amdhsa_fp16_overflow 0
		.amdhsa_memory_ordered 1
		.amdhsa_forward_progress 1
		.amdhsa_inst_pref_size 0
		.amdhsa_round_robin_scheduling 0
		.amdhsa_exception_fp_ieee_invalid_op 0
		.amdhsa_exception_fp_denorm_src 0
		.amdhsa_exception_fp_ieee_div_zero 0
		.amdhsa_exception_fp_ieee_overflow 0
		.amdhsa_exception_fp_ieee_underflow 0
		.amdhsa_exception_fp_ieee_inexact 0
		.amdhsa_exception_int_div_zero 0
	.end_amdhsa_kernel
	.section	.text._ZN7rocprim17ROCPRIM_400000_NS6detail17trampoline_kernelINS0_14default_configENS1_21merge_config_selectorINS0_5tupleIJssEEENS0_10empty_typeEEEZNS1_10merge_implIS3_NS0_12zip_iteratorINS5_IJN6thrust23THRUST_200600_302600_NS6detail15normal_iteratorINSC_10device_ptrIKsEEEESI_EEEEESK_NSA_INS5_IJNSE_INSF_IsEEEESM_EEEEEPS7_SP_SP_NSC_11hip_rocprim7__merge17predicate_wrapperIssNSC_4lessIsEEEEEE10hipError_tPvRmT0_T1_T2_T3_T4_T5_mmT6_P12ihipStream_tbEUlT_E_NS1_11comp_targetILNS1_3genE3ELNS1_11target_archE908ELNS1_3gpuE7ELNS1_3repE0EEENS1_30default_config_static_selectorELNS0_4arch9wavefront6targetE0EEEvS10_,"axG",@progbits,_ZN7rocprim17ROCPRIM_400000_NS6detail17trampoline_kernelINS0_14default_configENS1_21merge_config_selectorINS0_5tupleIJssEEENS0_10empty_typeEEEZNS1_10merge_implIS3_NS0_12zip_iteratorINS5_IJN6thrust23THRUST_200600_302600_NS6detail15normal_iteratorINSC_10device_ptrIKsEEEESI_EEEEESK_NSA_INS5_IJNSE_INSF_IsEEEESM_EEEEEPS7_SP_SP_NSC_11hip_rocprim7__merge17predicate_wrapperIssNSC_4lessIsEEEEEE10hipError_tPvRmT0_T1_T2_T3_T4_T5_mmT6_P12ihipStream_tbEUlT_E_NS1_11comp_targetILNS1_3genE3ELNS1_11target_archE908ELNS1_3gpuE7ELNS1_3repE0EEENS1_30default_config_static_selectorELNS0_4arch9wavefront6targetE0EEEvS10_,comdat
.Lfunc_end283:
	.size	_ZN7rocprim17ROCPRIM_400000_NS6detail17trampoline_kernelINS0_14default_configENS1_21merge_config_selectorINS0_5tupleIJssEEENS0_10empty_typeEEEZNS1_10merge_implIS3_NS0_12zip_iteratorINS5_IJN6thrust23THRUST_200600_302600_NS6detail15normal_iteratorINSC_10device_ptrIKsEEEESI_EEEEESK_NSA_INS5_IJNSE_INSF_IsEEEESM_EEEEEPS7_SP_SP_NSC_11hip_rocprim7__merge17predicate_wrapperIssNSC_4lessIsEEEEEE10hipError_tPvRmT0_T1_T2_T3_T4_T5_mmT6_P12ihipStream_tbEUlT_E_NS1_11comp_targetILNS1_3genE3ELNS1_11target_archE908ELNS1_3gpuE7ELNS1_3repE0EEENS1_30default_config_static_selectorELNS0_4arch9wavefront6targetE0EEEvS10_, .Lfunc_end283-_ZN7rocprim17ROCPRIM_400000_NS6detail17trampoline_kernelINS0_14default_configENS1_21merge_config_selectorINS0_5tupleIJssEEENS0_10empty_typeEEEZNS1_10merge_implIS3_NS0_12zip_iteratorINS5_IJN6thrust23THRUST_200600_302600_NS6detail15normal_iteratorINSC_10device_ptrIKsEEEESI_EEEEESK_NSA_INS5_IJNSE_INSF_IsEEEESM_EEEEEPS7_SP_SP_NSC_11hip_rocprim7__merge17predicate_wrapperIssNSC_4lessIsEEEEEE10hipError_tPvRmT0_T1_T2_T3_T4_T5_mmT6_P12ihipStream_tbEUlT_E_NS1_11comp_targetILNS1_3genE3ELNS1_11target_archE908ELNS1_3gpuE7ELNS1_3repE0EEENS1_30default_config_static_selectorELNS0_4arch9wavefront6targetE0EEEvS10_
                                        ; -- End function
	.set _ZN7rocprim17ROCPRIM_400000_NS6detail17trampoline_kernelINS0_14default_configENS1_21merge_config_selectorINS0_5tupleIJssEEENS0_10empty_typeEEEZNS1_10merge_implIS3_NS0_12zip_iteratorINS5_IJN6thrust23THRUST_200600_302600_NS6detail15normal_iteratorINSC_10device_ptrIKsEEEESI_EEEEESK_NSA_INS5_IJNSE_INSF_IsEEEESM_EEEEEPS7_SP_SP_NSC_11hip_rocprim7__merge17predicate_wrapperIssNSC_4lessIsEEEEEE10hipError_tPvRmT0_T1_T2_T3_T4_T5_mmT6_P12ihipStream_tbEUlT_E_NS1_11comp_targetILNS1_3genE3ELNS1_11target_archE908ELNS1_3gpuE7ELNS1_3repE0EEENS1_30default_config_static_selectorELNS0_4arch9wavefront6targetE0EEEvS10_.num_vgpr, 0
	.set _ZN7rocprim17ROCPRIM_400000_NS6detail17trampoline_kernelINS0_14default_configENS1_21merge_config_selectorINS0_5tupleIJssEEENS0_10empty_typeEEEZNS1_10merge_implIS3_NS0_12zip_iteratorINS5_IJN6thrust23THRUST_200600_302600_NS6detail15normal_iteratorINSC_10device_ptrIKsEEEESI_EEEEESK_NSA_INS5_IJNSE_INSF_IsEEEESM_EEEEEPS7_SP_SP_NSC_11hip_rocprim7__merge17predicate_wrapperIssNSC_4lessIsEEEEEE10hipError_tPvRmT0_T1_T2_T3_T4_T5_mmT6_P12ihipStream_tbEUlT_E_NS1_11comp_targetILNS1_3genE3ELNS1_11target_archE908ELNS1_3gpuE7ELNS1_3repE0EEENS1_30default_config_static_selectorELNS0_4arch9wavefront6targetE0EEEvS10_.num_agpr, 0
	.set _ZN7rocprim17ROCPRIM_400000_NS6detail17trampoline_kernelINS0_14default_configENS1_21merge_config_selectorINS0_5tupleIJssEEENS0_10empty_typeEEEZNS1_10merge_implIS3_NS0_12zip_iteratorINS5_IJN6thrust23THRUST_200600_302600_NS6detail15normal_iteratorINSC_10device_ptrIKsEEEESI_EEEEESK_NSA_INS5_IJNSE_INSF_IsEEEESM_EEEEEPS7_SP_SP_NSC_11hip_rocprim7__merge17predicate_wrapperIssNSC_4lessIsEEEEEE10hipError_tPvRmT0_T1_T2_T3_T4_T5_mmT6_P12ihipStream_tbEUlT_E_NS1_11comp_targetILNS1_3genE3ELNS1_11target_archE908ELNS1_3gpuE7ELNS1_3repE0EEENS1_30default_config_static_selectorELNS0_4arch9wavefront6targetE0EEEvS10_.numbered_sgpr, 0
	.set _ZN7rocprim17ROCPRIM_400000_NS6detail17trampoline_kernelINS0_14default_configENS1_21merge_config_selectorINS0_5tupleIJssEEENS0_10empty_typeEEEZNS1_10merge_implIS3_NS0_12zip_iteratorINS5_IJN6thrust23THRUST_200600_302600_NS6detail15normal_iteratorINSC_10device_ptrIKsEEEESI_EEEEESK_NSA_INS5_IJNSE_INSF_IsEEEESM_EEEEEPS7_SP_SP_NSC_11hip_rocprim7__merge17predicate_wrapperIssNSC_4lessIsEEEEEE10hipError_tPvRmT0_T1_T2_T3_T4_T5_mmT6_P12ihipStream_tbEUlT_E_NS1_11comp_targetILNS1_3genE3ELNS1_11target_archE908ELNS1_3gpuE7ELNS1_3repE0EEENS1_30default_config_static_selectorELNS0_4arch9wavefront6targetE0EEEvS10_.num_named_barrier, 0
	.set _ZN7rocprim17ROCPRIM_400000_NS6detail17trampoline_kernelINS0_14default_configENS1_21merge_config_selectorINS0_5tupleIJssEEENS0_10empty_typeEEEZNS1_10merge_implIS3_NS0_12zip_iteratorINS5_IJN6thrust23THRUST_200600_302600_NS6detail15normal_iteratorINSC_10device_ptrIKsEEEESI_EEEEESK_NSA_INS5_IJNSE_INSF_IsEEEESM_EEEEEPS7_SP_SP_NSC_11hip_rocprim7__merge17predicate_wrapperIssNSC_4lessIsEEEEEE10hipError_tPvRmT0_T1_T2_T3_T4_T5_mmT6_P12ihipStream_tbEUlT_E_NS1_11comp_targetILNS1_3genE3ELNS1_11target_archE908ELNS1_3gpuE7ELNS1_3repE0EEENS1_30default_config_static_selectorELNS0_4arch9wavefront6targetE0EEEvS10_.private_seg_size, 0
	.set _ZN7rocprim17ROCPRIM_400000_NS6detail17trampoline_kernelINS0_14default_configENS1_21merge_config_selectorINS0_5tupleIJssEEENS0_10empty_typeEEEZNS1_10merge_implIS3_NS0_12zip_iteratorINS5_IJN6thrust23THRUST_200600_302600_NS6detail15normal_iteratorINSC_10device_ptrIKsEEEESI_EEEEESK_NSA_INS5_IJNSE_INSF_IsEEEESM_EEEEEPS7_SP_SP_NSC_11hip_rocprim7__merge17predicate_wrapperIssNSC_4lessIsEEEEEE10hipError_tPvRmT0_T1_T2_T3_T4_T5_mmT6_P12ihipStream_tbEUlT_E_NS1_11comp_targetILNS1_3genE3ELNS1_11target_archE908ELNS1_3gpuE7ELNS1_3repE0EEENS1_30default_config_static_selectorELNS0_4arch9wavefront6targetE0EEEvS10_.uses_vcc, 0
	.set _ZN7rocprim17ROCPRIM_400000_NS6detail17trampoline_kernelINS0_14default_configENS1_21merge_config_selectorINS0_5tupleIJssEEENS0_10empty_typeEEEZNS1_10merge_implIS3_NS0_12zip_iteratorINS5_IJN6thrust23THRUST_200600_302600_NS6detail15normal_iteratorINSC_10device_ptrIKsEEEESI_EEEEESK_NSA_INS5_IJNSE_INSF_IsEEEESM_EEEEEPS7_SP_SP_NSC_11hip_rocprim7__merge17predicate_wrapperIssNSC_4lessIsEEEEEE10hipError_tPvRmT0_T1_T2_T3_T4_T5_mmT6_P12ihipStream_tbEUlT_E_NS1_11comp_targetILNS1_3genE3ELNS1_11target_archE908ELNS1_3gpuE7ELNS1_3repE0EEENS1_30default_config_static_selectorELNS0_4arch9wavefront6targetE0EEEvS10_.uses_flat_scratch, 0
	.set _ZN7rocprim17ROCPRIM_400000_NS6detail17trampoline_kernelINS0_14default_configENS1_21merge_config_selectorINS0_5tupleIJssEEENS0_10empty_typeEEEZNS1_10merge_implIS3_NS0_12zip_iteratorINS5_IJN6thrust23THRUST_200600_302600_NS6detail15normal_iteratorINSC_10device_ptrIKsEEEESI_EEEEESK_NSA_INS5_IJNSE_INSF_IsEEEESM_EEEEEPS7_SP_SP_NSC_11hip_rocprim7__merge17predicate_wrapperIssNSC_4lessIsEEEEEE10hipError_tPvRmT0_T1_T2_T3_T4_T5_mmT6_P12ihipStream_tbEUlT_E_NS1_11comp_targetILNS1_3genE3ELNS1_11target_archE908ELNS1_3gpuE7ELNS1_3repE0EEENS1_30default_config_static_selectorELNS0_4arch9wavefront6targetE0EEEvS10_.has_dyn_sized_stack, 0
	.set _ZN7rocprim17ROCPRIM_400000_NS6detail17trampoline_kernelINS0_14default_configENS1_21merge_config_selectorINS0_5tupleIJssEEENS0_10empty_typeEEEZNS1_10merge_implIS3_NS0_12zip_iteratorINS5_IJN6thrust23THRUST_200600_302600_NS6detail15normal_iteratorINSC_10device_ptrIKsEEEESI_EEEEESK_NSA_INS5_IJNSE_INSF_IsEEEESM_EEEEEPS7_SP_SP_NSC_11hip_rocprim7__merge17predicate_wrapperIssNSC_4lessIsEEEEEE10hipError_tPvRmT0_T1_T2_T3_T4_T5_mmT6_P12ihipStream_tbEUlT_E_NS1_11comp_targetILNS1_3genE3ELNS1_11target_archE908ELNS1_3gpuE7ELNS1_3repE0EEENS1_30default_config_static_selectorELNS0_4arch9wavefront6targetE0EEEvS10_.has_recursion, 0
	.set _ZN7rocprim17ROCPRIM_400000_NS6detail17trampoline_kernelINS0_14default_configENS1_21merge_config_selectorINS0_5tupleIJssEEENS0_10empty_typeEEEZNS1_10merge_implIS3_NS0_12zip_iteratorINS5_IJN6thrust23THRUST_200600_302600_NS6detail15normal_iteratorINSC_10device_ptrIKsEEEESI_EEEEESK_NSA_INS5_IJNSE_INSF_IsEEEESM_EEEEEPS7_SP_SP_NSC_11hip_rocprim7__merge17predicate_wrapperIssNSC_4lessIsEEEEEE10hipError_tPvRmT0_T1_T2_T3_T4_T5_mmT6_P12ihipStream_tbEUlT_E_NS1_11comp_targetILNS1_3genE3ELNS1_11target_archE908ELNS1_3gpuE7ELNS1_3repE0EEENS1_30default_config_static_selectorELNS0_4arch9wavefront6targetE0EEEvS10_.has_indirect_call, 0
	.section	.AMDGPU.csdata,"",@progbits
; Kernel info:
; codeLenInByte = 0
; TotalNumSgprs: 0
; NumVgprs: 0
; ScratchSize: 0
; MemoryBound: 0
; FloatMode: 240
; IeeeMode: 1
; LDSByteSize: 0 bytes/workgroup (compile time only)
; SGPRBlocks: 0
; VGPRBlocks: 0
; NumSGPRsForWavesPerEU: 1
; NumVGPRsForWavesPerEU: 1
; NamedBarCnt: 0
; Occupancy: 16
; WaveLimiterHint : 0
; COMPUTE_PGM_RSRC2:SCRATCH_EN: 0
; COMPUTE_PGM_RSRC2:USER_SGPR: 2
; COMPUTE_PGM_RSRC2:TRAP_HANDLER: 0
; COMPUTE_PGM_RSRC2:TGID_X_EN: 1
; COMPUTE_PGM_RSRC2:TGID_Y_EN: 0
; COMPUTE_PGM_RSRC2:TGID_Z_EN: 0
; COMPUTE_PGM_RSRC2:TIDIG_COMP_CNT: 0
	.section	.text._ZN7rocprim17ROCPRIM_400000_NS6detail17trampoline_kernelINS0_14default_configENS1_21merge_config_selectorINS0_5tupleIJssEEENS0_10empty_typeEEEZNS1_10merge_implIS3_NS0_12zip_iteratorINS5_IJN6thrust23THRUST_200600_302600_NS6detail15normal_iteratorINSC_10device_ptrIKsEEEESI_EEEEESK_NSA_INS5_IJNSE_INSF_IsEEEESM_EEEEEPS7_SP_SP_NSC_11hip_rocprim7__merge17predicate_wrapperIssNSC_4lessIsEEEEEE10hipError_tPvRmT0_T1_T2_T3_T4_T5_mmT6_P12ihipStream_tbEUlT_E_NS1_11comp_targetILNS1_3genE2ELNS1_11target_archE906ELNS1_3gpuE6ELNS1_3repE0EEENS1_30default_config_static_selectorELNS0_4arch9wavefront6targetE0EEEvS10_,"axG",@progbits,_ZN7rocprim17ROCPRIM_400000_NS6detail17trampoline_kernelINS0_14default_configENS1_21merge_config_selectorINS0_5tupleIJssEEENS0_10empty_typeEEEZNS1_10merge_implIS3_NS0_12zip_iteratorINS5_IJN6thrust23THRUST_200600_302600_NS6detail15normal_iteratorINSC_10device_ptrIKsEEEESI_EEEEESK_NSA_INS5_IJNSE_INSF_IsEEEESM_EEEEEPS7_SP_SP_NSC_11hip_rocprim7__merge17predicate_wrapperIssNSC_4lessIsEEEEEE10hipError_tPvRmT0_T1_T2_T3_T4_T5_mmT6_P12ihipStream_tbEUlT_E_NS1_11comp_targetILNS1_3genE2ELNS1_11target_archE906ELNS1_3gpuE6ELNS1_3repE0EEENS1_30default_config_static_selectorELNS0_4arch9wavefront6targetE0EEEvS10_,comdat
	.protected	_ZN7rocprim17ROCPRIM_400000_NS6detail17trampoline_kernelINS0_14default_configENS1_21merge_config_selectorINS0_5tupleIJssEEENS0_10empty_typeEEEZNS1_10merge_implIS3_NS0_12zip_iteratorINS5_IJN6thrust23THRUST_200600_302600_NS6detail15normal_iteratorINSC_10device_ptrIKsEEEESI_EEEEESK_NSA_INS5_IJNSE_INSF_IsEEEESM_EEEEEPS7_SP_SP_NSC_11hip_rocprim7__merge17predicate_wrapperIssNSC_4lessIsEEEEEE10hipError_tPvRmT0_T1_T2_T3_T4_T5_mmT6_P12ihipStream_tbEUlT_E_NS1_11comp_targetILNS1_3genE2ELNS1_11target_archE906ELNS1_3gpuE6ELNS1_3repE0EEENS1_30default_config_static_selectorELNS0_4arch9wavefront6targetE0EEEvS10_ ; -- Begin function _ZN7rocprim17ROCPRIM_400000_NS6detail17trampoline_kernelINS0_14default_configENS1_21merge_config_selectorINS0_5tupleIJssEEENS0_10empty_typeEEEZNS1_10merge_implIS3_NS0_12zip_iteratorINS5_IJN6thrust23THRUST_200600_302600_NS6detail15normal_iteratorINSC_10device_ptrIKsEEEESI_EEEEESK_NSA_INS5_IJNSE_INSF_IsEEEESM_EEEEEPS7_SP_SP_NSC_11hip_rocprim7__merge17predicate_wrapperIssNSC_4lessIsEEEEEE10hipError_tPvRmT0_T1_T2_T3_T4_T5_mmT6_P12ihipStream_tbEUlT_E_NS1_11comp_targetILNS1_3genE2ELNS1_11target_archE906ELNS1_3gpuE6ELNS1_3repE0EEENS1_30default_config_static_selectorELNS0_4arch9wavefront6targetE0EEEvS10_
	.globl	_ZN7rocprim17ROCPRIM_400000_NS6detail17trampoline_kernelINS0_14default_configENS1_21merge_config_selectorINS0_5tupleIJssEEENS0_10empty_typeEEEZNS1_10merge_implIS3_NS0_12zip_iteratorINS5_IJN6thrust23THRUST_200600_302600_NS6detail15normal_iteratorINSC_10device_ptrIKsEEEESI_EEEEESK_NSA_INS5_IJNSE_INSF_IsEEEESM_EEEEEPS7_SP_SP_NSC_11hip_rocprim7__merge17predicate_wrapperIssNSC_4lessIsEEEEEE10hipError_tPvRmT0_T1_T2_T3_T4_T5_mmT6_P12ihipStream_tbEUlT_E_NS1_11comp_targetILNS1_3genE2ELNS1_11target_archE906ELNS1_3gpuE6ELNS1_3repE0EEENS1_30default_config_static_selectorELNS0_4arch9wavefront6targetE0EEEvS10_
	.p2align	8
	.type	_ZN7rocprim17ROCPRIM_400000_NS6detail17trampoline_kernelINS0_14default_configENS1_21merge_config_selectorINS0_5tupleIJssEEENS0_10empty_typeEEEZNS1_10merge_implIS3_NS0_12zip_iteratorINS5_IJN6thrust23THRUST_200600_302600_NS6detail15normal_iteratorINSC_10device_ptrIKsEEEESI_EEEEESK_NSA_INS5_IJNSE_INSF_IsEEEESM_EEEEEPS7_SP_SP_NSC_11hip_rocprim7__merge17predicate_wrapperIssNSC_4lessIsEEEEEE10hipError_tPvRmT0_T1_T2_T3_T4_T5_mmT6_P12ihipStream_tbEUlT_E_NS1_11comp_targetILNS1_3genE2ELNS1_11target_archE906ELNS1_3gpuE6ELNS1_3repE0EEENS1_30default_config_static_selectorELNS0_4arch9wavefront6targetE0EEEvS10_,@function
_ZN7rocprim17ROCPRIM_400000_NS6detail17trampoline_kernelINS0_14default_configENS1_21merge_config_selectorINS0_5tupleIJssEEENS0_10empty_typeEEEZNS1_10merge_implIS3_NS0_12zip_iteratorINS5_IJN6thrust23THRUST_200600_302600_NS6detail15normal_iteratorINSC_10device_ptrIKsEEEESI_EEEEESK_NSA_INS5_IJNSE_INSF_IsEEEESM_EEEEEPS7_SP_SP_NSC_11hip_rocprim7__merge17predicate_wrapperIssNSC_4lessIsEEEEEE10hipError_tPvRmT0_T1_T2_T3_T4_T5_mmT6_P12ihipStream_tbEUlT_E_NS1_11comp_targetILNS1_3genE2ELNS1_11target_archE906ELNS1_3gpuE6ELNS1_3repE0EEENS1_30default_config_static_selectorELNS0_4arch9wavefront6targetE0EEEvS10_: ; @_ZN7rocprim17ROCPRIM_400000_NS6detail17trampoline_kernelINS0_14default_configENS1_21merge_config_selectorINS0_5tupleIJssEEENS0_10empty_typeEEEZNS1_10merge_implIS3_NS0_12zip_iteratorINS5_IJN6thrust23THRUST_200600_302600_NS6detail15normal_iteratorINSC_10device_ptrIKsEEEESI_EEEEESK_NSA_INS5_IJNSE_INSF_IsEEEESM_EEEEEPS7_SP_SP_NSC_11hip_rocprim7__merge17predicate_wrapperIssNSC_4lessIsEEEEEE10hipError_tPvRmT0_T1_T2_T3_T4_T5_mmT6_P12ihipStream_tbEUlT_E_NS1_11comp_targetILNS1_3genE2ELNS1_11target_archE906ELNS1_3gpuE6ELNS1_3repE0EEENS1_30default_config_static_selectorELNS0_4arch9wavefront6targetE0EEEvS10_
; %bb.0:
	.section	.rodata,"a",@progbits
	.p2align	6, 0x0
	.amdhsa_kernel _ZN7rocprim17ROCPRIM_400000_NS6detail17trampoline_kernelINS0_14default_configENS1_21merge_config_selectorINS0_5tupleIJssEEENS0_10empty_typeEEEZNS1_10merge_implIS3_NS0_12zip_iteratorINS5_IJN6thrust23THRUST_200600_302600_NS6detail15normal_iteratorINSC_10device_ptrIKsEEEESI_EEEEESK_NSA_INS5_IJNSE_INSF_IsEEEESM_EEEEEPS7_SP_SP_NSC_11hip_rocprim7__merge17predicate_wrapperIssNSC_4lessIsEEEEEE10hipError_tPvRmT0_T1_T2_T3_T4_T5_mmT6_P12ihipStream_tbEUlT_E_NS1_11comp_targetILNS1_3genE2ELNS1_11target_archE906ELNS1_3gpuE6ELNS1_3repE0EEENS1_30default_config_static_selectorELNS0_4arch9wavefront6targetE0EEEvS10_
		.amdhsa_group_segment_fixed_size 0
		.amdhsa_private_segment_fixed_size 0
		.amdhsa_kernarg_size 64
		.amdhsa_user_sgpr_count 2
		.amdhsa_user_sgpr_dispatch_ptr 0
		.amdhsa_user_sgpr_queue_ptr 0
		.amdhsa_user_sgpr_kernarg_segment_ptr 1
		.amdhsa_user_sgpr_dispatch_id 0
		.amdhsa_user_sgpr_kernarg_preload_length 0
		.amdhsa_user_sgpr_kernarg_preload_offset 0
		.amdhsa_user_sgpr_private_segment_size 0
		.amdhsa_wavefront_size32 1
		.amdhsa_uses_dynamic_stack 0
		.amdhsa_enable_private_segment 0
		.amdhsa_system_sgpr_workgroup_id_x 1
		.amdhsa_system_sgpr_workgroup_id_y 0
		.amdhsa_system_sgpr_workgroup_id_z 0
		.amdhsa_system_sgpr_workgroup_info 0
		.amdhsa_system_vgpr_workitem_id 0
		.amdhsa_next_free_vgpr 1
		.amdhsa_next_free_sgpr 1
		.amdhsa_named_barrier_count 0
		.amdhsa_reserve_vcc 0
		.amdhsa_float_round_mode_32 0
		.amdhsa_float_round_mode_16_64 0
		.amdhsa_float_denorm_mode_32 3
		.amdhsa_float_denorm_mode_16_64 3
		.amdhsa_fp16_overflow 0
		.amdhsa_memory_ordered 1
		.amdhsa_forward_progress 1
		.amdhsa_inst_pref_size 0
		.amdhsa_round_robin_scheduling 0
		.amdhsa_exception_fp_ieee_invalid_op 0
		.amdhsa_exception_fp_denorm_src 0
		.amdhsa_exception_fp_ieee_div_zero 0
		.amdhsa_exception_fp_ieee_overflow 0
		.amdhsa_exception_fp_ieee_underflow 0
		.amdhsa_exception_fp_ieee_inexact 0
		.amdhsa_exception_int_div_zero 0
	.end_amdhsa_kernel
	.section	.text._ZN7rocprim17ROCPRIM_400000_NS6detail17trampoline_kernelINS0_14default_configENS1_21merge_config_selectorINS0_5tupleIJssEEENS0_10empty_typeEEEZNS1_10merge_implIS3_NS0_12zip_iteratorINS5_IJN6thrust23THRUST_200600_302600_NS6detail15normal_iteratorINSC_10device_ptrIKsEEEESI_EEEEESK_NSA_INS5_IJNSE_INSF_IsEEEESM_EEEEEPS7_SP_SP_NSC_11hip_rocprim7__merge17predicate_wrapperIssNSC_4lessIsEEEEEE10hipError_tPvRmT0_T1_T2_T3_T4_T5_mmT6_P12ihipStream_tbEUlT_E_NS1_11comp_targetILNS1_3genE2ELNS1_11target_archE906ELNS1_3gpuE6ELNS1_3repE0EEENS1_30default_config_static_selectorELNS0_4arch9wavefront6targetE0EEEvS10_,"axG",@progbits,_ZN7rocprim17ROCPRIM_400000_NS6detail17trampoline_kernelINS0_14default_configENS1_21merge_config_selectorINS0_5tupleIJssEEENS0_10empty_typeEEEZNS1_10merge_implIS3_NS0_12zip_iteratorINS5_IJN6thrust23THRUST_200600_302600_NS6detail15normal_iteratorINSC_10device_ptrIKsEEEESI_EEEEESK_NSA_INS5_IJNSE_INSF_IsEEEESM_EEEEEPS7_SP_SP_NSC_11hip_rocprim7__merge17predicate_wrapperIssNSC_4lessIsEEEEEE10hipError_tPvRmT0_T1_T2_T3_T4_T5_mmT6_P12ihipStream_tbEUlT_E_NS1_11comp_targetILNS1_3genE2ELNS1_11target_archE906ELNS1_3gpuE6ELNS1_3repE0EEENS1_30default_config_static_selectorELNS0_4arch9wavefront6targetE0EEEvS10_,comdat
.Lfunc_end284:
	.size	_ZN7rocprim17ROCPRIM_400000_NS6detail17trampoline_kernelINS0_14default_configENS1_21merge_config_selectorINS0_5tupleIJssEEENS0_10empty_typeEEEZNS1_10merge_implIS3_NS0_12zip_iteratorINS5_IJN6thrust23THRUST_200600_302600_NS6detail15normal_iteratorINSC_10device_ptrIKsEEEESI_EEEEESK_NSA_INS5_IJNSE_INSF_IsEEEESM_EEEEEPS7_SP_SP_NSC_11hip_rocprim7__merge17predicate_wrapperIssNSC_4lessIsEEEEEE10hipError_tPvRmT0_T1_T2_T3_T4_T5_mmT6_P12ihipStream_tbEUlT_E_NS1_11comp_targetILNS1_3genE2ELNS1_11target_archE906ELNS1_3gpuE6ELNS1_3repE0EEENS1_30default_config_static_selectorELNS0_4arch9wavefront6targetE0EEEvS10_, .Lfunc_end284-_ZN7rocprim17ROCPRIM_400000_NS6detail17trampoline_kernelINS0_14default_configENS1_21merge_config_selectorINS0_5tupleIJssEEENS0_10empty_typeEEEZNS1_10merge_implIS3_NS0_12zip_iteratorINS5_IJN6thrust23THRUST_200600_302600_NS6detail15normal_iteratorINSC_10device_ptrIKsEEEESI_EEEEESK_NSA_INS5_IJNSE_INSF_IsEEEESM_EEEEEPS7_SP_SP_NSC_11hip_rocprim7__merge17predicate_wrapperIssNSC_4lessIsEEEEEE10hipError_tPvRmT0_T1_T2_T3_T4_T5_mmT6_P12ihipStream_tbEUlT_E_NS1_11comp_targetILNS1_3genE2ELNS1_11target_archE906ELNS1_3gpuE6ELNS1_3repE0EEENS1_30default_config_static_selectorELNS0_4arch9wavefront6targetE0EEEvS10_
                                        ; -- End function
	.set _ZN7rocprim17ROCPRIM_400000_NS6detail17trampoline_kernelINS0_14default_configENS1_21merge_config_selectorINS0_5tupleIJssEEENS0_10empty_typeEEEZNS1_10merge_implIS3_NS0_12zip_iteratorINS5_IJN6thrust23THRUST_200600_302600_NS6detail15normal_iteratorINSC_10device_ptrIKsEEEESI_EEEEESK_NSA_INS5_IJNSE_INSF_IsEEEESM_EEEEEPS7_SP_SP_NSC_11hip_rocprim7__merge17predicate_wrapperIssNSC_4lessIsEEEEEE10hipError_tPvRmT0_T1_T2_T3_T4_T5_mmT6_P12ihipStream_tbEUlT_E_NS1_11comp_targetILNS1_3genE2ELNS1_11target_archE906ELNS1_3gpuE6ELNS1_3repE0EEENS1_30default_config_static_selectorELNS0_4arch9wavefront6targetE0EEEvS10_.num_vgpr, 0
	.set _ZN7rocprim17ROCPRIM_400000_NS6detail17trampoline_kernelINS0_14default_configENS1_21merge_config_selectorINS0_5tupleIJssEEENS0_10empty_typeEEEZNS1_10merge_implIS3_NS0_12zip_iteratorINS5_IJN6thrust23THRUST_200600_302600_NS6detail15normal_iteratorINSC_10device_ptrIKsEEEESI_EEEEESK_NSA_INS5_IJNSE_INSF_IsEEEESM_EEEEEPS7_SP_SP_NSC_11hip_rocprim7__merge17predicate_wrapperIssNSC_4lessIsEEEEEE10hipError_tPvRmT0_T1_T2_T3_T4_T5_mmT6_P12ihipStream_tbEUlT_E_NS1_11comp_targetILNS1_3genE2ELNS1_11target_archE906ELNS1_3gpuE6ELNS1_3repE0EEENS1_30default_config_static_selectorELNS0_4arch9wavefront6targetE0EEEvS10_.num_agpr, 0
	.set _ZN7rocprim17ROCPRIM_400000_NS6detail17trampoline_kernelINS0_14default_configENS1_21merge_config_selectorINS0_5tupleIJssEEENS0_10empty_typeEEEZNS1_10merge_implIS3_NS0_12zip_iteratorINS5_IJN6thrust23THRUST_200600_302600_NS6detail15normal_iteratorINSC_10device_ptrIKsEEEESI_EEEEESK_NSA_INS5_IJNSE_INSF_IsEEEESM_EEEEEPS7_SP_SP_NSC_11hip_rocprim7__merge17predicate_wrapperIssNSC_4lessIsEEEEEE10hipError_tPvRmT0_T1_T2_T3_T4_T5_mmT6_P12ihipStream_tbEUlT_E_NS1_11comp_targetILNS1_3genE2ELNS1_11target_archE906ELNS1_3gpuE6ELNS1_3repE0EEENS1_30default_config_static_selectorELNS0_4arch9wavefront6targetE0EEEvS10_.numbered_sgpr, 0
	.set _ZN7rocprim17ROCPRIM_400000_NS6detail17trampoline_kernelINS0_14default_configENS1_21merge_config_selectorINS0_5tupleIJssEEENS0_10empty_typeEEEZNS1_10merge_implIS3_NS0_12zip_iteratorINS5_IJN6thrust23THRUST_200600_302600_NS6detail15normal_iteratorINSC_10device_ptrIKsEEEESI_EEEEESK_NSA_INS5_IJNSE_INSF_IsEEEESM_EEEEEPS7_SP_SP_NSC_11hip_rocprim7__merge17predicate_wrapperIssNSC_4lessIsEEEEEE10hipError_tPvRmT0_T1_T2_T3_T4_T5_mmT6_P12ihipStream_tbEUlT_E_NS1_11comp_targetILNS1_3genE2ELNS1_11target_archE906ELNS1_3gpuE6ELNS1_3repE0EEENS1_30default_config_static_selectorELNS0_4arch9wavefront6targetE0EEEvS10_.num_named_barrier, 0
	.set _ZN7rocprim17ROCPRIM_400000_NS6detail17trampoline_kernelINS0_14default_configENS1_21merge_config_selectorINS0_5tupleIJssEEENS0_10empty_typeEEEZNS1_10merge_implIS3_NS0_12zip_iteratorINS5_IJN6thrust23THRUST_200600_302600_NS6detail15normal_iteratorINSC_10device_ptrIKsEEEESI_EEEEESK_NSA_INS5_IJNSE_INSF_IsEEEESM_EEEEEPS7_SP_SP_NSC_11hip_rocprim7__merge17predicate_wrapperIssNSC_4lessIsEEEEEE10hipError_tPvRmT0_T1_T2_T3_T4_T5_mmT6_P12ihipStream_tbEUlT_E_NS1_11comp_targetILNS1_3genE2ELNS1_11target_archE906ELNS1_3gpuE6ELNS1_3repE0EEENS1_30default_config_static_selectorELNS0_4arch9wavefront6targetE0EEEvS10_.private_seg_size, 0
	.set _ZN7rocprim17ROCPRIM_400000_NS6detail17trampoline_kernelINS0_14default_configENS1_21merge_config_selectorINS0_5tupleIJssEEENS0_10empty_typeEEEZNS1_10merge_implIS3_NS0_12zip_iteratorINS5_IJN6thrust23THRUST_200600_302600_NS6detail15normal_iteratorINSC_10device_ptrIKsEEEESI_EEEEESK_NSA_INS5_IJNSE_INSF_IsEEEESM_EEEEEPS7_SP_SP_NSC_11hip_rocprim7__merge17predicate_wrapperIssNSC_4lessIsEEEEEE10hipError_tPvRmT0_T1_T2_T3_T4_T5_mmT6_P12ihipStream_tbEUlT_E_NS1_11comp_targetILNS1_3genE2ELNS1_11target_archE906ELNS1_3gpuE6ELNS1_3repE0EEENS1_30default_config_static_selectorELNS0_4arch9wavefront6targetE0EEEvS10_.uses_vcc, 0
	.set _ZN7rocprim17ROCPRIM_400000_NS6detail17trampoline_kernelINS0_14default_configENS1_21merge_config_selectorINS0_5tupleIJssEEENS0_10empty_typeEEEZNS1_10merge_implIS3_NS0_12zip_iteratorINS5_IJN6thrust23THRUST_200600_302600_NS6detail15normal_iteratorINSC_10device_ptrIKsEEEESI_EEEEESK_NSA_INS5_IJNSE_INSF_IsEEEESM_EEEEEPS7_SP_SP_NSC_11hip_rocprim7__merge17predicate_wrapperIssNSC_4lessIsEEEEEE10hipError_tPvRmT0_T1_T2_T3_T4_T5_mmT6_P12ihipStream_tbEUlT_E_NS1_11comp_targetILNS1_3genE2ELNS1_11target_archE906ELNS1_3gpuE6ELNS1_3repE0EEENS1_30default_config_static_selectorELNS0_4arch9wavefront6targetE0EEEvS10_.uses_flat_scratch, 0
	.set _ZN7rocprim17ROCPRIM_400000_NS6detail17trampoline_kernelINS0_14default_configENS1_21merge_config_selectorINS0_5tupleIJssEEENS0_10empty_typeEEEZNS1_10merge_implIS3_NS0_12zip_iteratorINS5_IJN6thrust23THRUST_200600_302600_NS6detail15normal_iteratorINSC_10device_ptrIKsEEEESI_EEEEESK_NSA_INS5_IJNSE_INSF_IsEEEESM_EEEEEPS7_SP_SP_NSC_11hip_rocprim7__merge17predicate_wrapperIssNSC_4lessIsEEEEEE10hipError_tPvRmT0_T1_T2_T3_T4_T5_mmT6_P12ihipStream_tbEUlT_E_NS1_11comp_targetILNS1_3genE2ELNS1_11target_archE906ELNS1_3gpuE6ELNS1_3repE0EEENS1_30default_config_static_selectorELNS0_4arch9wavefront6targetE0EEEvS10_.has_dyn_sized_stack, 0
	.set _ZN7rocprim17ROCPRIM_400000_NS6detail17trampoline_kernelINS0_14default_configENS1_21merge_config_selectorINS0_5tupleIJssEEENS0_10empty_typeEEEZNS1_10merge_implIS3_NS0_12zip_iteratorINS5_IJN6thrust23THRUST_200600_302600_NS6detail15normal_iteratorINSC_10device_ptrIKsEEEESI_EEEEESK_NSA_INS5_IJNSE_INSF_IsEEEESM_EEEEEPS7_SP_SP_NSC_11hip_rocprim7__merge17predicate_wrapperIssNSC_4lessIsEEEEEE10hipError_tPvRmT0_T1_T2_T3_T4_T5_mmT6_P12ihipStream_tbEUlT_E_NS1_11comp_targetILNS1_3genE2ELNS1_11target_archE906ELNS1_3gpuE6ELNS1_3repE0EEENS1_30default_config_static_selectorELNS0_4arch9wavefront6targetE0EEEvS10_.has_recursion, 0
	.set _ZN7rocprim17ROCPRIM_400000_NS6detail17trampoline_kernelINS0_14default_configENS1_21merge_config_selectorINS0_5tupleIJssEEENS0_10empty_typeEEEZNS1_10merge_implIS3_NS0_12zip_iteratorINS5_IJN6thrust23THRUST_200600_302600_NS6detail15normal_iteratorINSC_10device_ptrIKsEEEESI_EEEEESK_NSA_INS5_IJNSE_INSF_IsEEEESM_EEEEEPS7_SP_SP_NSC_11hip_rocprim7__merge17predicate_wrapperIssNSC_4lessIsEEEEEE10hipError_tPvRmT0_T1_T2_T3_T4_T5_mmT6_P12ihipStream_tbEUlT_E_NS1_11comp_targetILNS1_3genE2ELNS1_11target_archE906ELNS1_3gpuE6ELNS1_3repE0EEENS1_30default_config_static_selectorELNS0_4arch9wavefront6targetE0EEEvS10_.has_indirect_call, 0
	.section	.AMDGPU.csdata,"",@progbits
; Kernel info:
; codeLenInByte = 0
; TotalNumSgprs: 0
; NumVgprs: 0
; ScratchSize: 0
; MemoryBound: 0
; FloatMode: 240
; IeeeMode: 1
; LDSByteSize: 0 bytes/workgroup (compile time only)
; SGPRBlocks: 0
; VGPRBlocks: 0
; NumSGPRsForWavesPerEU: 1
; NumVGPRsForWavesPerEU: 1
; NamedBarCnt: 0
; Occupancy: 16
; WaveLimiterHint : 0
; COMPUTE_PGM_RSRC2:SCRATCH_EN: 0
; COMPUTE_PGM_RSRC2:USER_SGPR: 2
; COMPUTE_PGM_RSRC2:TRAP_HANDLER: 0
; COMPUTE_PGM_RSRC2:TGID_X_EN: 1
; COMPUTE_PGM_RSRC2:TGID_Y_EN: 0
; COMPUTE_PGM_RSRC2:TGID_Z_EN: 0
; COMPUTE_PGM_RSRC2:TIDIG_COMP_CNT: 0
	.section	.text._ZN7rocprim17ROCPRIM_400000_NS6detail17trampoline_kernelINS0_14default_configENS1_21merge_config_selectorINS0_5tupleIJssEEENS0_10empty_typeEEEZNS1_10merge_implIS3_NS0_12zip_iteratorINS5_IJN6thrust23THRUST_200600_302600_NS6detail15normal_iteratorINSC_10device_ptrIKsEEEESI_EEEEESK_NSA_INS5_IJNSE_INSF_IsEEEESM_EEEEEPS7_SP_SP_NSC_11hip_rocprim7__merge17predicate_wrapperIssNSC_4lessIsEEEEEE10hipError_tPvRmT0_T1_T2_T3_T4_T5_mmT6_P12ihipStream_tbEUlT_E_NS1_11comp_targetILNS1_3genE10ELNS1_11target_archE1201ELNS1_3gpuE5ELNS1_3repE0EEENS1_30default_config_static_selectorELNS0_4arch9wavefront6targetE0EEEvS10_,"axG",@progbits,_ZN7rocprim17ROCPRIM_400000_NS6detail17trampoline_kernelINS0_14default_configENS1_21merge_config_selectorINS0_5tupleIJssEEENS0_10empty_typeEEEZNS1_10merge_implIS3_NS0_12zip_iteratorINS5_IJN6thrust23THRUST_200600_302600_NS6detail15normal_iteratorINSC_10device_ptrIKsEEEESI_EEEEESK_NSA_INS5_IJNSE_INSF_IsEEEESM_EEEEEPS7_SP_SP_NSC_11hip_rocprim7__merge17predicate_wrapperIssNSC_4lessIsEEEEEE10hipError_tPvRmT0_T1_T2_T3_T4_T5_mmT6_P12ihipStream_tbEUlT_E_NS1_11comp_targetILNS1_3genE10ELNS1_11target_archE1201ELNS1_3gpuE5ELNS1_3repE0EEENS1_30default_config_static_selectorELNS0_4arch9wavefront6targetE0EEEvS10_,comdat
	.protected	_ZN7rocprim17ROCPRIM_400000_NS6detail17trampoline_kernelINS0_14default_configENS1_21merge_config_selectorINS0_5tupleIJssEEENS0_10empty_typeEEEZNS1_10merge_implIS3_NS0_12zip_iteratorINS5_IJN6thrust23THRUST_200600_302600_NS6detail15normal_iteratorINSC_10device_ptrIKsEEEESI_EEEEESK_NSA_INS5_IJNSE_INSF_IsEEEESM_EEEEEPS7_SP_SP_NSC_11hip_rocprim7__merge17predicate_wrapperIssNSC_4lessIsEEEEEE10hipError_tPvRmT0_T1_T2_T3_T4_T5_mmT6_P12ihipStream_tbEUlT_E_NS1_11comp_targetILNS1_3genE10ELNS1_11target_archE1201ELNS1_3gpuE5ELNS1_3repE0EEENS1_30default_config_static_selectorELNS0_4arch9wavefront6targetE0EEEvS10_ ; -- Begin function _ZN7rocprim17ROCPRIM_400000_NS6detail17trampoline_kernelINS0_14default_configENS1_21merge_config_selectorINS0_5tupleIJssEEENS0_10empty_typeEEEZNS1_10merge_implIS3_NS0_12zip_iteratorINS5_IJN6thrust23THRUST_200600_302600_NS6detail15normal_iteratorINSC_10device_ptrIKsEEEESI_EEEEESK_NSA_INS5_IJNSE_INSF_IsEEEESM_EEEEEPS7_SP_SP_NSC_11hip_rocprim7__merge17predicate_wrapperIssNSC_4lessIsEEEEEE10hipError_tPvRmT0_T1_T2_T3_T4_T5_mmT6_P12ihipStream_tbEUlT_E_NS1_11comp_targetILNS1_3genE10ELNS1_11target_archE1201ELNS1_3gpuE5ELNS1_3repE0EEENS1_30default_config_static_selectorELNS0_4arch9wavefront6targetE0EEEvS10_
	.globl	_ZN7rocprim17ROCPRIM_400000_NS6detail17trampoline_kernelINS0_14default_configENS1_21merge_config_selectorINS0_5tupleIJssEEENS0_10empty_typeEEEZNS1_10merge_implIS3_NS0_12zip_iteratorINS5_IJN6thrust23THRUST_200600_302600_NS6detail15normal_iteratorINSC_10device_ptrIKsEEEESI_EEEEESK_NSA_INS5_IJNSE_INSF_IsEEEESM_EEEEEPS7_SP_SP_NSC_11hip_rocprim7__merge17predicate_wrapperIssNSC_4lessIsEEEEEE10hipError_tPvRmT0_T1_T2_T3_T4_T5_mmT6_P12ihipStream_tbEUlT_E_NS1_11comp_targetILNS1_3genE10ELNS1_11target_archE1201ELNS1_3gpuE5ELNS1_3repE0EEENS1_30default_config_static_selectorELNS0_4arch9wavefront6targetE0EEEvS10_
	.p2align	8
	.type	_ZN7rocprim17ROCPRIM_400000_NS6detail17trampoline_kernelINS0_14default_configENS1_21merge_config_selectorINS0_5tupleIJssEEENS0_10empty_typeEEEZNS1_10merge_implIS3_NS0_12zip_iteratorINS5_IJN6thrust23THRUST_200600_302600_NS6detail15normal_iteratorINSC_10device_ptrIKsEEEESI_EEEEESK_NSA_INS5_IJNSE_INSF_IsEEEESM_EEEEEPS7_SP_SP_NSC_11hip_rocprim7__merge17predicate_wrapperIssNSC_4lessIsEEEEEE10hipError_tPvRmT0_T1_T2_T3_T4_T5_mmT6_P12ihipStream_tbEUlT_E_NS1_11comp_targetILNS1_3genE10ELNS1_11target_archE1201ELNS1_3gpuE5ELNS1_3repE0EEENS1_30default_config_static_selectorELNS0_4arch9wavefront6targetE0EEEvS10_,@function
_ZN7rocprim17ROCPRIM_400000_NS6detail17trampoline_kernelINS0_14default_configENS1_21merge_config_selectorINS0_5tupleIJssEEENS0_10empty_typeEEEZNS1_10merge_implIS3_NS0_12zip_iteratorINS5_IJN6thrust23THRUST_200600_302600_NS6detail15normal_iteratorINSC_10device_ptrIKsEEEESI_EEEEESK_NSA_INS5_IJNSE_INSF_IsEEEESM_EEEEEPS7_SP_SP_NSC_11hip_rocprim7__merge17predicate_wrapperIssNSC_4lessIsEEEEEE10hipError_tPvRmT0_T1_T2_T3_T4_T5_mmT6_P12ihipStream_tbEUlT_E_NS1_11comp_targetILNS1_3genE10ELNS1_11target_archE1201ELNS1_3gpuE5ELNS1_3repE0EEENS1_30default_config_static_selectorELNS0_4arch9wavefront6targetE0EEEvS10_: ; @_ZN7rocprim17ROCPRIM_400000_NS6detail17trampoline_kernelINS0_14default_configENS1_21merge_config_selectorINS0_5tupleIJssEEENS0_10empty_typeEEEZNS1_10merge_implIS3_NS0_12zip_iteratorINS5_IJN6thrust23THRUST_200600_302600_NS6detail15normal_iteratorINSC_10device_ptrIKsEEEESI_EEEEESK_NSA_INS5_IJNSE_INSF_IsEEEESM_EEEEEPS7_SP_SP_NSC_11hip_rocprim7__merge17predicate_wrapperIssNSC_4lessIsEEEEEE10hipError_tPvRmT0_T1_T2_T3_T4_T5_mmT6_P12ihipStream_tbEUlT_E_NS1_11comp_targetILNS1_3genE10ELNS1_11target_archE1201ELNS1_3gpuE5ELNS1_3repE0EEENS1_30default_config_static_selectorELNS0_4arch9wavefront6targetE0EEEvS10_
; %bb.0:
	.section	.rodata,"a",@progbits
	.p2align	6, 0x0
	.amdhsa_kernel _ZN7rocprim17ROCPRIM_400000_NS6detail17trampoline_kernelINS0_14default_configENS1_21merge_config_selectorINS0_5tupleIJssEEENS0_10empty_typeEEEZNS1_10merge_implIS3_NS0_12zip_iteratorINS5_IJN6thrust23THRUST_200600_302600_NS6detail15normal_iteratorINSC_10device_ptrIKsEEEESI_EEEEESK_NSA_INS5_IJNSE_INSF_IsEEEESM_EEEEEPS7_SP_SP_NSC_11hip_rocprim7__merge17predicate_wrapperIssNSC_4lessIsEEEEEE10hipError_tPvRmT0_T1_T2_T3_T4_T5_mmT6_P12ihipStream_tbEUlT_E_NS1_11comp_targetILNS1_3genE10ELNS1_11target_archE1201ELNS1_3gpuE5ELNS1_3repE0EEENS1_30default_config_static_selectorELNS0_4arch9wavefront6targetE0EEEvS10_
		.amdhsa_group_segment_fixed_size 0
		.amdhsa_private_segment_fixed_size 0
		.amdhsa_kernarg_size 64
		.amdhsa_user_sgpr_count 2
		.amdhsa_user_sgpr_dispatch_ptr 0
		.amdhsa_user_sgpr_queue_ptr 0
		.amdhsa_user_sgpr_kernarg_segment_ptr 1
		.amdhsa_user_sgpr_dispatch_id 0
		.amdhsa_user_sgpr_kernarg_preload_length 0
		.amdhsa_user_sgpr_kernarg_preload_offset 0
		.amdhsa_user_sgpr_private_segment_size 0
		.amdhsa_wavefront_size32 1
		.amdhsa_uses_dynamic_stack 0
		.amdhsa_enable_private_segment 0
		.amdhsa_system_sgpr_workgroup_id_x 1
		.amdhsa_system_sgpr_workgroup_id_y 0
		.amdhsa_system_sgpr_workgroup_id_z 0
		.amdhsa_system_sgpr_workgroup_info 0
		.amdhsa_system_vgpr_workitem_id 0
		.amdhsa_next_free_vgpr 1
		.amdhsa_next_free_sgpr 1
		.amdhsa_named_barrier_count 0
		.amdhsa_reserve_vcc 0
		.amdhsa_float_round_mode_32 0
		.amdhsa_float_round_mode_16_64 0
		.amdhsa_float_denorm_mode_32 3
		.amdhsa_float_denorm_mode_16_64 3
		.amdhsa_fp16_overflow 0
		.amdhsa_memory_ordered 1
		.amdhsa_forward_progress 1
		.amdhsa_inst_pref_size 0
		.amdhsa_round_robin_scheduling 0
		.amdhsa_exception_fp_ieee_invalid_op 0
		.amdhsa_exception_fp_denorm_src 0
		.amdhsa_exception_fp_ieee_div_zero 0
		.amdhsa_exception_fp_ieee_overflow 0
		.amdhsa_exception_fp_ieee_underflow 0
		.amdhsa_exception_fp_ieee_inexact 0
		.amdhsa_exception_int_div_zero 0
	.end_amdhsa_kernel
	.section	.text._ZN7rocprim17ROCPRIM_400000_NS6detail17trampoline_kernelINS0_14default_configENS1_21merge_config_selectorINS0_5tupleIJssEEENS0_10empty_typeEEEZNS1_10merge_implIS3_NS0_12zip_iteratorINS5_IJN6thrust23THRUST_200600_302600_NS6detail15normal_iteratorINSC_10device_ptrIKsEEEESI_EEEEESK_NSA_INS5_IJNSE_INSF_IsEEEESM_EEEEEPS7_SP_SP_NSC_11hip_rocprim7__merge17predicate_wrapperIssNSC_4lessIsEEEEEE10hipError_tPvRmT0_T1_T2_T3_T4_T5_mmT6_P12ihipStream_tbEUlT_E_NS1_11comp_targetILNS1_3genE10ELNS1_11target_archE1201ELNS1_3gpuE5ELNS1_3repE0EEENS1_30default_config_static_selectorELNS0_4arch9wavefront6targetE0EEEvS10_,"axG",@progbits,_ZN7rocprim17ROCPRIM_400000_NS6detail17trampoline_kernelINS0_14default_configENS1_21merge_config_selectorINS0_5tupleIJssEEENS0_10empty_typeEEEZNS1_10merge_implIS3_NS0_12zip_iteratorINS5_IJN6thrust23THRUST_200600_302600_NS6detail15normal_iteratorINSC_10device_ptrIKsEEEESI_EEEEESK_NSA_INS5_IJNSE_INSF_IsEEEESM_EEEEEPS7_SP_SP_NSC_11hip_rocprim7__merge17predicate_wrapperIssNSC_4lessIsEEEEEE10hipError_tPvRmT0_T1_T2_T3_T4_T5_mmT6_P12ihipStream_tbEUlT_E_NS1_11comp_targetILNS1_3genE10ELNS1_11target_archE1201ELNS1_3gpuE5ELNS1_3repE0EEENS1_30default_config_static_selectorELNS0_4arch9wavefront6targetE0EEEvS10_,comdat
.Lfunc_end285:
	.size	_ZN7rocprim17ROCPRIM_400000_NS6detail17trampoline_kernelINS0_14default_configENS1_21merge_config_selectorINS0_5tupleIJssEEENS0_10empty_typeEEEZNS1_10merge_implIS3_NS0_12zip_iteratorINS5_IJN6thrust23THRUST_200600_302600_NS6detail15normal_iteratorINSC_10device_ptrIKsEEEESI_EEEEESK_NSA_INS5_IJNSE_INSF_IsEEEESM_EEEEEPS7_SP_SP_NSC_11hip_rocprim7__merge17predicate_wrapperIssNSC_4lessIsEEEEEE10hipError_tPvRmT0_T1_T2_T3_T4_T5_mmT6_P12ihipStream_tbEUlT_E_NS1_11comp_targetILNS1_3genE10ELNS1_11target_archE1201ELNS1_3gpuE5ELNS1_3repE0EEENS1_30default_config_static_selectorELNS0_4arch9wavefront6targetE0EEEvS10_, .Lfunc_end285-_ZN7rocprim17ROCPRIM_400000_NS6detail17trampoline_kernelINS0_14default_configENS1_21merge_config_selectorINS0_5tupleIJssEEENS0_10empty_typeEEEZNS1_10merge_implIS3_NS0_12zip_iteratorINS5_IJN6thrust23THRUST_200600_302600_NS6detail15normal_iteratorINSC_10device_ptrIKsEEEESI_EEEEESK_NSA_INS5_IJNSE_INSF_IsEEEESM_EEEEEPS7_SP_SP_NSC_11hip_rocprim7__merge17predicate_wrapperIssNSC_4lessIsEEEEEE10hipError_tPvRmT0_T1_T2_T3_T4_T5_mmT6_P12ihipStream_tbEUlT_E_NS1_11comp_targetILNS1_3genE10ELNS1_11target_archE1201ELNS1_3gpuE5ELNS1_3repE0EEENS1_30default_config_static_selectorELNS0_4arch9wavefront6targetE0EEEvS10_
                                        ; -- End function
	.set _ZN7rocprim17ROCPRIM_400000_NS6detail17trampoline_kernelINS0_14default_configENS1_21merge_config_selectorINS0_5tupleIJssEEENS0_10empty_typeEEEZNS1_10merge_implIS3_NS0_12zip_iteratorINS5_IJN6thrust23THRUST_200600_302600_NS6detail15normal_iteratorINSC_10device_ptrIKsEEEESI_EEEEESK_NSA_INS5_IJNSE_INSF_IsEEEESM_EEEEEPS7_SP_SP_NSC_11hip_rocprim7__merge17predicate_wrapperIssNSC_4lessIsEEEEEE10hipError_tPvRmT0_T1_T2_T3_T4_T5_mmT6_P12ihipStream_tbEUlT_E_NS1_11comp_targetILNS1_3genE10ELNS1_11target_archE1201ELNS1_3gpuE5ELNS1_3repE0EEENS1_30default_config_static_selectorELNS0_4arch9wavefront6targetE0EEEvS10_.num_vgpr, 0
	.set _ZN7rocprim17ROCPRIM_400000_NS6detail17trampoline_kernelINS0_14default_configENS1_21merge_config_selectorINS0_5tupleIJssEEENS0_10empty_typeEEEZNS1_10merge_implIS3_NS0_12zip_iteratorINS5_IJN6thrust23THRUST_200600_302600_NS6detail15normal_iteratorINSC_10device_ptrIKsEEEESI_EEEEESK_NSA_INS5_IJNSE_INSF_IsEEEESM_EEEEEPS7_SP_SP_NSC_11hip_rocprim7__merge17predicate_wrapperIssNSC_4lessIsEEEEEE10hipError_tPvRmT0_T1_T2_T3_T4_T5_mmT6_P12ihipStream_tbEUlT_E_NS1_11comp_targetILNS1_3genE10ELNS1_11target_archE1201ELNS1_3gpuE5ELNS1_3repE0EEENS1_30default_config_static_selectorELNS0_4arch9wavefront6targetE0EEEvS10_.num_agpr, 0
	.set _ZN7rocprim17ROCPRIM_400000_NS6detail17trampoline_kernelINS0_14default_configENS1_21merge_config_selectorINS0_5tupleIJssEEENS0_10empty_typeEEEZNS1_10merge_implIS3_NS0_12zip_iteratorINS5_IJN6thrust23THRUST_200600_302600_NS6detail15normal_iteratorINSC_10device_ptrIKsEEEESI_EEEEESK_NSA_INS5_IJNSE_INSF_IsEEEESM_EEEEEPS7_SP_SP_NSC_11hip_rocprim7__merge17predicate_wrapperIssNSC_4lessIsEEEEEE10hipError_tPvRmT0_T1_T2_T3_T4_T5_mmT6_P12ihipStream_tbEUlT_E_NS1_11comp_targetILNS1_3genE10ELNS1_11target_archE1201ELNS1_3gpuE5ELNS1_3repE0EEENS1_30default_config_static_selectorELNS0_4arch9wavefront6targetE0EEEvS10_.numbered_sgpr, 0
	.set _ZN7rocprim17ROCPRIM_400000_NS6detail17trampoline_kernelINS0_14default_configENS1_21merge_config_selectorINS0_5tupleIJssEEENS0_10empty_typeEEEZNS1_10merge_implIS3_NS0_12zip_iteratorINS5_IJN6thrust23THRUST_200600_302600_NS6detail15normal_iteratorINSC_10device_ptrIKsEEEESI_EEEEESK_NSA_INS5_IJNSE_INSF_IsEEEESM_EEEEEPS7_SP_SP_NSC_11hip_rocprim7__merge17predicate_wrapperIssNSC_4lessIsEEEEEE10hipError_tPvRmT0_T1_T2_T3_T4_T5_mmT6_P12ihipStream_tbEUlT_E_NS1_11comp_targetILNS1_3genE10ELNS1_11target_archE1201ELNS1_3gpuE5ELNS1_3repE0EEENS1_30default_config_static_selectorELNS0_4arch9wavefront6targetE0EEEvS10_.num_named_barrier, 0
	.set _ZN7rocprim17ROCPRIM_400000_NS6detail17trampoline_kernelINS0_14default_configENS1_21merge_config_selectorINS0_5tupleIJssEEENS0_10empty_typeEEEZNS1_10merge_implIS3_NS0_12zip_iteratorINS5_IJN6thrust23THRUST_200600_302600_NS6detail15normal_iteratorINSC_10device_ptrIKsEEEESI_EEEEESK_NSA_INS5_IJNSE_INSF_IsEEEESM_EEEEEPS7_SP_SP_NSC_11hip_rocprim7__merge17predicate_wrapperIssNSC_4lessIsEEEEEE10hipError_tPvRmT0_T1_T2_T3_T4_T5_mmT6_P12ihipStream_tbEUlT_E_NS1_11comp_targetILNS1_3genE10ELNS1_11target_archE1201ELNS1_3gpuE5ELNS1_3repE0EEENS1_30default_config_static_selectorELNS0_4arch9wavefront6targetE0EEEvS10_.private_seg_size, 0
	.set _ZN7rocprim17ROCPRIM_400000_NS6detail17trampoline_kernelINS0_14default_configENS1_21merge_config_selectorINS0_5tupleIJssEEENS0_10empty_typeEEEZNS1_10merge_implIS3_NS0_12zip_iteratorINS5_IJN6thrust23THRUST_200600_302600_NS6detail15normal_iteratorINSC_10device_ptrIKsEEEESI_EEEEESK_NSA_INS5_IJNSE_INSF_IsEEEESM_EEEEEPS7_SP_SP_NSC_11hip_rocprim7__merge17predicate_wrapperIssNSC_4lessIsEEEEEE10hipError_tPvRmT0_T1_T2_T3_T4_T5_mmT6_P12ihipStream_tbEUlT_E_NS1_11comp_targetILNS1_3genE10ELNS1_11target_archE1201ELNS1_3gpuE5ELNS1_3repE0EEENS1_30default_config_static_selectorELNS0_4arch9wavefront6targetE0EEEvS10_.uses_vcc, 0
	.set _ZN7rocprim17ROCPRIM_400000_NS6detail17trampoline_kernelINS0_14default_configENS1_21merge_config_selectorINS0_5tupleIJssEEENS0_10empty_typeEEEZNS1_10merge_implIS3_NS0_12zip_iteratorINS5_IJN6thrust23THRUST_200600_302600_NS6detail15normal_iteratorINSC_10device_ptrIKsEEEESI_EEEEESK_NSA_INS5_IJNSE_INSF_IsEEEESM_EEEEEPS7_SP_SP_NSC_11hip_rocprim7__merge17predicate_wrapperIssNSC_4lessIsEEEEEE10hipError_tPvRmT0_T1_T2_T3_T4_T5_mmT6_P12ihipStream_tbEUlT_E_NS1_11comp_targetILNS1_3genE10ELNS1_11target_archE1201ELNS1_3gpuE5ELNS1_3repE0EEENS1_30default_config_static_selectorELNS0_4arch9wavefront6targetE0EEEvS10_.uses_flat_scratch, 0
	.set _ZN7rocprim17ROCPRIM_400000_NS6detail17trampoline_kernelINS0_14default_configENS1_21merge_config_selectorINS0_5tupleIJssEEENS0_10empty_typeEEEZNS1_10merge_implIS3_NS0_12zip_iteratorINS5_IJN6thrust23THRUST_200600_302600_NS6detail15normal_iteratorINSC_10device_ptrIKsEEEESI_EEEEESK_NSA_INS5_IJNSE_INSF_IsEEEESM_EEEEEPS7_SP_SP_NSC_11hip_rocprim7__merge17predicate_wrapperIssNSC_4lessIsEEEEEE10hipError_tPvRmT0_T1_T2_T3_T4_T5_mmT6_P12ihipStream_tbEUlT_E_NS1_11comp_targetILNS1_3genE10ELNS1_11target_archE1201ELNS1_3gpuE5ELNS1_3repE0EEENS1_30default_config_static_selectorELNS0_4arch9wavefront6targetE0EEEvS10_.has_dyn_sized_stack, 0
	.set _ZN7rocprim17ROCPRIM_400000_NS6detail17trampoline_kernelINS0_14default_configENS1_21merge_config_selectorINS0_5tupleIJssEEENS0_10empty_typeEEEZNS1_10merge_implIS3_NS0_12zip_iteratorINS5_IJN6thrust23THRUST_200600_302600_NS6detail15normal_iteratorINSC_10device_ptrIKsEEEESI_EEEEESK_NSA_INS5_IJNSE_INSF_IsEEEESM_EEEEEPS7_SP_SP_NSC_11hip_rocprim7__merge17predicate_wrapperIssNSC_4lessIsEEEEEE10hipError_tPvRmT0_T1_T2_T3_T4_T5_mmT6_P12ihipStream_tbEUlT_E_NS1_11comp_targetILNS1_3genE10ELNS1_11target_archE1201ELNS1_3gpuE5ELNS1_3repE0EEENS1_30default_config_static_selectorELNS0_4arch9wavefront6targetE0EEEvS10_.has_recursion, 0
	.set _ZN7rocprim17ROCPRIM_400000_NS6detail17trampoline_kernelINS0_14default_configENS1_21merge_config_selectorINS0_5tupleIJssEEENS0_10empty_typeEEEZNS1_10merge_implIS3_NS0_12zip_iteratorINS5_IJN6thrust23THRUST_200600_302600_NS6detail15normal_iteratorINSC_10device_ptrIKsEEEESI_EEEEESK_NSA_INS5_IJNSE_INSF_IsEEEESM_EEEEEPS7_SP_SP_NSC_11hip_rocprim7__merge17predicate_wrapperIssNSC_4lessIsEEEEEE10hipError_tPvRmT0_T1_T2_T3_T4_T5_mmT6_P12ihipStream_tbEUlT_E_NS1_11comp_targetILNS1_3genE10ELNS1_11target_archE1201ELNS1_3gpuE5ELNS1_3repE0EEENS1_30default_config_static_selectorELNS0_4arch9wavefront6targetE0EEEvS10_.has_indirect_call, 0
	.section	.AMDGPU.csdata,"",@progbits
; Kernel info:
; codeLenInByte = 0
; TotalNumSgprs: 0
; NumVgprs: 0
; ScratchSize: 0
; MemoryBound: 0
; FloatMode: 240
; IeeeMode: 1
; LDSByteSize: 0 bytes/workgroup (compile time only)
; SGPRBlocks: 0
; VGPRBlocks: 0
; NumSGPRsForWavesPerEU: 1
; NumVGPRsForWavesPerEU: 1
; NamedBarCnt: 0
; Occupancy: 16
; WaveLimiterHint : 0
; COMPUTE_PGM_RSRC2:SCRATCH_EN: 0
; COMPUTE_PGM_RSRC2:USER_SGPR: 2
; COMPUTE_PGM_RSRC2:TRAP_HANDLER: 0
; COMPUTE_PGM_RSRC2:TGID_X_EN: 1
; COMPUTE_PGM_RSRC2:TGID_Y_EN: 0
; COMPUTE_PGM_RSRC2:TGID_Z_EN: 0
; COMPUTE_PGM_RSRC2:TIDIG_COMP_CNT: 0
	.section	.text._ZN7rocprim17ROCPRIM_400000_NS6detail17trampoline_kernelINS0_14default_configENS1_21merge_config_selectorINS0_5tupleIJssEEENS0_10empty_typeEEEZNS1_10merge_implIS3_NS0_12zip_iteratorINS5_IJN6thrust23THRUST_200600_302600_NS6detail15normal_iteratorINSC_10device_ptrIKsEEEESI_EEEEESK_NSA_INS5_IJNSE_INSF_IsEEEESM_EEEEEPS7_SP_SP_NSC_11hip_rocprim7__merge17predicate_wrapperIssNSC_4lessIsEEEEEE10hipError_tPvRmT0_T1_T2_T3_T4_T5_mmT6_P12ihipStream_tbEUlT_E_NS1_11comp_targetILNS1_3genE10ELNS1_11target_archE1200ELNS1_3gpuE4ELNS1_3repE0EEENS1_30default_config_static_selectorELNS0_4arch9wavefront6targetE0EEEvS10_,"axG",@progbits,_ZN7rocprim17ROCPRIM_400000_NS6detail17trampoline_kernelINS0_14default_configENS1_21merge_config_selectorINS0_5tupleIJssEEENS0_10empty_typeEEEZNS1_10merge_implIS3_NS0_12zip_iteratorINS5_IJN6thrust23THRUST_200600_302600_NS6detail15normal_iteratorINSC_10device_ptrIKsEEEESI_EEEEESK_NSA_INS5_IJNSE_INSF_IsEEEESM_EEEEEPS7_SP_SP_NSC_11hip_rocprim7__merge17predicate_wrapperIssNSC_4lessIsEEEEEE10hipError_tPvRmT0_T1_T2_T3_T4_T5_mmT6_P12ihipStream_tbEUlT_E_NS1_11comp_targetILNS1_3genE10ELNS1_11target_archE1200ELNS1_3gpuE4ELNS1_3repE0EEENS1_30default_config_static_selectorELNS0_4arch9wavefront6targetE0EEEvS10_,comdat
	.protected	_ZN7rocprim17ROCPRIM_400000_NS6detail17trampoline_kernelINS0_14default_configENS1_21merge_config_selectorINS0_5tupleIJssEEENS0_10empty_typeEEEZNS1_10merge_implIS3_NS0_12zip_iteratorINS5_IJN6thrust23THRUST_200600_302600_NS6detail15normal_iteratorINSC_10device_ptrIKsEEEESI_EEEEESK_NSA_INS5_IJNSE_INSF_IsEEEESM_EEEEEPS7_SP_SP_NSC_11hip_rocprim7__merge17predicate_wrapperIssNSC_4lessIsEEEEEE10hipError_tPvRmT0_T1_T2_T3_T4_T5_mmT6_P12ihipStream_tbEUlT_E_NS1_11comp_targetILNS1_3genE10ELNS1_11target_archE1200ELNS1_3gpuE4ELNS1_3repE0EEENS1_30default_config_static_selectorELNS0_4arch9wavefront6targetE0EEEvS10_ ; -- Begin function _ZN7rocprim17ROCPRIM_400000_NS6detail17trampoline_kernelINS0_14default_configENS1_21merge_config_selectorINS0_5tupleIJssEEENS0_10empty_typeEEEZNS1_10merge_implIS3_NS0_12zip_iteratorINS5_IJN6thrust23THRUST_200600_302600_NS6detail15normal_iteratorINSC_10device_ptrIKsEEEESI_EEEEESK_NSA_INS5_IJNSE_INSF_IsEEEESM_EEEEEPS7_SP_SP_NSC_11hip_rocprim7__merge17predicate_wrapperIssNSC_4lessIsEEEEEE10hipError_tPvRmT0_T1_T2_T3_T4_T5_mmT6_P12ihipStream_tbEUlT_E_NS1_11comp_targetILNS1_3genE10ELNS1_11target_archE1200ELNS1_3gpuE4ELNS1_3repE0EEENS1_30default_config_static_selectorELNS0_4arch9wavefront6targetE0EEEvS10_
	.globl	_ZN7rocprim17ROCPRIM_400000_NS6detail17trampoline_kernelINS0_14default_configENS1_21merge_config_selectorINS0_5tupleIJssEEENS0_10empty_typeEEEZNS1_10merge_implIS3_NS0_12zip_iteratorINS5_IJN6thrust23THRUST_200600_302600_NS6detail15normal_iteratorINSC_10device_ptrIKsEEEESI_EEEEESK_NSA_INS5_IJNSE_INSF_IsEEEESM_EEEEEPS7_SP_SP_NSC_11hip_rocprim7__merge17predicate_wrapperIssNSC_4lessIsEEEEEE10hipError_tPvRmT0_T1_T2_T3_T4_T5_mmT6_P12ihipStream_tbEUlT_E_NS1_11comp_targetILNS1_3genE10ELNS1_11target_archE1200ELNS1_3gpuE4ELNS1_3repE0EEENS1_30default_config_static_selectorELNS0_4arch9wavefront6targetE0EEEvS10_
	.p2align	8
	.type	_ZN7rocprim17ROCPRIM_400000_NS6detail17trampoline_kernelINS0_14default_configENS1_21merge_config_selectorINS0_5tupleIJssEEENS0_10empty_typeEEEZNS1_10merge_implIS3_NS0_12zip_iteratorINS5_IJN6thrust23THRUST_200600_302600_NS6detail15normal_iteratorINSC_10device_ptrIKsEEEESI_EEEEESK_NSA_INS5_IJNSE_INSF_IsEEEESM_EEEEEPS7_SP_SP_NSC_11hip_rocprim7__merge17predicate_wrapperIssNSC_4lessIsEEEEEE10hipError_tPvRmT0_T1_T2_T3_T4_T5_mmT6_P12ihipStream_tbEUlT_E_NS1_11comp_targetILNS1_3genE10ELNS1_11target_archE1200ELNS1_3gpuE4ELNS1_3repE0EEENS1_30default_config_static_selectorELNS0_4arch9wavefront6targetE0EEEvS10_,@function
_ZN7rocprim17ROCPRIM_400000_NS6detail17trampoline_kernelINS0_14default_configENS1_21merge_config_selectorINS0_5tupleIJssEEENS0_10empty_typeEEEZNS1_10merge_implIS3_NS0_12zip_iteratorINS5_IJN6thrust23THRUST_200600_302600_NS6detail15normal_iteratorINSC_10device_ptrIKsEEEESI_EEEEESK_NSA_INS5_IJNSE_INSF_IsEEEESM_EEEEEPS7_SP_SP_NSC_11hip_rocprim7__merge17predicate_wrapperIssNSC_4lessIsEEEEEE10hipError_tPvRmT0_T1_T2_T3_T4_T5_mmT6_P12ihipStream_tbEUlT_E_NS1_11comp_targetILNS1_3genE10ELNS1_11target_archE1200ELNS1_3gpuE4ELNS1_3repE0EEENS1_30default_config_static_selectorELNS0_4arch9wavefront6targetE0EEEvS10_: ; @_ZN7rocprim17ROCPRIM_400000_NS6detail17trampoline_kernelINS0_14default_configENS1_21merge_config_selectorINS0_5tupleIJssEEENS0_10empty_typeEEEZNS1_10merge_implIS3_NS0_12zip_iteratorINS5_IJN6thrust23THRUST_200600_302600_NS6detail15normal_iteratorINSC_10device_ptrIKsEEEESI_EEEEESK_NSA_INS5_IJNSE_INSF_IsEEEESM_EEEEEPS7_SP_SP_NSC_11hip_rocprim7__merge17predicate_wrapperIssNSC_4lessIsEEEEEE10hipError_tPvRmT0_T1_T2_T3_T4_T5_mmT6_P12ihipStream_tbEUlT_E_NS1_11comp_targetILNS1_3genE10ELNS1_11target_archE1200ELNS1_3gpuE4ELNS1_3repE0EEENS1_30default_config_static_selectorELNS0_4arch9wavefront6targetE0EEEvS10_
; %bb.0:
	.section	.rodata,"a",@progbits
	.p2align	6, 0x0
	.amdhsa_kernel _ZN7rocprim17ROCPRIM_400000_NS6detail17trampoline_kernelINS0_14default_configENS1_21merge_config_selectorINS0_5tupleIJssEEENS0_10empty_typeEEEZNS1_10merge_implIS3_NS0_12zip_iteratorINS5_IJN6thrust23THRUST_200600_302600_NS6detail15normal_iteratorINSC_10device_ptrIKsEEEESI_EEEEESK_NSA_INS5_IJNSE_INSF_IsEEEESM_EEEEEPS7_SP_SP_NSC_11hip_rocprim7__merge17predicate_wrapperIssNSC_4lessIsEEEEEE10hipError_tPvRmT0_T1_T2_T3_T4_T5_mmT6_P12ihipStream_tbEUlT_E_NS1_11comp_targetILNS1_3genE10ELNS1_11target_archE1200ELNS1_3gpuE4ELNS1_3repE0EEENS1_30default_config_static_selectorELNS0_4arch9wavefront6targetE0EEEvS10_
		.amdhsa_group_segment_fixed_size 0
		.amdhsa_private_segment_fixed_size 0
		.amdhsa_kernarg_size 64
		.amdhsa_user_sgpr_count 2
		.amdhsa_user_sgpr_dispatch_ptr 0
		.amdhsa_user_sgpr_queue_ptr 0
		.amdhsa_user_sgpr_kernarg_segment_ptr 1
		.amdhsa_user_sgpr_dispatch_id 0
		.amdhsa_user_sgpr_kernarg_preload_length 0
		.amdhsa_user_sgpr_kernarg_preload_offset 0
		.amdhsa_user_sgpr_private_segment_size 0
		.amdhsa_wavefront_size32 1
		.amdhsa_uses_dynamic_stack 0
		.amdhsa_enable_private_segment 0
		.amdhsa_system_sgpr_workgroup_id_x 1
		.amdhsa_system_sgpr_workgroup_id_y 0
		.amdhsa_system_sgpr_workgroup_id_z 0
		.amdhsa_system_sgpr_workgroup_info 0
		.amdhsa_system_vgpr_workitem_id 0
		.amdhsa_next_free_vgpr 1
		.amdhsa_next_free_sgpr 1
		.amdhsa_named_barrier_count 0
		.amdhsa_reserve_vcc 0
		.amdhsa_float_round_mode_32 0
		.amdhsa_float_round_mode_16_64 0
		.amdhsa_float_denorm_mode_32 3
		.amdhsa_float_denorm_mode_16_64 3
		.amdhsa_fp16_overflow 0
		.amdhsa_memory_ordered 1
		.amdhsa_forward_progress 1
		.amdhsa_inst_pref_size 0
		.amdhsa_round_robin_scheduling 0
		.amdhsa_exception_fp_ieee_invalid_op 0
		.amdhsa_exception_fp_denorm_src 0
		.amdhsa_exception_fp_ieee_div_zero 0
		.amdhsa_exception_fp_ieee_overflow 0
		.amdhsa_exception_fp_ieee_underflow 0
		.amdhsa_exception_fp_ieee_inexact 0
		.amdhsa_exception_int_div_zero 0
	.end_amdhsa_kernel
	.section	.text._ZN7rocprim17ROCPRIM_400000_NS6detail17trampoline_kernelINS0_14default_configENS1_21merge_config_selectorINS0_5tupleIJssEEENS0_10empty_typeEEEZNS1_10merge_implIS3_NS0_12zip_iteratorINS5_IJN6thrust23THRUST_200600_302600_NS6detail15normal_iteratorINSC_10device_ptrIKsEEEESI_EEEEESK_NSA_INS5_IJNSE_INSF_IsEEEESM_EEEEEPS7_SP_SP_NSC_11hip_rocprim7__merge17predicate_wrapperIssNSC_4lessIsEEEEEE10hipError_tPvRmT0_T1_T2_T3_T4_T5_mmT6_P12ihipStream_tbEUlT_E_NS1_11comp_targetILNS1_3genE10ELNS1_11target_archE1200ELNS1_3gpuE4ELNS1_3repE0EEENS1_30default_config_static_selectorELNS0_4arch9wavefront6targetE0EEEvS10_,"axG",@progbits,_ZN7rocprim17ROCPRIM_400000_NS6detail17trampoline_kernelINS0_14default_configENS1_21merge_config_selectorINS0_5tupleIJssEEENS0_10empty_typeEEEZNS1_10merge_implIS3_NS0_12zip_iteratorINS5_IJN6thrust23THRUST_200600_302600_NS6detail15normal_iteratorINSC_10device_ptrIKsEEEESI_EEEEESK_NSA_INS5_IJNSE_INSF_IsEEEESM_EEEEEPS7_SP_SP_NSC_11hip_rocprim7__merge17predicate_wrapperIssNSC_4lessIsEEEEEE10hipError_tPvRmT0_T1_T2_T3_T4_T5_mmT6_P12ihipStream_tbEUlT_E_NS1_11comp_targetILNS1_3genE10ELNS1_11target_archE1200ELNS1_3gpuE4ELNS1_3repE0EEENS1_30default_config_static_selectorELNS0_4arch9wavefront6targetE0EEEvS10_,comdat
.Lfunc_end286:
	.size	_ZN7rocprim17ROCPRIM_400000_NS6detail17trampoline_kernelINS0_14default_configENS1_21merge_config_selectorINS0_5tupleIJssEEENS0_10empty_typeEEEZNS1_10merge_implIS3_NS0_12zip_iteratorINS5_IJN6thrust23THRUST_200600_302600_NS6detail15normal_iteratorINSC_10device_ptrIKsEEEESI_EEEEESK_NSA_INS5_IJNSE_INSF_IsEEEESM_EEEEEPS7_SP_SP_NSC_11hip_rocprim7__merge17predicate_wrapperIssNSC_4lessIsEEEEEE10hipError_tPvRmT0_T1_T2_T3_T4_T5_mmT6_P12ihipStream_tbEUlT_E_NS1_11comp_targetILNS1_3genE10ELNS1_11target_archE1200ELNS1_3gpuE4ELNS1_3repE0EEENS1_30default_config_static_selectorELNS0_4arch9wavefront6targetE0EEEvS10_, .Lfunc_end286-_ZN7rocprim17ROCPRIM_400000_NS6detail17trampoline_kernelINS0_14default_configENS1_21merge_config_selectorINS0_5tupleIJssEEENS0_10empty_typeEEEZNS1_10merge_implIS3_NS0_12zip_iteratorINS5_IJN6thrust23THRUST_200600_302600_NS6detail15normal_iteratorINSC_10device_ptrIKsEEEESI_EEEEESK_NSA_INS5_IJNSE_INSF_IsEEEESM_EEEEEPS7_SP_SP_NSC_11hip_rocprim7__merge17predicate_wrapperIssNSC_4lessIsEEEEEE10hipError_tPvRmT0_T1_T2_T3_T4_T5_mmT6_P12ihipStream_tbEUlT_E_NS1_11comp_targetILNS1_3genE10ELNS1_11target_archE1200ELNS1_3gpuE4ELNS1_3repE0EEENS1_30default_config_static_selectorELNS0_4arch9wavefront6targetE0EEEvS10_
                                        ; -- End function
	.set _ZN7rocprim17ROCPRIM_400000_NS6detail17trampoline_kernelINS0_14default_configENS1_21merge_config_selectorINS0_5tupleIJssEEENS0_10empty_typeEEEZNS1_10merge_implIS3_NS0_12zip_iteratorINS5_IJN6thrust23THRUST_200600_302600_NS6detail15normal_iteratorINSC_10device_ptrIKsEEEESI_EEEEESK_NSA_INS5_IJNSE_INSF_IsEEEESM_EEEEEPS7_SP_SP_NSC_11hip_rocprim7__merge17predicate_wrapperIssNSC_4lessIsEEEEEE10hipError_tPvRmT0_T1_T2_T3_T4_T5_mmT6_P12ihipStream_tbEUlT_E_NS1_11comp_targetILNS1_3genE10ELNS1_11target_archE1200ELNS1_3gpuE4ELNS1_3repE0EEENS1_30default_config_static_selectorELNS0_4arch9wavefront6targetE0EEEvS10_.num_vgpr, 0
	.set _ZN7rocprim17ROCPRIM_400000_NS6detail17trampoline_kernelINS0_14default_configENS1_21merge_config_selectorINS0_5tupleIJssEEENS0_10empty_typeEEEZNS1_10merge_implIS3_NS0_12zip_iteratorINS5_IJN6thrust23THRUST_200600_302600_NS6detail15normal_iteratorINSC_10device_ptrIKsEEEESI_EEEEESK_NSA_INS5_IJNSE_INSF_IsEEEESM_EEEEEPS7_SP_SP_NSC_11hip_rocprim7__merge17predicate_wrapperIssNSC_4lessIsEEEEEE10hipError_tPvRmT0_T1_T2_T3_T4_T5_mmT6_P12ihipStream_tbEUlT_E_NS1_11comp_targetILNS1_3genE10ELNS1_11target_archE1200ELNS1_3gpuE4ELNS1_3repE0EEENS1_30default_config_static_selectorELNS0_4arch9wavefront6targetE0EEEvS10_.num_agpr, 0
	.set _ZN7rocprim17ROCPRIM_400000_NS6detail17trampoline_kernelINS0_14default_configENS1_21merge_config_selectorINS0_5tupleIJssEEENS0_10empty_typeEEEZNS1_10merge_implIS3_NS0_12zip_iteratorINS5_IJN6thrust23THRUST_200600_302600_NS6detail15normal_iteratorINSC_10device_ptrIKsEEEESI_EEEEESK_NSA_INS5_IJNSE_INSF_IsEEEESM_EEEEEPS7_SP_SP_NSC_11hip_rocprim7__merge17predicate_wrapperIssNSC_4lessIsEEEEEE10hipError_tPvRmT0_T1_T2_T3_T4_T5_mmT6_P12ihipStream_tbEUlT_E_NS1_11comp_targetILNS1_3genE10ELNS1_11target_archE1200ELNS1_3gpuE4ELNS1_3repE0EEENS1_30default_config_static_selectorELNS0_4arch9wavefront6targetE0EEEvS10_.numbered_sgpr, 0
	.set _ZN7rocprim17ROCPRIM_400000_NS6detail17trampoline_kernelINS0_14default_configENS1_21merge_config_selectorINS0_5tupleIJssEEENS0_10empty_typeEEEZNS1_10merge_implIS3_NS0_12zip_iteratorINS5_IJN6thrust23THRUST_200600_302600_NS6detail15normal_iteratorINSC_10device_ptrIKsEEEESI_EEEEESK_NSA_INS5_IJNSE_INSF_IsEEEESM_EEEEEPS7_SP_SP_NSC_11hip_rocprim7__merge17predicate_wrapperIssNSC_4lessIsEEEEEE10hipError_tPvRmT0_T1_T2_T3_T4_T5_mmT6_P12ihipStream_tbEUlT_E_NS1_11comp_targetILNS1_3genE10ELNS1_11target_archE1200ELNS1_3gpuE4ELNS1_3repE0EEENS1_30default_config_static_selectorELNS0_4arch9wavefront6targetE0EEEvS10_.num_named_barrier, 0
	.set _ZN7rocprim17ROCPRIM_400000_NS6detail17trampoline_kernelINS0_14default_configENS1_21merge_config_selectorINS0_5tupleIJssEEENS0_10empty_typeEEEZNS1_10merge_implIS3_NS0_12zip_iteratorINS5_IJN6thrust23THRUST_200600_302600_NS6detail15normal_iteratorINSC_10device_ptrIKsEEEESI_EEEEESK_NSA_INS5_IJNSE_INSF_IsEEEESM_EEEEEPS7_SP_SP_NSC_11hip_rocprim7__merge17predicate_wrapperIssNSC_4lessIsEEEEEE10hipError_tPvRmT0_T1_T2_T3_T4_T5_mmT6_P12ihipStream_tbEUlT_E_NS1_11comp_targetILNS1_3genE10ELNS1_11target_archE1200ELNS1_3gpuE4ELNS1_3repE0EEENS1_30default_config_static_selectorELNS0_4arch9wavefront6targetE0EEEvS10_.private_seg_size, 0
	.set _ZN7rocprim17ROCPRIM_400000_NS6detail17trampoline_kernelINS0_14default_configENS1_21merge_config_selectorINS0_5tupleIJssEEENS0_10empty_typeEEEZNS1_10merge_implIS3_NS0_12zip_iteratorINS5_IJN6thrust23THRUST_200600_302600_NS6detail15normal_iteratorINSC_10device_ptrIKsEEEESI_EEEEESK_NSA_INS5_IJNSE_INSF_IsEEEESM_EEEEEPS7_SP_SP_NSC_11hip_rocprim7__merge17predicate_wrapperIssNSC_4lessIsEEEEEE10hipError_tPvRmT0_T1_T2_T3_T4_T5_mmT6_P12ihipStream_tbEUlT_E_NS1_11comp_targetILNS1_3genE10ELNS1_11target_archE1200ELNS1_3gpuE4ELNS1_3repE0EEENS1_30default_config_static_selectorELNS0_4arch9wavefront6targetE0EEEvS10_.uses_vcc, 0
	.set _ZN7rocprim17ROCPRIM_400000_NS6detail17trampoline_kernelINS0_14default_configENS1_21merge_config_selectorINS0_5tupleIJssEEENS0_10empty_typeEEEZNS1_10merge_implIS3_NS0_12zip_iteratorINS5_IJN6thrust23THRUST_200600_302600_NS6detail15normal_iteratorINSC_10device_ptrIKsEEEESI_EEEEESK_NSA_INS5_IJNSE_INSF_IsEEEESM_EEEEEPS7_SP_SP_NSC_11hip_rocprim7__merge17predicate_wrapperIssNSC_4lessIsEEEEEE10hipError_tPvRmT0_T1_T2_T3_T4_T5_mmT6_P12ihipStream_tbEUlT_E_NS1_11comp_targetILNS1_3genE10ELNS1_11target_archE1200ELNS1_3gpuE4ELNS1_3repE0EEENS1_30default_config_static_selectorELNS0_4arch9wavefront6targetE0EEEvS10_.uses_flat_scratch, 0
	.set _ZN7rocprim17ROCPRIM_400000_NS6detail17trampoline_kernelINS0_14default_configENS1_21merge_config_selectorINS0_5tupleIJssEEENS0_10empty_typeEEEZNS1_10merge_implIS3_NS0_12zip_iteratorINS5_IJN6thrust23THRUST_200600_302600_NS6detail15normal_iteratorINSC_10device_ptrIKsEEEESI_EEEEESK_NSA_INS5_IJNSE_INSF_IsEEEESM_EEEEEPS7_SP_SP_NSC_11hip_rocprim7__merge17predicate_wrapperIssNSC_4lessIsEEEEEE10hipError_tPvRmT0_T1_T2_T3_T4_T5_mmT6_P12ihipStream_tbEUlT_E_NS1_11comp_targetILNS1_3genE10ELNS1_11target_archE1200ELNS1_3gpuE4ELNS1_3repE0EEENS1_30default_config_static_selectorELNS0_4arch9wavefront6targetE0EEEvS10_.has_dyn_sized_stack, 0
	.set _ZN7rocprim17ROCPRIM_400000_NS6detail17trampoline_kernelINS0_14default_configENS1_21merge_config_selectorINS0_5tupleIJssEEENS0_10empty_typeEEEZNS1_10merge_implIS3_NS0_12zip_iteratorINS5_IJN6thrust23THRUST_200600_302600_NS6detail15normal_iteratorINSC_10device_ptrIKsEEEESI_EEEEESK_NSA_INS5_IJNSE_INSF_IsEEEESM_EEEEEPS7_SP_SP_NSC_11hip_rocprim7__merge17predicate_wrapperIssNSC_4lessIsEEEEEE10hipError_tPvRmT0_T1_T2_T3_T4_T5_mmT6_P12ihipStream_tbEUlT_E_NS1_11comp_targetILNS1_3genE10ELNS1_11target_archE1200ELNS1_3gpuE4ELNS1_3repE0EEENS1_30default_config_static_selectorELNS0_4arch9wavefront6targetE0EEEvS10_.has_recursion, 0
	.set _ZN7rocprim17ROCPRIM_400000_NS6detail17trampoline_kernelINS0_14default_configENS1_21merge_config_selectorINS0_5tupleIJssEEENS0_10empty_typeEEEZNS1_10merge_implIS3_NS0_12zip_iteratorINS5_IJN6thrust23THRUST_200600_302600_NS6detail15normal_iteratorINSC_10device_ptrIKsEEEESI_EEEEESK_NSA_INS5_IJNSE_INSF_IsEEEESM_EEEEEPS7_SP_SP_NSC_11hip_rocprim7__merge17predicate_wrapperIssNSC_4lessIsEEEEEE10hipError_tPvRmT0_T1_T2_T3_T4_T5_mmT6_P12ihipStream_tbEUlT_E_NS1_11comp_targetILNS1_3genE10ELNS1_11target_archE1200ELNS1_3gpuE4ELNS1_3repE0EEENS1_30default_config_static_selectorELNS0_4arch9wavefront6targetE0EEEvS10_.has_indirect_call, 0
	.section	.AMDGPU.csdata,"",@progbits
; Kernel info:
; codeLenInByte = 0
; TotalNumSgprs: 0
; NumVgprs: 0
; ScratchSize: 0
; MemoryBound: 0
; FloatMode: 240
; IeeeMode: 1
; LDSByteSize: 0 bytes/workgroup (compile time only)
; SGPRBlocks: 0
; VGPRBlocks: 0
; NumSGPRsForWavesPerEU: 1
; NumVGPRsForWavesPerEU: 1
; NamedBarCnt: 0
; Occupancy: 16
; WaveLimiterHint : 0
; COMPUTE_PGM_RSRC2:SCRATCH_EN: 0
; COMPUTE_PGM_RSRC2:USER_SGPR: 2
; COMPUTE_PGM_RSRC2:TRAP_HANDLER: 0
; COMPUTE_PGM_RSRC2:TGID_X_EN: 1
; COMPUTE_PGM_RSRC2:TGID_Y_EN: 0
; COMPUTE_PGM_RSRC2:TGID_Z_EN: 0
; COMPUTE_PGM_RSRC2:TIDIG_COMP_CNT: 0
	.section	.text._ZN7rocprim17ROCPRIM_400000_NS6detail17trampoline_kernelINS0_14default_configENS1_21merge_config_selectorINS0_5tupleIJssEEENS0_10empty_typeEEEZNS1_10merge_implIS3_NS0_12zip_iteratorINS5_IJN6thrust23THRUST_200600_302600_NS6detail15normal_iteratorINSC_10device_ptrIKsEEEESI_EEEEESK_NSA_INS5_IJNSE_INSF_IsEEEESM_EEEEEPS7_SP_SP_NSC_11hip_rocprim7__merge17predicate_wrapperIssNSC_4lessIsEEEEEE10hipError_tPvRmT0_T1_T2_T3_T4_T5_mmT6_P12ihipStream_tbEUlT_E_NS1_11comp_targetILNS1_3genE9ELNS1_11target_archE1100ELNS1_3gpuE3ELNS1_3repE0EEENS1_30default_config_static_selectorELNS0_4arch9wavefront6targetE0EEEvS10_,"axG",@progbits,_ZN7rocprim17ROCPRIM_400000_NS6detail17trampoline_kernelINS0_14default_configENS1_21merge_config_selectorINS0_5tupleIJssEEENS0_10empty_typeEEEZNS1_10merge_implIS3_NS0_12zip_iteratorINS5_IJN6thrust23THRUST_200600_302600_NS6detail15normal_iteratorINSC_10device_ptrIKsEEEESI_EEEEESK_NSA_INS5_IJNSE_INSF_IsEEEESM_EEEEEPS7_SP_SP_NSC_11hip_rocprim7__merge17predicate_wrapperIssNSC_4lessIsEEEEEE10hipError_tPvRmT0_T1_T2_T3_T4_T5_mmT6_P12ihipStream_tbEUlT_E_NS1_11comp_targetILNS1_3genE9ELNS1_11target_archE1100ELNS1_3gpuE3ELNS1_3repE0EEENS1_30default_config_static_selectorELNS0_4arch9wavefront6targetE0EEEvS10_,comdat
	.protected	_ZN7rocprim17ROCPRIM_400000_NS6detail17trampoline_kernelINS0_14default_configENS1_21merge_config_selectorINS0_5tupleIJssEEENS0_10empty_typeEEEZNS1_10merge_implIS3_NS0_12zip_iteratorINS5_IJN6thrust23THRUST_200600_302600_NS6detail15normal_iteratorINSC_10device_ptrIKsEEEESI_EEEEESK_NSA_INS5_IJNSE_INSF_IsEEEESM_EEEEEPS7_SP_SP_NSC_11hip_rocprim7__merge17predicate_wrapperIssNSC_4lessIsEEEEEE10hipError_tPvRmT0_T1_T2_T3_T4_T5_mmT6_P12ihipStream_tbEUlT_E_NS1_11comp_targetILNS1_3genE9ELNS1_11target_archE1100ELNS1_3gpuE3ELNS1_3repE0EEENS1_30default_config_static_selectorELNS0_4arch9wavefront6targetE0EEEvS10_ ; -- Begin function _ZN7rocprim17ROCPRIM_400000_NS6detail17trampoline_kernelINS0_14default_configENS1_21merge_config_selectorINS0_5tupleIJssEEENS0_10empty_typeEEEZNS1_10merge_implIS3_NS0_12zip_iteratorINS5_IJN6thrust23THRUST_200600_302600_NS6detail15normal_iteratorINSC_10device_ptrIKsEEEESI_EEEEESK_NSA_INS5_IJNSE_INSF_IsEEEESM_EEEEEPS7_SP_SP_NSC_11hip_rocprim7__merge17predicate_wrapperIssNSC_4lessIsEEEEEE10hipError_tPvRmT0_T1_T2_T3_T4_T5_mmT6_P12ihipStream_tbEUlT_E_NS1_11comp_targetILNS1_3genE9ELNS1_11target_archE1100ELNS1_3gpuE3ELNS1_3repE0EEENS1_30default_config_static_selectorELNS0_4arch9wavefront6targetE0EEEvS10_
	.globl	_ZN7rocprim17ROCPRIM_400000_NS6detail17trampoline_kernelINS0_14default_configENS1_21merge_config_selectorINS0_5tupleIJssEEENS0_10empty_typeEEEZNS1_10merge_implIS3_NS0_12zip_iteratorINS5_IJN6thrust23THRUST_200600_302600_NS6detail15normal_iteratorINSC_10device_ptrIKsEEEESI_EEEEESK_NSA_INS5_IJNSE_INSF_IsEEEESM_EEEEEPS7_SP_SP_NSC_11hip_rocprim7__merge17predicate_wrapperIssNSC_4lessIsEEEEEE10hipError_tPvRmT0_T1_T2_T3_T4_T5_mmT6_P12ihipStream_tbEUlT_E_NS1_11comp_targetILNS1_3genE9ELNS1_11target_archE1100ELNS1_3gpuE3ELNS1_3repE0EEENS1_30default_config_static_selectorELNS0_4arch9wavefront6targetE0EEEvS10_
	.p2align	8
	.type	_ZN7rocprim17ROCPRIM_400000_NS6detail17trampoline_kernelINS0_14default_configENS1_21merge_config_selectorINS0_5tupleIJssEEENS0_10empty_typeEEEZNS1_10merge_implIS3_NS0_12zip_iteratorINS5_IJN6thrust23THRUST_200600_302600_NS6detail15normal_iteratorINSC_10device_ptrIKsEEEESI_EEEEESK_NSA_INS5_IJNSE_INSF_IsEEEESM_EEEEEPS7_SP_SP_NSC_11hip_rocprim7__merge17predicate_wrapperIssNSC_4lessIsEEEEEE10hipError_tPvRmT0_T1_T2_T3_T4_T5_mmT6_P12ihipStream_tbEUlT_E_NS1_11comp_targetILNS1_3genE9ELNS1_11target_archE1100ELNS1_3gpuE3ELNS1_3repE0EEENS1_30default_config_static_selectorELNS0_4arch9wavefront6targetE0EEEvS10_,@function
_ZN7rocprim17ROCPRIM_400000_NS6detail17trampoline_kernelINS0_14default_configENS1_21merge_config_selectorINS0_5tupleIJssEEENS0_10empty_typeEEEZNS1_10merge_implIS3_NS0_12zip_iteratorINS5_IJN6thrust23THRUST_200600_302600_NS6detail15normal_iteratorINSC_10device_ptrIKsEEEESI_EEEEESK_NSA_INS5_IJNSE_INSF_IsEEEESM_EEEEEPS7_SP_SP_NSC_11hip_rocprim7__merge17predicate_wrapperIssNSC_4lessIsEEEEEE10hipError_tPvRmT0_T1_T2_T3_T4_T5_mmT6_P12ihipStream_tbEUlT_E_NS1_11comp_targetILNS1_3genE9ELNS1_11target_archE1100ELNS1_3gpuE3ELNS1_3repE0EEENS1_30default_config_static_selectorELNS0_4arch9wavefront6targetE0EEEvS10_: ; @_ZN7rocprim17ROCPRIM_400000_NS6detail17trampoline_kernelINS0_14default_configENS1_21merge_config_selectorINS0_5tupleIJssEEENS0_10empty_typeEEEZNS1_10merge_implIS3_NS0_12zip_iteratorINS5_IJN6thrust23THRUST_200600_302600_NS6detail15normal_iteratorINSC_10device_ptrIKsEEEESI_EEEEESK_NSA_INS5_IJNSE_INSF_IsEEEESM_EEEEEPS7_SP_SP_NSC_11hip_rocprim7__merge17predicate_wrapperIssNSC_4lessIsEEEEEE10hipError_tPvRmT0_T1_T2_T3_T4_T5_mmT6_P12ihipStream_tbEUlT_E_NS1_11comp_targetILNS1_3genE9ELNS1_11target_archE1100ELNS1_3gpuE3ELNS1_3repE0EEENS1_30default_config_static_selectorELNS0_4arch9wavefront6targetE0EEEvS10_
; %bb.0:
	.section	.rodata,"a",@progbits
	.p2align	6, 0x0
	.amdhsa_kernel _ZN7rocprim17ROCPRIM_400000_NS6detail17trampoline_kernelINS0_14default_configENS1_21merge_config_selectorINS0_5tupleIJssEEENS0_10empty_typeEEEZNS1_10merge_implIS3_NS0_12zip_iteratorINS5_IJN6thrust23THRUST_200600_302600_NS6detail15normal_iteratorINSC_10device_ptrIKsEEEESI_EEEEESK_NSA_INS5_IJNSE_INSF_IsEEEESM_EEEEEPS7_SP_SP_NSC_11hip_rocprim7__merge17predicate_wrapperIssNSC_4lessIsEEEEEE10hipError_tPvRmT0_T1_T2_T3_T4_T5_mmT6_P12ihipStream_tbEUlT_E_NS1_11comp_targetILNS1_3genE9ELNS1_11target_archE1100ELNS1_3gpuE3ELNS1_3repE0EEENS1_30default_config_static_selectorELNS0_4arch9wavefront6targetE0EEEvS10_
		.amdhsa_group_segment_fixed_size 0
		.amdhsa_private_segment_fixed_size 0
		.amdhsa_kernarg_size 64
		.amdhsa_user_sgpr_count 2
		.amdhsa_user_sgpr_dispatch_ptr 0
		.amdhsa_user_sgpr_queue_ptr 0
		.amdhsa_user_sgpr_kernarg_segment_ptr 1
		.amdhsa_user_sgpr_dispatch_id 0
		.amdhsa_user_sgpr_kernarg_preload_length 0
		.amdhsa_user_sgpr_kernarg_preload_offset 0
		.amdhsa_user_sgpr_private_segment_size 0
		.amdhsa_wavefront_size32 1
		.amdhsa_uses_dynamic_stack 0
		.amdhsa_enable_private_segment 0
		.amdhsa_system_sgpr_workgroup_id_x 1
		.amdhsa_system_sgpr_workgroup_id_y 0
		.amdhsa_system_sgpr_workgroup_id_z 0
		.amdhsa_system_sgpr_workgroup_info 0
		.amdhsa_system_vgpr_workitem_id 0
		.amdhsa_next_free_vgpr 1
		.amdhsa_next_free_sgpr 1
		.amdhsa_named_barrier_count 0
		.amdhsa_reserve_vcc 0
		.amdhsa_float_round_mode_32 0
		.amdhsa_float_round_mode_16_64 0
		.amdhsa_float_denorm_mode_32 3
		.amdhsa_float_denorm_mode_16_64 3
		.amdhsa_fp16_overflow 0
		.amdhsa_memory_ordered 1
		.amdhsa_forward_progress 1
		.amdhsa_inst_pref_size 0
		.amdhsa_round_robin_scheduling 0
		.amdhsa_exception_fp_ieee_invalid_op 0
		.amdhsa_exception_fp_denorm_src 0
		.amdhsa_exception_fp_ieee_div_zero 0
		.amdhsa_exception_fp_ieee_overflow 0
		.amdhsa_exception_fp_ieee_underflow 0
		.amdhsa_exception_fp_ieee_inexact 0
		.amdhsa_exception_int_div_zero 0
	.end_amdhsa_kernel
	.section	.text._ZN7rocprim17ROCPRIM_400000_NS6detail17trampoline_kernelINS0_14default_configENS1_21merge_config_selectorINS0_5tupleIJssEEENS0_10empty_typeEEEZNS1_10merge_implIS3_NS0_12zip_iteratorINS5_IJN6thrust23THRUST_200600_302600_NS6detail15normal_iteratorINSC_10device_ptrIKsEEEESI_EEEEESK_NSA_INS5_IJNSE_INSF_IsEEEESM_EEEEEPS7_SP_SP_NSC_11hip_rocprim7__merge17predicate_wrapperIssNSC_4lessIsEEEEEE10hipError_tPvRmT0_T1_T2_T3_T4_T5_mmT6_P12ihipStream_tbEUlT_E_NS1_11comp_targetILNS1_3genE9ELNS1_11target_archE1100ELNS1_3gpuE3ELNS1_3repE0EEENS1_30default_config_static_selectorELNS0_4arch9wavefront6targetE0EEEvS10_,"axG",@progbits,_ZN7rocprim17ROCPRIM_400000_NS6detail17trampoline_kernelINS0_14default_configENS1_21merge_config_selectorINS0_5tupleIJssEEENS0_10empty_typeEEEZNS1_10merge_implIS3_NS0_12zip_iteratorINS5_IJN6thrust23THRUST_200600_302600_NS6detail15normal_iteratorINSC_10device_ptrIKsEEEESI_EEEEESK_NSA_INS5_IJNSE_INSF_IsEEEESM_EEEEEPS7_SP_SP_NSC_11hip_rocprim7__merge17predicate_wrapperIssNSC_4lessIsEEEEEE10hipError_tPvRmT0_T1_T2_T3_T4_T5_mmT6_P12ihipStream_tbEUlT_E_NS1_11comp_targetILNS1_3genE9ELNS1_11target_archE1100ELNS1_3gpuE3ELNS1_3repE0EEENS1_30default_config_static_selectorELNS0_4arch9wavefront6targetE0EEEvS10_,comdat
.Lfunc_end287:
	.size	_ZN7rocprim17ROCPRIM_400000_NS6detail17trampoline_kernelINS0_14default_configENS1_21merge_config_selectorINS0_5tupleIJssEEENS0_10empty_typeEEEZNS1_10merge_implIS3_NS0_12zip_iteratorINS5_IJN6thrust23THRUST_200600_302600_NS6detail15normal_iteratorINSC_10device_ptrIKsEEEESI_EEEEESK_NSA_INS5_IJNSE_INSF_IsEEEESM_EEEEEPS7_SP_SP_NSC_11hip_rocprim7__merge17predicate_wrapperIssNSC_4lessIsEEEEEE10hipError_tPvRmT0_T1_T2_T3_T4_T5_mmT6_P12ihipStream_tbEUlT_E_NS1_11comp_targetILNS1_3genE9ELNS1_11target_archE1100ELNS1_3gpuE3ELNS1_3repE0EEENS1_30default_config_static_selectorELNS0_4arch9wavefront6targetE0EEEvS10_, .Lfunc_end287-_ZN7rocprim17ROCPRIM_400000_NS6detail17trampoline_kernelINS0_14default_configENS1_21merge_config_selectorINS0_5tupleIJssEEENS0_10empty_typeEEEZNS1_10merge_implIS3_NS0_12zip_iteratorINS5_IJN6thrust23THRUST_200600_302600_NS6detail15normal_iteratorINSC_10device_ptrIKsEEEESI_EEEEESK_NSA_INS5_IJNSE_INSF_IsEEEESM_EEEEEPS7_SP_SP_NSC_11hip_rocprim7__merge17predicate_wrapperIssNSC_4lessIsEEEEEE10hipError_tPvRmT0_T1_T2_T3_T4_T5_mmT6_P12ihipStream_tbEUlT_E_NS1_11comp_targetILNS1_3genE9ELNS1_11target_archE1100ELNS1_3gpuE3ELNS1_3repE0EEENS1_30default_config_static_selectorELNS0_4arch9wavefront6targetE0EEEvS10_
                                        ; -- End function
	.set _ZN7rocprim17ROCPRIM_400000_NS6detail17trampoline_kernelINS0_14default_configENS1_21merge_config_selectorINS0_5tupleIJssEEENS0_10empty_typeEEEZNS1_10merge_implIS3_NS0_12zip_iteratorINS5_IJN6thrust23THRUST_200600_302600_NS6detail15normal_iteratorINSC_10device_ptrIKsEEEESI_EEEEESK_NSA_INS5_IJNSE_INSF_IsEEEESM_EEEEEPS7_SP_SP_NSC_11hip_rocprim7__merge17predicate_wrapperIssNSC_4lessIsEEEEEE10hipError_tPvRmT0_T1_T2_T3_T4_T5_mmT6_P12ihipStream_tbEUlT_E_NS1_11comp_targetILNS1_3genE9ELNS1_11target_archE1100ELNS1_3gpuE3ELNS1_3repE0EEENS1_30default_config_static_selectorELNS0_4arch9wavefront6targetE0EEEvS10_.num_vgpr, 0
	.set _ZN7rocprim17ROCPRIM_400000_NS6detail17trampoline_kernelINS0_14default_configENS1_21merge_config_selectorINS0_5tupleIJssEEENS0_10empty_typeEEEZNS1_10merge_implIS3_NS0_12zip_iteratorINS5_IJN6thrust23THRUST_200600_302600_NS6detail15normal_iteratorINSC_10device_ptrIKsEEEESI_EEEEESK_NSA_INS5_IJNSE_INSF_IsEEEESM_EEEEEPS7_SP_SP_NSC_11hip_rocprim7__merge17predicate_wrapperIssNSC_4lessIsEEEEEE10hipError_tPvRmT0_T1_T2_T3_T4_T5_mmT6_P12ihipStream_tbEUlT_E_NS1_11comp_targetILNS1_3genE9ELNS1_11target_archE1100ELNS1_3gpuE3ELNS1_3repE0EEENS1_30default_config_static_selectorELNS0_4arch9wavefront6targetE0EEEvS10_.num_agpr, 0
	.set _ZN7rocprim17ROCPRIM_400000_NS6detail17trampoline_kernelINS0_14default_configENS1_21merge_config_selectorINS0_5tupleIJssEEENS0_10empty_typeEEEZNS1_10merge_implIS3_NS0_12zip_iteratorINS5_IJN6thrust23THRUST_200600_302600_NS6detail15normal_iteratorINSC_10device_ptrIKsEEEESI_EEEEESK_NSA_INS5_IJNSE_INSF_IsEEEESM_EEEEEPS7_SP_SP_NSC_11hip_rocprim7__merge17predicate_wrapperIssNSC_4lessIsEEEEEE10hipError_tPvRmT0_T1_T2_T3_T4_T5_mmT6_P12ihipStream_tbEUlT_E_NS1_11comp_targetILNS1_3genE9ELNS1_11target_archE1100ELNS1_3gpuE3ELNS1_3repE0EEENS1_30default_config_static_selectorELNS0_4arch9wavefront6targetE0EEEvS10_.numbered_sgpr, 0
	.set _ZN7rocprim17ROCPRIM_400000_NS6detail17trampoline_kernelINS0_14default_configENS1_21merge_config_selectorINS0_5tupleIJssEEENS0_10empty_typeEEEZNS1_10merge_implIS3_NS0_12zip_iteratorINS5_IJN6thrust23THRUST_200600_302600_NS6detail15normal_iteratorINSC_10device_ptrIKsEEEESI_EEEEESK_NSA_INS5_IJNSE_INSF_IsEEEESM_EEEEEPS7_SP_SP_NSC_11hip_rocprim7__merge17predicate_wrapperIssNSC_4lessIsEEEEEE10hipError_tPvRmT0_T1_T2_T3_T4_T5_mmT6_P12ihipStream_tbEUlT_E_NS1_11comp_targetILNS1_3genE9ELNS1_11target_archE1100ELNS1_3gpuE3ELNS1_3repE0EEENS1_30default_config_static_selectorELNS0_4arch9wavefront6targetE0EEEvS10_.num_named_barrier, 0
	.set _ZN7rocprim17ROCPRIM_400000_NS6detail17trampoline_kernelINS0_14default_configENS1_21merge_config_selectorINS0_5tupleIJssEEENS0_10empty_typeEEEZNS1_10merge_implIS3_NS0_12zip_iteratorINS5_IJN6thrust23THRUST_200600_302600_NS6detail15normal_iteratorINSC_10device_ptrIKsEEEESI_EEEEESK_NSA_INS5_IJNSE_INSF_IsEEEESM_EEEEEPS7_SP_SP_NSC_11hip_rocprim7__merge17predicate_wrapperIssNSC_4lessIsEEEEEE10hipError_tPvRmT0_T1_T2_T3_T4_T5_mmT6_P12ihipStream_tbEUlT_E_NS1_11comp_targetILNS1_3genE9ELNS1_11target_archE1100ELNS1_3gpuE3ELNS1_3repE0EEENS1_30default_config_static_selectorELNS0_4arch9wavefront6targetE0EEEvS10_.private_seg_size, 0
	.set _ZN7rocprim17ROCPRIM_400000_NS6detail17trampoline_kernelINS0_14default_configENS1_21merge_config_selectorINS0_5tupleIJssEEENS0_10empty_typeEEEZNS1_10merge_implIS3_NS0_12zip_iteratorINS5_IJN6thrust23THRUST_200600_302600_NS6detail15normal_iteratorINSC_10device_ptrIKsEEEESI_EEEEESK_NSA_INS5_IJNSE_INSF_IsEEEESM_EEEEEPS7_SP_SP_NSC_11hip_rocprim7__merge17predicate_wrapperIssNSC_4lessIsEEEEEE10hipError_tPvRmT0_T1_T2_T3_T4_T5_mmT6_P12ihipStream_tbEUlT_E_NS1_11comp_targetILNS1_3genE9ELNS1_11target_archE1100ELNS1_3gpuE3ELNS1_3repE0EEENS1_30default_config_static_selectorELNS0_4arch9wavefront6targetE0EEEvS10_.uses_vcc, 0
	.set _ZN7rocprim17ROCPRIM_400000_NS6detail17trampoline_kernelINS0_14default_configENS1_21merge_config_selectorINS0_5tupleIJssEEENS0_10empty_typeEEEZNS1_10merge_implIS3_NS0_12zip_iteratorINS5_IJN6thrust23THRUST_200600_302600_NS6detail15normal_iteratorINSC_10device_ptrIKsEEEESI_EEEEESK_NSA_INS5_IJNSE_INSF_IsEEEESM_EEEEEPS7_SP_SP_NSC_11hip_rocprim7__merge17predicate_wrapperIssNSC_4lessIsEEEEEE10hipError_tPvRmT0_T1_T2_T3_T4_T5_mmT6_P12ihipStream_tbEUlT_E_NS1_11comp_targetILNS1_3genE9ELNS1_11target_archE1100ELNS1_3gpuE3ELNS1_3repE0EEENS1_30default_config_static_selectorELNS0_4arch9wavefront6targetE0EEEvS10_.uses_flat_scratch, 0
	.set _ZN7rocprim17ROCPRIM_400000_NS6detail17trampoline_kernelINS0_14default_configENS1_21merge_config_selectorINS0_5tupleIJssEEENS0_10empty_typeEEEZNS1_10merge_implIS3_NS0_12zip_iteratorINS5_IJN6thrust23THRUST_200600_302600_NS6detail15normal_iteratorINSC_10device_ptrIKsEEEESI_EEEEESK_NSA_INS5_IJNSE_INSF_IsEEEESM_EEEEEPS7_SP_SP_NSC_11hip_rocprim7__merge17predicate_wrapperIssNSC_4lessIsEEEEEE10hipError_tPvRmT0_T1_T2_T3_T4_T5_mmT6_P12ihipStream_tbEUlT_E_NS1_11comp_targetILNS1_3genE9ELNS1_11target_archE1100ELNS1_3gpuE3ELNS1_3repE0EEENS1_30default_config_static_selectorELNS0_4arch9wavefront6targetE0EEEvS10_.has_dyn_sized_stack, 0
	.set _ZN7rocprim17ROCPRIM_400000_NS6detail17trampoline_kernelINS0_14default_configENS1_21merge_config_selectorINS0_5tupleIJssEEENS0_10empty_typeEEEZNS1_10merge_implIS3_NS0_12zip_iteratorINS5_IJN6thrust23THRUST_200600_302600_NS6detail15normal_iteratorINSC_10device_ptrIKsEEEESI_EEEEESK_NSA_INS5_IJNSE_INSF_IsEEEESM_EEEEEPS7_SP_SP_NSC_11hip_rocprim7__merge17predicate_wrapperIssNSC_4lessIsEEEEEE10hipError_tPvRmT0_T1_T2_T3_T4_T5_mmT6_P12ihipStream_tbEUlT_E_NS1_11comp_targetILNS1_3genE9ELNS1_11target_archE1100ELNS1_3gpuE3ELNS1_3repE0EEENS1_30default_config_static_selectorELNS0_4arch9wavefront6targetE0EEEvS10_.has_recursion, 0
	.set _ZN7rocprim17ROCPRIM_400000_NS6detail17trampoline_kernelINS0_14default_configENS1_21merge_config_selectorINS0_5tupleIJssEEENS0_10empty_typeEEEZNS1_10merge_implIS3_NS0_12zip_iteratorINS5_IJN6thrust23THRUST_200600_302600_NS6detail15normal_iteratorINSC_10device_ptrIKsEEEESI_EEEEESK_NSA_INS5_IJNSE_INSF_IsEEEESM_EEEEEPS7_SP_SP_NSC_11hip_rocprim7__merge17predicate_wrapperIssNSC_4lessIsEEEEEE10hipError_tPvRmT0_T1_T2_T3_T4_T5_mmT6_P12ihipStream_tbEUlT_E_NS1_11comp_targetILNS1_3genE9ELNS1_11target_archE1100ELNS1_3gpuE3ELNS1_3repE0EEENS1_30default_config_static_selectorELNS0_4arch9wavefront6targetE0EEEvS10_.has_indirect_call, 0
	.section	.AMDGPU.csdata,"",@progbits
; Kernel info:
; codeLenInByte = 0
; TotalNumSgprs: 0
; NumVgprs: 0
; ScratchSize: 0
; MemoryBound: 0
; FloatMode: 240
; IeeeMode: 1
; LDSByteSize: 0 bytes/workgroup (compile time only)
; SGPRBlocks: 0
; VGPRBlocks: 0
; NumSGPRsForWavesPerEU: 1
; NumVGPRsForWavesPerEU: 1
; NamedBarCnt: 0
; Occupancy: 16
; WaveLimiterHint : 0
; COMPUTE_PGM_RSRC2:SCRATCH_EN: 0
; COMPUTE_PGM_RSRC2:USER_SGPR: 2
; COMPUTE_PGM_RSRC2:TRAP_HANDLER: 0
; COMPUTE_PGM_RSRC2:TGID_X_EN: 1
; COMPUTE_PGM_RSRC2:TGID_Y_EN: 0
; COMPUTE_PGM_RSRC2:TGID_Z_EN: 0
; COMPUTE_PGM_RSRC2:TIDIG_COMP_CNT: 0
	.section	.text._ZN7rocprim17ROCPRIM_400000_NS6detail17trampoline_kernelINS0_14default_configENS1_21merge_config_selectorINS0_5tupleIJssEEENS0_10empty_typeEEEZNS1_10merge_implIS3_NS0_12zip_iteratorINS5_IJN6thrust23THRUST_200600_302600_NS6detail15normal_iteratorINSC_10device_ptrIKsEEEESI_EEEEESK_NSA_INS5_IJNSE_INSF_IsEEEESM_EEEEEPS7_SP_SP_NSC_11hip_rocprim7__merge17predicate_wrapperIssNSC_4lessIsEEEEEE10hipError_tPvRmT0_T1_T2_T3_T4_T5_mmT6_P12ihipStream_tbEUlT_E_NS1_11comp_targetILNS1_3genE8ELNS1_11target_archE1030ELNS1_3gpuE2ELNS1_3repE0EEENS1_30default_config_static_selectorELNS0_4arch9wavefront6targetE0EEEvS10_,"axG",@progbits,_ZN7rocprim17ROCPRIM_400000_NS6detail17trampoline_kernelINS0_14default_configENS1_21merge_config_selectorINS0_5tupleIJssEEENS0_10empty_typeEEEZNS1_10merge_implIS3_NS0_12zip_iteratorINS5_IJN6thrust23THRUST_200600_302600_NS6detail15normal_iteratorINSC_10device_ptrIKsEEEESI_EEEEESK_NSA_INS5_IJNSE_INSF_IsEEEESM_EEEEEPS7_SP_SP_NSC_11hip_rocprim7__merge17predicate_wrapperIssNSC_4lessIsEEEEEE10hipError_tPvRmT0_T1_T2_T3_T4_T5_mmT6_P12ihipStream_tbEUlT_E_NS1_11comp_targetILNS1_3genE8ELNS1_11target_archE1030ELNS1_3gpuE2ELNS1_3repE0EEENS1_30default_config_static_selectorELNS0_4arch9wavefront6targetE0EEEvS10_,comdat
	.protected	_ZN7rocprim17ROCPRIM_400000_NS6detail17trampoline_kernelINS0_14default_configENS1_21merge_config_selectorINS0_5tupleIJssEEENS0_10empty_typeEEEZNS1_10merge_implIS3_NS0_12zip_iteratorINS5_IJN6thrust23THRUST_200600_302600_NS6detail15normal_iteratorINSC_10device_ptrIKsEEEESI_EEEEESK_NSA_INS5_IJNSE_INSF_IsEEEESM_EEEEEPS7_SP_SP_NSC_11hip_rocprim7__merge17predicate_wrapperIssNSC_4lessIsEEEEEE10hipError_tPvRmT0_T1_T2_T3_T4_T5_mmT6_P12ihipStream_tbEUlT_E_NS1_11comp_targetILNS1_3genE8ELNS1_11target_archE1030ELNS1_3gpuE2ELNS1_3repE0EEENS1_30default_config_static_selectorELNS0_4arch9wavefront6targetE0EEEvS10_ ; -- Begin function _ZN7rocprim17ROCPRIM_400000_NS6detail17trampoline_kernelINS0_14default_configENS1_21merge_config_selectorINS0_5tupleIJssEEENS0_10empty_typeEEEZNS1_10merge_implIS3_NS0_12zip_iteratorINS5_IJN6thrust23THRUST_200600_302600_NS6detail15normal_iteratorINSC_10device_ptrIKsEEEESI_EEEEESK_NSA_INS5_IJNSE_INSF_IsEEEESM_EEEEEPS7_SP_SP_NSC_11hip_rocprim7__merge17predicate_wrapperIssNSC_4lessIsEEEEEE10hipError_tPvRmT0_T1_T2_T3_T4_T5_mmT6_P12ihipStream_tbEUlT_E_NS1_11comp_targetILNS1_3genE8ELNS1_11target_archE1030ELNS1_3gpuE2ELNS1_3repE0EEENS1_30default_config_static_selectorELNS0_4arch9wavefront6targetE0EEEvS10_
	.globl	_ZN7rocprim17ROCPRIM_400000_NS6detail17trampoline_kernelINS0_14default_configENS1_21merge_config_selectorINS0_5tupleIJssEEENS0_10empty_typeEEEZNS1_10merge_implIS3_NS0_12zip_iteratorINS5_IJN6thrust23THRUST_200600_302600_NS6detail15normal_iteratorINSC_10device_ptrIKsEEEESI_EEEEESK_NSA_INS5_IJNSE_INSF_IsEEEESM_EEEEEPS7_SP_SP_NSC_11hip_rocprim7__merge17predicate_wrapperIssNSC_4lessIsEEEEEE10hipError_tPvRmT0_T1_T2_T3_T4_T5_mmT6_P12ihipStream_tbEUlT_E_NS1_11comp_targetILNS1_3genE8ELNS1_11target_archE1030ELNS1_3gpuE2ELNS1_3repE0EEENS1_30default_config_static_selectorELNS0_4arch9wavefront6targetE0EEEvS10_
	.p2align	8
	.type	_ZN7rocprim17ROCPRIM_400000_NS6detail17trampoline_kernelINS0_14default_configENS1_21merge_config_selectorINS0_5tupleIJssEEENS0_10empty_typeEEEZNS1_10merge_implIS3_NS0_12zip_iteratorINS5_IJN6thrust23THRUST_200600_302600_NS6detail15normal_iteratorINSC_10device_ptrIKsEEEESI_EEEEESK_NSA_INS5_IJNSE_INSF_IsEEEESM_EEEEEPS7_SP_SP_NSC_11hip_rocprim7__merge17predicate_wrapperIssNSC_4lessIsEEEEEE10hipError_tPvRmT0_T1_T2_T3_T4_T5_mmT6_P12ihipStream_tbEUlT_E_NS1_11comp_targetILNS1_3genE8ELNS1_11target_archE1030ELNS1_3gpuE2ELNS1_3repE0EEENS1_30default_config_static_selectorELNS0_4arch9wavefront6targetE0EEEvS10_,@function
_ZN7rocprim17ROCPRIM_400000_NS6detail17trampoline_kernelINS0_14default_configENS1_21merge_config_selectorINS0_5tupleIJssEEENS0_10empty_typeEEEZNS1_10merge_implIS3_NS0_12zip_iteratorINS5_IJN6thrust23THRUST_200600_302600_NS6detail15normal_iteratorINSC_10device_ptrIKsEEEESI_EEEEESK_NSA_INS5_IJNSE_INSF_IsEEEESM_EEEEEPS7_SP_SP_NSC_11hip_rocprim7__merge17predicate_wrapperIssNSC_4lessIsEEEEEE10hipError_tPvRmT0_T1_T2_T3_T4_T5_mmT6_P12ihipStream_tbEUlT_E_NS1_11comp_targetILNS1_3genE8ELNS1_11target_archE1030ELNS1_3gpuE2ELNS1_3repE0EEENS1_30default_config_static_selectorELNS0_4arch9wavefront6targetE0EEEvS10_: ; @_ZN7rocprim17ROCPRIM_400000_NS6detail17trampoline_kernelINS0_14default_configENS1_21merge_config_selectorINS0_5tupleIJssEEENS0_10empty_typeEEEZNS1_10merge_implIS3_NS0_12zip_iteratorINS5_IJN6thrust23THRUST_200600_302600_NS6detail15normal_iteratorINSC_10device_ptrIKsEEEESI_EEEEESK_NSA_INS5_IJNSE_INSF_IsEEEESM_EEEEEPS7_SP_SP_NSC_11hip_rocprim7__merge17predicate_wrapperIssNSC_4lessIsEEEEEE10hipError_tPvRmT0_T1_T2_T3_T4_T5_mmT6_P12ihipStream_tbEUlT_E_NS1_11comp_targetILNS1_3genE8ELNS1_11target_archE1030ELNS1_3gpuE2ELNS1_3repE0EEENS1_30default_config_static_selectorELNS0_4arch9wavefront6targetE0EEEvS10_
; %bb.0:
	.section	.rodata,"a",@progbits
	.p2align	6, 0x0
	.amdhsa_kernel _ZN7rocprim17ROCPRIM_400000_NS6detail17trampoline_kernelINS0_14default_configENS1_21merge_config_selectorINS0_5tupleIJssEEENS0_10empty_typeEEEZNS1_10merge_implIS3_NS0_12zip_iteratorINS5_IJN6thrust23THRUST_200600_302600_NS6detail15normal_iteratorINSC_10device_ptrIKsEEEESI_EEEEESK_NSA_INS5_IJNSE_INSF_IsEEEESM_EEEEEPS7_SP_SP_NSC_11hip_rocprim7__merge17predicate_wrapperIssNSC_4lessIsEEEEEE10hipError_tPvRmT0_T1_T2_T3_T4_T5_mmT6_P12ihipStream_tbEUlT_E_NS1_11comp_targetILNS1_3genE8ELNS1_11target_archE1030ELNS1_3gpuE2ELNS1_3repE0EEENS1_30default_config_static_selectorELNS0_4arch9wavefront6targetE0EEEvS10_
		.amdhsa_group_segment_fixed_size 0
		.amdhsa_private_segment_fixed_size 0
		.amdhsa_kernarg_size 64
		.amdhsa_user_sgpr_count 2
		.amdhsa_user_sgpr_dispatch_ptr 0
		.amdhsa_user_sgpr_queue_ptr 0
		.amdhsa_user_sgpr_kernarg_segment_ptr 1
		.amdhsa_user_sgpr_dispatch_id 0
		.amdhsa_user_sgpr_kernarg_preload_length 0
		.amdhsa_user_sgpr_kernarg_preload_offset 0
		.amdhsa_user_sgpr_private_segment_size 0
		.amdhsa_wavefront_size32 1
		.amdhsa_uses_dynamic_stack 0
		.amdhsa_enable_private_segment 0
		.amdhsa_system_sgpr_workgroup_id_x 1
		.amdhsa_system_sgpr_workgroup_id_y 0
		.amdhsa_system_sgpr_workgroup_id_z 0
		.amdhsa_system_sgpr_workgroup_info 0
		.amdhsa_system_vgpr_workitem_id 0
		.amdhsa_next_free_vgpr 1
		.amdhsa_next_free_sgpr 1
		.amdhsa_named_barrier_count 0
		.amdhsa_reserve_vcc 0
		.amdhsa_float_round_mode_32 0
		.amdhsa_float_round_mode_16_64 0
		.amdhsa_float_denorm_mode_32 3
		.amdhsa_float_denorm_mode_16_64 3
		.amdhsa_fp16_overflow 0
		.amdhsa_memory_ordered 1
		.amdhsa_forward_progress 1
		.amdhsa_inst_pref_size 0
		.amdhsa_round_robin_scheduling 0
		.amdhsa_exception_fp_ieee_invalid_op 0
		.amdhsa_exception_fp_denorm_src 0
		.amdhsa_exception_fp_ieee_div_zero 0
		.amdhsa_exception_fp_ieee_overflow 0
		.amdhsa_exception_fp_ieee_underflow 0
		.amdhsa_exception_fp_ieee_inexact 0
		.amdhsa_exception_int_div_zero 0
	.end_amdhsa_kernel
	.section	.text._ZN7rocprim17ROCPRIM_400000_NS6detail17trampoline_kernelINS0_14default_configENS1_21merge_config_selectorINS0_5tupleIJssEEENS0_10empty_typeEEEZNS1_10merge_implIS3_NS0_12zip_iteratorINS5_IJN6thrust23THRUST_200600_302600_NS6detail15normal_iteratorINSC_10device_ptrIKsEEEESI_EEEEESK_NSA_INS5_IJNSE_INSF_IsEEEESM_EEEEEPS7_SP_SP_NSC_11hip_rocprim7__merge17predicate_wrapperIssNSC_4lessIsEEEEEE10hipError_tPvRmT0_T1_T2_T3_T4_T5_mmT6_P12ihipStream_tbEUlT_E_NS1_11comp_targetILNS1_3genE8ELNS1_11target_archE1030ELNS1_3gpuE2ELNS1_3repE0EEENS1_30default_config_static_selectorELNS0_4arch9wavefront6targetE0EEEvS10_,"axG",@progbits,_ZN7rocprim17ROCPRIM_400000_NS6detail17trampoline_kernelINS0_14default_configENS1_21merge_config_selectorINS0_5tupleIJssEEENS0_10empty_typeEEEZNS1_10merge_implIS3_NS0_12zip_iteratorINS5_IJN6thrust23THRUST_200600_302600_NS6detail15normal_iteratorINSC_10device_ptrIKsEEEESI_EEEEESK_NSA_INS5_IJNSE_INSF_IsEEEESM_EEEEEPS7_SP_SP_NSC_11hip_rocprim7__merge17predicate_wrapperIssNSC_4lessIsEEEEEE10hipError_tPvRmT0_T1_T2_T3_T4_T5_mmT6_P12ihipStream_tbEUlT_E_NS1_11comp_targetILNS1_3genE8ELNS1_11target_archE1030ELNS1_3gpuE2ELNS1_3repE0EEENS1_30default_config_static_selectorELNS0_4arch9wavefront6targetE0EEEvS10_,comdat
.Lfunc_end288:
	.size	_ZN7rocprim17ROCPRIM_400000_NS6detail17trampoline_kernelINS0_14default_configENS1_21merge_config_selectorINS0_5tupleIJssEEENS0_10empty_typeEEEZNS1_10merge_implIS3_NS0_12zip_iteratorINS5_IJN6thrust23THRUST_200600_302600_NS6detail15normal_iteratorINSC_10device_ptrIKsEEEESI_EEEEESK_NSA_INS5_IJNSE_INSF_IsEEEESM_EEEEEPS7_SP_SP_NSC_11hip_rocprim7__merge17predicate_wrapperIssNSC_4lessIsEEEEEE10hipError_tPvRmT0_T1_T2_T3_T4_T5_mmT6_P12ihipStream_tbEUlT_E_NS1_11comp_targetILNS1_3genE8ELNS1_11target_archE1030ELNS1_3gpuE2ELNS1_3repE0EEENS1_30default_config_static_selectorELNS0_4arch9wavefront6targetE0EEEvS10_, .Lfunc_end288-_ZN7rocprim17ROCPRIM_400000_NS6detail17trampoline_kernelINS0_14default_configENS1_21merge_config_selectorINS0_5tupleIJssEEENS0_10empty_typeEEEZNS1_10merge_implIS3_NS0_12zip_iteratorINS5_IJN6thrust23THRUST_200600_302600_NS6detail15normal_iteratorINSC_10device_ptrIKsEEEESI_EEEEESK_NSA_INS5_IJNSE_INSF_IsEEEESM_EEEEEPS7_SP_SP_NSC_11hip_rocprim7__merge17predicate_wrapperIssNSC_4lessIsEEEEEE10hipError_tPvRmT0_T1_T2_T3_T4_T5_mmT6_P12ihipStream_tbEUlT_E_NS1_11comp_targetILNS1_3genE8ELNS1_11target_archE1030ELNS1_3gpuE2ELNS1_3repE0EEENS1_30default_config_static_selectorELNS0_4arch9wavefront6targetE0EEEvS10_
                                        ; -- End function
	.set _ZN7rocprim17ROCPRIM_400000_NS6detail17trampoline_kernelINS0_14default_configENS1_21merge_config_selectorINS0_5tupleIJssEEENS0_10empty_typeEEEZNS1_10merge_implIS3_NS0_12zip_iteratorINS5_IJN6thrust23THRUST_200600_302600_NS6detail15normal_iteratorINSC_10device_ptrIKsEEEESI_EEEEESK_NSA_INS5_IJNSE_INSF_IsEEEESM_EEEEEPS7_SP_SP_NSC_11hip_rocprim7__merge17predicate_wrapperIssNSC_4lessIsEEEEEE10hipError_tPvRmT0_T1_T2_T3_T4_T5_mmT6_P12ihipStream_tbEUlT_E_NS1_11comp_targetILNS1_3genE8ELNS1_11target_archE1030ELNS1_3gpuE2ELNS1_3repE0EEENS1_30default_config_static_selectorELNS0_4arch9wavefront6targetE0EEEvS10_.num_vgpr, 0
	.set _ZN7rocprim17ROCPRIM_400000_NS6detail17trampoline_kernelINS0_14default_configENS1_21merge_config_selectorINS0_5tupleIJssEEENS0_10empty_typeEEEZNS1_10merge_implIS3_NS0_12zip_iteratorINS5_IJN6thrust23THRUST_200600_302600_NS6detail15normal_iteratorINSC_10device_ptrIKsEEEESI_EEEEESK_NSA_INS5_IJNSE_INSF_IsEEEESM_EEEEEPS7_SP_SP_NSC_11hip_rocprim7__merge17predicate_wrapperIssNSC_4lessIsEEEEEE10hipError_tPvRmT0_T1_T2_T3_T4_T5_mmT6_P12ihipStream_tbEUlT_E_NS1_11comp_targetILNS1_3genE8ELNS1_11target_archE1030ELNS1_3gpuE2ELNS1_3repE0EEENS1_30default_config_static_selectorELNS0_4arch9wavefront6targetE0EEEvS10_.num_agpr, 0
	.set _ZN7rocprim17ROCPRIM_400000_NS6detail17trampoline_kernelINS0_14default_configENS1_21merge_config_selectorINS0_5tupleIJssEEENS0_10empty_typeEEEZNS1_10merge_implIS3_NS0_12zip_iteratorINS5_IJN6thrust23THRUST_200600_302600_NS6detail15normal_iteratorINSC_10device_ptrIKsEEEESI_EEEEESK_NSA_INS5_IJNSE_INSF_IsEEEESM_EEEEEPS7_SP_SP_NSC_11hip_rocprim7__merge17predicate_wrapperIssNSC_4lessIsEEEEEE10hipError_tPvRmT0_T1_T2_T3_T4_T5_mmT6_P12ihipStream_tbEUlT_E_NS1_11comp_targetILNS1_3genE8ELNS1_11target_archE1030ELNS1_3gpuE2ELNS1_3repE0EEENS1_30default_config_static_selectorELNS0_4arch9wavefront6targetE0EEEvS10_.numbered_sgpr, 0
	.set _ZN7rocprim17ROCPRIM_400000_NS6detail17trampoline_kernelINS0_14default_configENS1_21merge_config_selectorINS0_5tupleIJssEEENS0_10empty_typeEEEZNS1_10merge_implIS3_NS0_12zip_iteratorINS5_IJN6thrust23THRUST_200600_302600_NS6detail15normal_iteratorINSC_10device_ptrIKsEEEESI_EEEEESK_NSA_INS5_IJNSE_INSF_IsEEEESM_EEEEEPS7_SP_SP_NSC_11hip_rocprim7__merge17predicate_wrapperIssNSC_4lessIsEEEEEE10hipError_tPvRmT0_T1_T2_T3_T4_T5_mmT6_P12ihipStream_tbEUlT_E_NS1_11comp_targetILNS1_3genE8ELNS1_11target_archE1030ELNS1_3gpuE2ELNS1_3repE0EEENS1_30default_config_static_selectorELNS0_4arch9wavefront6targetE0EEEvS10_.num_named_barrier, 0
	.set _ZN7rocprim17ROCPRIM_400000_NS6detail17trampoline_kernelINS0_14default_configENS1_21merge_config_selectorINS0_5tupleIJssEEENS0_10empty_typeEEEZNS1_10merge_implIS3_NS0_12zip_iteratorINS5_IJN6thrust23THRUST_200600_302600_NS6detail15normal_iteratorINSC_10device_ptrIKsEEEESI_EEEEESK_NSA_INS5_IJNSE_INSF_IsEEEESM_EEEEEPS7_SP_SP_NSC_11hip_rocprim7__merge17predicate_wrapperIssNSC_4lessIsEEEEEE10hipError_tPvRmT0_T1_T2_T3_T4_T5_mmT6_P12ihipStream_tbEUlT_E_NS1_11comp_targetILNS1_3genE8ELNS1_11target_archE1030ELNS1_3gpuE2ELNS1_3repE0EEENS1_30default_config_static_selectorELNS0_4arch9wavefront6targetE0EEEvS10_.private_seg_size, 0
	.set _ZN7rocprim17ROCPRIM_400000_NS6detail17trampoline_kernelINS0_14default_configENS1_21merge_config_selectorINS0_5tupleIJssEEENS0_10empty_typeEEEZNS1_10merge_implIS3_NS0_12zip_iteratorINS5_IJN6thrust23THRUST_200600_302600_NS6detail15normal_iteratorINSC_10device_ptrIKsEEEESI_EEEEESK_NSA_INS5_IJNSE_INSF_IsEEEESM_EEEEEPS7_SP_SP_NSC_11hip_rocprim7__merge17predicate_wrapperIssNSC_4lessIsEEEEEE10hipError_tPvRmT0_T1_T2_T3_T4_T5_mmT6_P12ihipStream_tbEUlT_E_NS1_11comp_targetILNS1_3genE8ELNS1_11target_archE1030ELNS1_3gpuE2ELNS1_3repE0EEENS1_30default_config_static_selectorELNS0_4arch9wavefront6targetE0EEEvS10_.uses_vcc, 0
	.set _ZN7rocprim17ROCPRIM_400000_NS6detail17trampoline_kernelINS0_14default_configENS1_21merge_config_selectorINS0_5tupleIJssEEENS0_10empty_typeEEEZNS1_10merge_implIS3_NS0_12zip_iteratorINS5_IJN6thrust23THRUST_200600_302600_NS6detail15normal_iteratorINSC_10device_ptrIKsEEEESI_EEEEESK_NSA_INS5_IJNSE_INSF_IsEEEESM_EEEEEPS7_SP_SP_NSC_11hip_rocprim7__merge17predicate_wrapperIssNSC_4lessIsEEEEEE10hipError_tPvRmT0_T1_T2_T3_T4_T5_mmT6_P12ihipStream_tbEUlT_E_NS1_11comp_targetILNS1_3genE8ELNS1_11target_archE1030ELNS1_3gpuE2ELNS1_3repE0EEENS1_30default_config_static_selectorELNS0_4arch9wavefront6targetE0EEEvS10_.uses_flat_scratch, 0
	.set _ZN7rocprim17ROCPRIM_400000_NS6detail17trampoline_kernelINS0_14default_configENS1_21merge_config_selectorINS0_5tupleIJssEEENS0_10empty_typeEEEZNS1_10merge_implIS3_NS0_12zip_iteratorINS5_IJN6thrust23THRUST_200600_302600_NS6detail15normal_iteratorINSC_10device_ptrIKsEEEESI_EEEEESK_NSA_INS5_IJNSE_INSF_IsEEEESM_EEEEEPS7_SP_SP_NSC_11hip_rocprim7__merge17predicate_wrapperIssNSC_4lessIsEEEEEE10hipError_tPvRmT0_T1_T2_T3_T4_T5_mmT6_P12ihipStream_tbEUlT_E_NS1_11comp_targetILNS1_3genE8ELNS1_11target_archE1030ELNS1_3gpuE2ELNS1_3repE0EEENS1_30default_config_static_selectorELNS0_4arch9wavefront6targetE0EEEvS10_.has_dyn_sized_stack, 0
	.set _ZN7rocprim17ROCPRIM_400000_NS6detail17trampoline_kernelINS0_14default_configENS1_21merge_config_selectorINS0_5tupleIJssEEENS0_10empty_typeEEEZNS1_10merge_implIS3_NS0_12zip_iteratorINS5_IJN6thrust23THRUST_200600_302600_NS6detail15normal_iteratorINSC_10device_ptrIKsEEEESI_EEEEESK_NSA_INS5_IJNSE_INSF_IsEEEESM_EEEEEPS7_SP_SP_NSC_11hip_rocprim7__merge17predicate_wrapperIssNSC_4lessIsEEEEEE10hipError_tPvRmT0_T1_T2_T3_T4_T5_mmT6_P12ihipStream_tbEUlT_E_NS1_11comp_targetILNS1_3genE8ELNS1_11target_archE1030ELNS1_3gpuE2ELNS1_3repE0EEENS1_30default_config_static_selectorELNS0_4arch9wavefront6targetE0EEEvS10_.has_recursion, 0
	.set _ZN7rocprim17ROCPRIM_400000_NS6detail17trampoline_kernelINS0_14default_configENS1_21merge_config_selectorINS0_5tupleIJssEEENS0_10empty_typeEEEZNS1_10merge_implIS3_NS0_12zip_iteratorINS5_IJN6thrust23THRUST_200600_302600_NS6detail15normal_iteratorINSC_10device_ptrIKsEEEESI_EEEEESK_NSA_INS5_IJNSE_INSF_IsEEEESM_EEEEEPS7_SP_SP_NSC_11hip_rocprim7__merge17predicate_wrapperIssNSC_4lessIsEEEEEE10hipError_tPvRmT0_T1_T2_T3_T4_T5_mmT6_P12ihipStream_tbEUlT_E_NS1_11comp_targetILNS1_3genE8ELNS1_11target_archE1030ELNS1_3gpuE2ELNS1_3repE0EEENS1_30default_config_static_selectorELNS0_4arch9wavefront6targetE0EEEvS10_.has_indirect_call, 0
	.section	.AMDGPU.csdata,"",@progbits
; Kernel info:
; codeLenInByte = 0
; TotalNumSgprs: 0
; NumVgprs: 0
; ScratchSize: 0
; MemoryBound: 0
; FloatMode: 240
; IeeeMode: 1
; LDSByteSize: 0 bytes/workgroup (compile time only)
; SGPRBlocks: 0
; VGPRBlocks: 0
; NumSGPRsForWavesPerEU: 1
; NumVGPRsForWavesPerEU: 1
; NamedBarCnt: 0
; Occupancy: 16
; WaveLimiterHint : 0
; COMPUTE_PGM_RSRC2:SCRATCH_EN: 0
; COMPUTE_PGM_RSRC2:USER_SGPR: 2
; COMPUTE_PGM_RSRC2:TRAP_HANDLER: 0
; COMPUTE_PGM_RSRC2:TGID_X_EN: 1
; COMPUTE_PGM_RSRC2:TGID_Y_EN: 0
; COMPUTE_PGM_RSRC2:TGID_Z_EN: 0
; COMPUTE_PGM_RSRC2:TIDIG_COMP_CNT: 0
	.section	.text._ZN7rocprim17ROCPRIM_400000_NS6detail17trampoline_kernelINS0_14default_configENS1_21merge_config_selectorINS0_5tupleIJssEEENS0_10empty_typeEEEZNS1_10merge_implIS3_NS0_12zip_iteratorINS5_IJN6thrust23THRUST_200600_302600_NS6detail15normal_iteratorINSC_10device_ptrIKsEEEESI_EEEEESK_NSA_INS5_IJNSE_INSF_IsEEEESM_EEEEEPS7_SP_SP_NSC_11hip_rocprim7__merge17predicate_wrapperIssNSC_4lessIsEEEEEE10hipError_tPvRmT0_T1_T2_T3_T4_T5_mmT6_P12ihipStream_tbEUlT_E0_NS1_11comp_targetILNS1_3genE0ELNS1_11target_archE4294967295ELNS1_3gpuE0ELNS1_3repE0EEENS1_30default_config_static_selectorELNS0_4arch9wavefront6targetE0EEEvS10_,"axG",@progbits,_ZN7rocprim17ROCPRIM_400000_NS6detail17trampoline_kernelINS0_14default_configENS1_21merge_config_selectorINS0_5tupleIJssEEENS0_10empty_typeEEEZNS1_10merge_implIS3_NS0_12zip_iteratorINS5_IJN6thrust23THRUST_200600_302600_NS6detail15normal_iteratorINSC_10device_ptrIKsEEEESI_EEEEESK_NSA_INS5_IJNSE_INSF_IsEEEESM_EEEEEPS7_SP_SP_NSC_11hip_rocprim7__merge17predicate_wrapperIssNSC_4lessIsEEEEEE10hipError_tPvRmT0_T1_T2_T3_T4_T5_mmT6_P12ihipStream_tbEUlT_E0_NS1_11comp_targetILNS1_3genE0ELNS1_11target_archE4294967295ELNS1_3gpuE0ELNS1_3repE0EEENS1_30default_config_static_selectorELNS0_4arch9wavefront6targetE0EEEvS10_,comdat
	.protected	_ZN7rocprim17ROCPRIM_400000_NS6detail17trampoline_kernelINS0_14default_configENS1_21merge_config_selectorINS0_5tupleIJssEEENS0_10empty_typeEEEZNS1_10merge_implIS3_NS0_12zip_iteratorINS5_IJN6thrust23THRUST_200600_302600_NS6detail15normal_iteratorINSC_10device_ptrIKsEEEESI_EEEEESK_NSA_INS5_IJNSE_INSF_IsEEEESM_EEEEEPS7_SP_SP_NSC_11hip_rocprim7__merge17predicate_wrapperIssNSC_4lessIsEEEEEE10hipError_tPvRmT0_T1_T2_T3_T4_T5_mmT6_P12ihipStream_tbEUlT_E0_NS1_11comp_targetILNS1_3genE0ELNS1_11target_archE4294967295ELNS1_3gpuE0ELNS1_3repE0EEENS1_30default_config_static_selectorELNS0_4arch9wavefront6targetE0EEEvS10_ ; -- Begin function _ZN7rocprim17ROCPRIM_400000_NS6detail17trampoline_kernelINS0_14default_configENS1_21merge_config_selectorINS0_5tupleIJssEEENS0_10empty_typeEEEZNS1_10merge_implIS3_NS0_12zip_iteratorINS5_IJN6thrust23THRUST_200600_302600_NS6detail15normal_iteratorINSC_10device_ptrIKsEEEESI_EEEEESK_NSA_INS5_IJNSE_INSF_IsEEEESM_EEEEEPS7_SP_SP_NSC_11hip_rocprim7__merge17predicate_wrapperIssNSC_4lessIsEEEEEE10hipError_tPvRmT0_T1_T2_T3_T4_T5_mmT6_P12ihipStream_tbEUlT_E0_NS1_11comp_targetILNS1_3genE0ELNS1_11target_archE4294967295ELNS1_3gpuE0ELNS1_3repE0EEENS1_30default_config_static_selectorELNS0_4arch9wavefront6targetE0EEEvS10_
	.globl	_ZN7rocprim17ROCPRIM_400000_NS6detail17trampoline_kernelINS0_14default_configENS1_21merge_config_selectorINS0_5tupleIJssEEENS0_10empty_typeEEEZNS1_10merge_implIS3_NS0_12zip_iteratorINS5_IJN6thrust23THRUST_200600_302600_NS6detail15normal_iteratorINSC_10device_ptrIKsEEEESI_EEEEESK_NSA_INS5_IJNSE_INSF_IsEEEESM_EEEEEPS7_SP_SP_NSC_11hip_rocprim7__merge17predicate_wrapperIssNSC_4lessIsEEEEEE10hipError_tPvRmT0_T1_T2_T3_T4_T5_mmT6_P12ihipStream_tbEUlT_E0_NS1_11comp_targetILNS1_3genE0ELNS1_11target_archE4294967295ELNS1_3gpuE0ELNS1_3repE0EEENS1_30default_config_static_selectorELNS0_4arch9wavefront6targetE0EEEvS10_
	.p2align	8
	.type	_ZN7rocprim17ROCPRIM_400000_NS6detail17trampoline_kernelINS0_14default_configENS1_21merge_config_selectorINS0_5tupleIJssEEENS0_10empty_typeEEEZNS1_10merge_implIS3_NS0_12zip_iteratorINS5_IJN6thrust23THRUST_200600_302600_NS6detail15normal_iteratorINSC_10device_ptrIKsEEEESI_EEEEESK_NSA_INS5_IJNSE_INSF_IsEEEESM_EEEEEPS7_SP_SP_NSC_11hip_rocprim7__merge17predicate_wrapperIssNSC_4lessIsEEEEEE10hipError_tPvRmT0_T1_T2_T3_T4_T5_mmT6_P12ihipStream_tbEUlT_E0_NS1_11comp_targetILNS1_3genE0ELNS1_11target_archE4294967295ELNS1_3gpuE0ELNS1_3repE0EEENS1_30default_config_static_selectorELNS0_4arch9wavefront6targetE0EEEvS10_,@function
_ZN7rocprim17ROCPRIM_400000_NS6detail17trampoline_kernelINS0_14default_configENS1_21merge_config_selectorINS0_5tupleIJssEEENS0_10empty_typeEEEZNS1_10merge_implIS3_NS0_12zip_iteratorINS5_IJN6thrust23THRUST_200600_302600_NS6detail15normal_iteratorINSC_10device_ptrIKsEEEESI_EEEEESK_NSA_INS5_IJNSE_INSF_IsEEEESM_EEEEEPS7_SP_SP_NSC_11hip_rocprim7__merge17predicate_wrapperIssNSC_4lessIsEEEEEE10hipError_tPvRmT0_T1_T2_T3_T4_T5_mmT6_P12ihipStream_tbEUlT_E0_NS1_11comp_targetILNS1_3genE0ELNS1_11target_archE4294967295ELNS1_3gpuE0ELNS1_3repE0EEENS1_30default_config_static_selectorELNS0_4arch9wavefront6targetE0EEEvS10_: ; @_ZN7rocprim17ROCPRIM_400000_NS6detail17trampoline_kernelINS0_14default_configENS1_21merge_config_selectorINS0_5tupleIJssEEENS0_10empty_typeEEEZNS1_10merge_implIS3_NS0_12zip_iteratorINS5_IJN6thrust23THRUST_200600_302600_NS6detail15normal_iteratorINSC_10device_ptrIKsEEEESI_EEEEESK_NSA_INS5_IJNSE_INSF_IsEEEESM_EEEEEPS7_SP_SP_NSC_11hip_rocprim7__merge17predicate_wrapperIssNSC_4lessIsEEEEEE10hipError_tPvRmT0_T1_T2_T3_T4_T5_mmT6_P12ihipStream_tbEUlT_E0_NS1_11comp_targetILNS1_3genE0ELNS1_11target_archE4294967295ELNS1_3gpuE0ELNS1_3repE0EEENS1_30default_config_static_selectorELNS0_4arch9wavefront6targetE0EEEvS10_
; %bb.0:
	s_clause 0x1
	s_load_b128 s[12:15], s[0:1], 0x58
	s_load_b256 s[4:11], s[0:1], 0x8
	s_bfe_u32 s2, ttmp6, 0x4000c
	s_and_b32 s3, ttmp6, 15
	s_add_co_i32 s2, s2, 1
	s_wait_kmcnt 0x0
	s_getreg_b32 s13, hwreg(HW_REG_IB_STS2, 6, 4)
	s_mul_i32 s2, ttmp9, s2
	s_mov_b32 s19, 0
	s_add_co_i32 s3, s3, s2
	s_cmp_eq_u32 s13, 0
	v_mov_b32_e32 v1, 0
	s_cselect_b32 s2, ttmp9, s3
	s_add_co_i32 s22, s14, s12
	s_add_co_i32 s12, s2, 1
	s_add_co_i32 s3, s22, 0x9ff
	s_delay_alu instid0(SALU_CYCLE_1) | instskip(NEXT) | instid1(SALU_CYCLE_1)
	s_mul_hi_u32 s3, s3, 0xcccccccd
	s_lshr_b32 s3, s3, 11
	s_delay_alu instid0(SALU_CYCLE_1)
	s_min_u32 s16, s2, s3
	s_min_u32 s3, s12, s3
	s_clause 0x1
	s_load_b32 s18, s[4:5], s16 offset:0x0 scale_offset
	s_load_b32 s17, s[4:5], s3 offset:0x0 scale_offset
	s_load_b128 s[12:15], s[0:1], 0x28
	s_wait_xcnt 0x0
	s_mul_i32 s16, s2, 0xa00
	s_mov_b32 s3, s19
	s_add_co_i32 s2, s16, 0xa00
	s_delay_alu instid0(SALU_CYCLE_1)
	s_min_u32 s23, s22, s2
	s_wait_kmcnt 0x0
	s_sub_co_i32 s2, s16, s18
	s_lshl_b64 s[20:21], s[18:19], 1
	s_lshl_b64 s[24:25], s[2:3], 1
	s_add_co_i32 s2, s2, s17
	s_sub_co_i32 s18, s17, s18
	s_sub_co_i32 s2, s23, s2
	s_add_nc_u64 s[4:5], s[10:11], s[24:25]
	s_add_nc_u64 s[10:11], s[12:13], s[24:25]
	;; [unrolled: 1-line block ×3, first 2 shown]
	s_mov_b32 s3, exec_lo
	v_cmpx_le_u32_e64 s18, v0
	s_xor_b32 s3, exec_lo, s3
	s_cbranch_execz .LBB289_4
; %bb.1:
	s_mov_b32 s17, exec_lo
	v_cmpx_gt_u64_e64 s[12:13], v[0:1]
	s_cbranch_execz .LBB289_3
; %bb.2:
	v_subrev_nc_u32_e32 v2, s18, v0
	s_clause 0x1
	global_load_u16 v3, v2, s[4:5] scale_offset
	global_load_u16 v4, v2, s[10:11] scale_offset
	s_wait_xcnt 0x0
	v_lshlrev_b32_e32 v2, 2, v0
	s_wait_loadcnt 0x0
	v_perm_b32 v3, v4, v3, 0x5040100
	ds_store_b32 v2, v3
.LBB289_3:
	s_or_b32 exec_lo, exec_lo, s17
.LBB289_4:
	s_or_saveexec_b32 s3, s3
	v_lshlrev_b32_e32 v20, 2, v0
	s_add_nc_u64 s[6:7], s[6:7], s[20:21]
	s_add_nc_u64 s[8:9], s[8:9], s[20:21]
	s_xor_b32 exec_lo, exec_lo, s3
	s_cbranch_execz .LBB289_6
; %bb.5:
	s_clause 0x1
	global_load_u16 v2, v0, s[6:7] scale_offset
	global_load_u16 v3, v0, s[8:9] scale_offset
	s_wait_loadcnt 0x0
	v_perm_b32 v2, v3, v2, 0x5040100
	ds_store_b32 v20, v2
.LBB289_6:
	s_or_b32 exec_lo, exec_lo, s3
	v_or_b32_e32 v2, 0x100, v0
	v_mov_b32_e32 v3, 0
	s_mov_b32 s3, exec_lo
	s_delay_alu instid0(VALU_DEP_2)
	v_cmpx_le_u32_e64 s18, v2
	s_xor_b32 s3, exec_lo, s3
	s_cbranch_execz .LBB289_10
; %bb.7:
	s_mov_b32 s17, exec_lo
	v_cmpx_gt_u64_e64 s[12:13], v[2:3]
	s_cbranch_execz .LBB289_9
; %bb.8:
	v_sub_nc_u64_e64 v[4:5], v[0:1], s[18:19]
	s_delay_alu instid0(VALU_DEP_1) | instskip(NEXT) | instid1(VALU_DEP_1)
	v_lshlrev_b64_e32 v[4:5], 1, v[4:5]
	v_add_nc_u64_e32 v[6:7], s[4:5], v[4:5]
	v_add_nc_u64_e32 v[4:5], s[10:11], v[4:5]
	global_load_u16 v3, v[6:7], off offset:512
	global_load_u16 v8, v[4:5], off offset:512
	s_wait_loadcnt 0x0
	v_perm_b32 v3, v8, v3, 0x5040100
	ds_store_b32 v20, v3 offset:1024
.LBB289_9:
	s_or_b32 exec_lo, exec_lo, s17
.LBB289_10:
	s_and_not1_saveexec_b32 s3, s3
	s_cbranch_execz .LBB289_12
; %bb.11:
	s_clause 0x1
	global_load_u16 v3, v0, s[6:7] offset:512 scale_offset
	global_load_u16 v4, v0, s[8:9] offset:512 scale_offset
	s_wait_loadcnt 0x0
	v_perm_b32 v3, v4, v3, 0x5040100
	ds_store_b32 v20, v3 offset:1024
.LBB289_12:
	s_or_b32 exec_lo, exec_lo, s3
	v_or_b32_e32 v4, 0x200, v0
	v_mov_b32_e32 v5, 0
	s_mov_b32 s3, exec_lo
	s_delay_alu instid0(VALU_DEP_2)
	v_cmpx_le_u32_e64 s18, v4
	s_xor_b32 s3, exec_lo, s3
	s_cbranch_execz .LBB289_16
; %bb.13:
	s_mov_b32 s17, exec_lo
	v_cmpx_gt_u64_e64 s[12:13], v[4:5]
	s_cbranch_execz .LBB289_15
; %bb.14:
	v_sub_nc_u64_e64 v[6:7], v[0:1], s[18:19]
	s_delay_alu instid0(VALU_DEP_1) | instskip(NEXT) | instid1(VALU_DEP_1)
	v_lshlrev_b64_e32 v[6:7], 1, v[6:7]
	v_add_nc_u64_e32 v[8:9], s[4:5], v[6:7]
	v_add_nc_u64_e32 v[6:7], s[10:11], v[6:7]
	global_load_u16 v3, v[8:9], off offset:1024
	global_load_u16 v5, v[6:7], off offset:1024
	s_wait_loadcnt 0x0
	v_perm_b32 v3, v5, v3, 0x5040100
	ds_store_b32 v20, v3 offset:2048
.LBB289_15:
	s_or_b32 exec_lo, exec_lo, s17
.LBB289_16:
	s_and_not1_saveexec_b32 s3, s3
	s_cbranch_execz .LBB289_18
; %bb.17:
	s_clause 0x1
	global_load_u16 v3, v0, s[6:7] offset:1024 scale_offset
	global_load_u16 v5, v0, s[8:9] offset:1024 scale_offset
	s_wait_loadcnt 0x0
	v_perm_b32 v3, v5, v3, 0x5040100
	ds_store_b32 v20, v3 offset:2048
.LBB289_18:
	;; [unrolled: 36-line block ×8, first 2 shown]
	s_or_b32 exec_lo, exec_lo, s3
	v_or_b32_e32 v18, 0x900, v0
	v_mov_b32_e32 v19, 0
	s_mov_b32 s3, exec_lo
	s_delay_alu instid0(VALU_DEP_2)
	v_cmpx_le_u32_e64 s18, v18
	s_xor_b32 s3, exec_lo, s3
	s_cbranch_execz .LBB289_58
; %bb.55:
	v_cmp_gt_u64_e32 vcc_lo, s[12:13], v[18:19]
	s_and_saveexec_b32 s12, vcc_lo
	s_cbranch_execz .LBB289_57
; %bb.56:
	v_sub_nc_u64_e64 v[22:23], v[0:1], s[18:19]
	s_delay_alu instid0(VALU_DEP_1) | instskip(NEXT) | instid1(VALU_DEP_1)
	v_lshlrev_b64_e32 v[22:23], 1, v[22:23]
	v_add_nc_u64_e32 v[24:25], s[4:5], v[22:23]
	v_add_nc_u64_e32 v[22:23], s[10:11], v[22:23]
	global_load_u16 v1, v[24:25], off offset:4608
	global_load_u16 v3, v[22:23], off offset:4608
	s_wait_loadcnt 0x0
	v_perm_b32 v1, v3, v1, 0x5040100
	ds_store_b32 v20, v1 offset:9216
.LBB289_57:
	s_or_b32 exec_lo, exec_lo, s12
                                        ; implicit-def: $vgpr20
.LBB289_58:
	s_or_saveexec_b32 s3, s3
	s_load_b64 s[10:11], s[0:1], 0x38
	s_xor_b32 exec_lo, exec_lo, s3
	s_cbranch_execz .LBB289_60
; %bb.59:
	s_clause 0x1
	global_load_u16 v1, v0, s[6:7] offset:4608 scale_offset
	global_load_u16 v3, v0, s[8:9] offset:4608 scale_offset
	s_wait_loadcnt 0x0
	v_perm_b32 v1, v3, v1, 0x5040100
	ds_store_b32 v20, v1 offset:9216
.LBB289_60:
	s_or_b32 exec_lo, exec_lo, s3
	v_mul_u32_u24_e32 v3, 10, v0
	s_wait_xcnt 0x0
	s_mov_b32 s0, exec_lo
	s_wait_dscnt 0x0
	s_barrier_signal -1
	s_barrier_wait -1
	v_sub_nc_u32_e64 v11, v3, s2 clamp
	v_min_u32_e32 v5, s18, v3
	v_lshlrev_b32_e32 v1, 2, v3
	s_delay_alu instid0(VALU_DEP_2)
	v_cmpx_lt_u32_e64 v11, v5
	s_cbranch_execz .LBB289_64
; %bb.61:
	s_delay_alu instid0(VALU_DEP_2)
	v_lshl_add_u32 v7, s18, 2, v1
	s_mov_b32 s1, 0
.LBB289_62:                             ; =>This Inner Loop Header: Depth=1
	v_add_nc_u32_e32 v9, v5, v11
	s_delay_alu instid0(VALU_DEP_1) | instskip(NEXT) | instid1(VALU_DEP_1)
	v_lshrrev_b32_e32 v9, 1, v9
	v_not_b32_e32 v13, v9
	v_dual_lshlrev_b32 v15, 2, v9 :: v_dual_add_nc_u32 v17, 1, v9
	s_delay_alu instid0(VALU_DEP_2)
	v_lshl_add_u32 v13, v13, 2, v7
	ds_load_b32 v15, v15
	ds_load_b32 v13, v13
	s_wait_dscnt 0x0
	v_cmp_lt_i16_e32 vcc_lo, v13, v15
	v_cndmask_b32_e32 v11, v17, v11, vcc_lo
	v_cndmask_b32_e32 v5, v5, v9, vcc_lo
	s_delay_alu instid0(VALU_DEP_1) | instskip(SKIP_1) | instid1(SALU_CYCLE_1)
	v_cmp_ge_u32_e32 vcc_lo, v11, v5
	s_or_b32 s1, vcc_lo, s1
	s_and_not1_b32 exec_lo, exec_lo, s1
	s_cbranch_execnz .LBB289_62
; %bb.63:
	s_or_b32 exec_lo, exec_lo, s1
.LBB289_64:
	s_delay_alu instid0(SALU_CYCLE_1) | instskip(SKIP_4) | instid1(VALU_DEP_3)
	s_or_b32 exec_lo, exec_lo, s0
	v_dual_mov_b32 v20, 0 :: v_dual_add_nc_u32 v3, s18, v3
	v_mov_b32_e32 v21, 0
	s_add_co_i32 s12, s2, s18
	v_cmp_ge_u32_e32 vcc_lo, s18, v11
	v_dual_mov_b32 v22, 0 :: v_dual_sub_nc_u32 v13, v3, v11
	v_dual_mov_b32 v23, 0 :: v_dual_mov_b32 v24, 0
	v_mov_b32_e32 v25, 0
	s_delay_alu instid0(VALU_DEP_3) | instskip(SKIP_3) | instid1(SALU_CYCLE_1)
	v_cmp_ge_u32_e64 s0, s12, v13
	v_dual_mov_b32 v26, 0 :: v_dual_mov_b32 v27, 0
	v_dual_mov_b32 v28, 0 :: v_dual_mov_b32 v29, 0
	s_or_b32 s0, vcc_lo, s0
	s_and_saveexec_b32 s9, s0
	s_cbranch_execz .LBB289_70
; %bb.65:
	v_cmp_gt_u32_e32 vcc_lo, s18, v11
	v_dual_mov_b32 v5, 0 :: v_dual_mov_b32 v7, 0
	v_mov_b32_e32 v3, 0
	s_and_saveexec_b32 s0, vcc_lo
	s_cbranch_execz .LBB289_67
; %bb.66:
	v_lshlrev_b32_e32 v3, 2, v11
	ds_load_b32 v7, v3
	s_wait_dscnt 0x0
	v_lshrrev_b32_e32 v3, 16, v7
.LBB289_67:
	s_or_b32 exec_lo, exec_lo, s0
	v_cmp_le_u32_e64 s0, s12, v13
	v_mov_b32_e32 v9, 0
	s_mov_b32 s2, exec_lo
	v_cmpx_gt_u32_e64 s12, v13
	s_cbranch_execz .LBB289_69
; %bb.68:
	v_lshlrev_b32_e32 v5, 2, v13
	ds_load_b32 v5, v5
	s_wait_dscnt 0x0
	v_lshrrev_b32_e32 v9, 16, v5
.LBB289_69:
	s_or_b32 exec_lo, exec_lo, s2
	v_cmp_ge_i16_e64 s1, v5, v7
	s_delay_alu instid0(VALU_DEP_2) | instskip(SKIP_1) | instid1(SALU_CYCLE_1)
	v_dual_lshlrev_b32 v38, 16, v3 :: v_dual_lshlrev_b32 v39, 16, v9
	s_and_b32 s1, vcc_lo, s1
	s_or_b32 vcc_lo, s0, s1
	s_delay_alu instid0(SALU_CYCLE_1) | instskip(NEXT) | instid1(VALU_DEP_1)
	v_dual_mov_b32 v15, s18 :: v_dual_cndmask_b32 v17, v13, v11, vcc_lo
	v_dual_cndmask_b32 v19, s12, v15, vcc_lo :: v_dual_add_nc_u32 v17, 1, v17
	s_delay_alu instid0(VALU_DEP_1) | instskip(SKIP_1) | instid1(VALU_DEP_2)
	v_add_min_u32_e64 v19, v19, -1, v17
	v_cndmask_b32_e32 v11, v11, v17, vcc_lo
	v_dual_cndmask_b32 v13, v17, v13, vcc_lo :: v_dual_lshlrev_b32 v19, 2, v19
	s_delay_alu instid0(VALU_DEP_2) | instskip(NEXT) | instid1(VALU_DEP_2)
	v_cmp_gt_u32_e64 s0, s18, v11
	v_cmp_le_u32_e64 s2, s12, v13
	ds_load_b32 v19, v19
	s_wait_dscnt 0x0
	v_cndmask_b32_e32 v20, v19, v5, vcc_lo
	v_cndmask_b32_e32 v21, v7, v19, vcc_lo
	v_and_b32_e32 v5, 0xffff, v5
	v_and_b32_e32 v7, 0xffff, v7
	s_delay_alu instid0(VALU_DEP_3) | instskip(NEXT) | instid1(VALU_DEP_3)
	v_cmp_ge_i16_e64 s1, v20, v21
	v_or_b32_e32 v5, v39, v5
	s_and_b32 s0, s0, s1
	s_delay_alu instid0(SALU_CYCLE_1) | instskip(NEXT) | instid1(SALU_CYCLE_1)
	s_or_b32 s0, s2, s0
	v_cndmask_b32_e64 v17, v13, v11, s0
	s_delay_alu instid0(VALU_DEP_1) | instskip(NEXT) | instid1(VALU_DEP_1)
	v_dual_cndmask_b32 v22, s12, v15, s0 :: v_dual_add_nc_u32 v17, 1, v17
	v_add_min_u32_e64 v22, v22, -1, v17
	v_cndmask_b32_e64 v11, v11, v17, s0
	s_delay_alu instid0(VALU_DEP_2) | instskip(NEXT) | instid1(VALU_DEP_2)
	v_dual_cndmask_b32 v13, v17, v13, s0 :: v_dual_lshlrev_b32 v22, 2, v22
	v_cmp_gt_u32_e64 s1, s18, v11
	s_delay_alu instid0(VALU_DEP_2) | instskip(SKIP_4) | instid1(VALU_DEP_2)
	v_cmp_le_u32_e64 s3, s12, v13
	ds_load_b32 v22, v22
	s_wait_dscnt 0x0
	v_dual_cndmask_b32 v23, v22, v20, s0 :: v_dual_cndmask_b32 v24, v21, v22, s0
	v_lshrrev_b32_e32 v22, 16, v22
	v_cmp_ge_i16_e64 s2, v23, v24
	s_and_b32 s1, s1, s2
	s_delay_alu instid0(SALU_CYCLE_1) | instskip(NEXT) | instid1(SALU_CYCLE_1)
	s_or_b32 s1, s3, s1
	v_cndmask_b32_e64 v17, v13, v11, s1
	s_delay_alu instid0(VALU_DEP_1) | instskip(NEXT) | instid1(VALU_DEP_1)
	v_dual_cndmask_b32 v25, s12, v15, s1 :: v_dual_add_nc_u32 v17, 1, v17
	v_add_min_u32_e64 v25, v25, -1, v17
	s_delay_alu instid0(VALU_DEP_1)
	v_lshlrev_b32_e32 v25, 2, v25
	ds_load_b32 v25, v25
	s_wait_dscnt 0x0
	v_dual_cndmask_b32 v11, v11, v17, s1 :: v_dual_cndmask_b32 v26, v25, v23, s1
	v_cndmask_b32_e64 v13, v17, v13, s1
	v_cndmask_b32_e64 v27, v24, v25, s1
	s_delay_alu instid0(VALU_DEP_3) | instskip(NEXT) | instid1(VALU_DEP_3)
	v_cmp_gt_u32_e64 s2, s18, v11
	v_cmp_le_u32_e64 s4, s12, v13
	s_delay_alu instid0(VALU_DEP_3) | instskip(SKIP_1) | instid1(SALU_CYCLE_1)
	v_cmp_ge_i16_e64 s3, v26, v27
	s_and_b32 s2, s2, s3
	s_or_b32 s2, s4, s2
	s_delay_alu instid0(SALU_CYCLE_1) | instskip(NEXT) | instid1(VALU_DEP_1)
	v_cndmask_b32_e64 v17, v13, v11, s2
	v_dual_cndmask_b32 v28, s12, v15, s2 :: v_dual_add_nc_u32 v17, 1, v17
	s_delay_alu instid0(VALU_DEP_1) | instskip(NEXT) | instid1(VALU_DEP_1)
	v_add_min_u32_e64 v28, v28, -1, v17
	v_dual_cndmask_b32 v11, v11, v17, s2 :: v_dual_lshlrev_b32 v28, 2, v28
	s_delay_alu instid0(VALU_DEP_1) | instskip(SKIP_4) | instid1(VALU_DEP_2)
	v_cmp_gt_u32_e64 s3, s18, v11
	ds_load_b32 v28, v28
	s_wait_dscnt 0x0
	v_dual_cndmask_b32 v29, v28, v26, s2 :: v_dual_cndmask_b32 v30, v27, v28, s2
	v_cndmask_b32_e64 v13, v17, v13, s2
	v_cmp_ge_i16_e64 s4, v29, v30
	s_delay_alu instid0(VALU_DEP_2) | instskip(SKIP_1) | instid1(SALU_CYCLE_1)
	v_cmp_le_u32_e64 s5, s12, v13
	s_and_b32 s3, s3, s4
	s_or_b32 s3, s5, s3
	s_delay_alu instid0(SALU_CYCLE_1) | instskip(NEXT) | instid1(VALU_DEP_1)
	v_cndmask_b32_e64 v17, v13, v11, s3
	v_dual_cndmask_b32 v31, s12, v15, s3 :: v_dual_add_nc_u32 v17, 1, v17
	s_delay_alu instid0(VALU_DEP_1) | instskip(SKIP_1) | instid1(VALU_DEP_2)
	v_add_min_u32_e64 v31, v31, -1, v17
	v_cndmask_b32_e64 v11, v11, v17, s3
	v_dual_cndmask_b32 v13, v17, v13, s3 :: v_dual_lshlrev_b32 v31, 2, v31
	s_delay_alu instid0(VALU_DEP_2) | instskip(NEXT) | instid1(VALU_DEP_2)
	v_cmp_gt_u32_e64 s4, s18, v11
	v_cmp_le_u32_e64 s6, s12, v13
	ds_load_b32 v31, v31
	s_wait_dscnt 0x0
	v_dual_cndmask_b32 v32, v31, v29, s3 :: v_dual_cndmask_b32 v33, v30, v31, s3
	s_delay_alu instid0(VALU_DEP_1) | instskip(SKIP_1) | instid1(SALU_CYCLE_1)
	v_cmp_ge_i16_e64 s5, v32, v33
	s_and_b32 s4, s4, s5
	s_or_b32 s4, s6, s4
	s_delay_alu instid0(SALU_CYCLE_1) | instskip(NEXT) | instid1(VALU_DEP_1)
	v_cndmask_b32_e64 v17, v13, v11, s4
	v_dual_cndmask_b32 v34, s12, v15, s4 :: v_dual_add_nc_u32 v17, 1, v17
	s_delay_alu instid0(VALU_DEP_1) | instskip(NEXT) | instid1(VALU_DEP_1)
	v_add_min_u32_e64 v34, v34, -1, v17
	v_dual_cndmask_b32 v13, v17, v13, s4 :: v_dual_lshlrev_b32 v34, 2, v34
	s_delay_alu instid0(VALU_DEP_1) | instskip(SKIP_4) | instid1(VALU_DEP_2)
	v_cmp_le_u32_e64 s7, s12, v13
	ds_load_b32 v34, v34
	s_wait_dscnt 0x0
	v_dual_cndmask_b32 v11, v11, v17, s4 :: v_dual_cndmask_b32 v35, v34, v32, s4
	v_cndmask_b32_e64 v36, v33, v34, s4
	v_cmp_gt_u32_e64 s5, s18, v11
	s_delay_alu instid0(VALU_DEP_2) | instskip(SKIP_1) | instid1(SALU_CYCLE_1)
	v_cmp_ge_i16_e64 s6, v35, v36
	s_and_b32 s5, s5, s6
	s_or_b32 s5, s7, s5
	s_delay_alu instid0(SALU_CYCLE_1) | instskip(NEXT) | instid1(VALU_DEP_1)
	v_cndmask_b32_e64 v17, v13, v11, s5
	v_dual_cndmask_b32 v37, s12, v15, s5 :: v_dual_add_nc_u32 v17, 1, v17
	v_or_b32_e32 v7, v38, v7
	s_delay_alu instid0(VALU_DEP_2) | instskip(NEXT) | instid1(VALU_DEP_3)
	v_dual_lshrrev_b32 v19, 16, v19 :: v_dual_cndmask_b32 v13, v17, v13, s5
	v_add_min_u32_e64 v37, v37, -1, v17
	v_cndmask_b32_e64 v11, v11, v17, s5
	v_and_b32_e32 v17, 0xffff, v21
	s_delay_alu instid0(VALU_DEP_4) | instskip(NEXT) | instid1(VALU_DEP_4)
	v_cmp_le_u32_e64 s8, s12, v13
	v_lshlrev_b32_e32 v37, 2, v37
	s_delay_alu instid0(VALU_DEP_4) | instskip(SKIP_3) | instid1(VALU_DEP_1)
	v_cmp_gt_u32_e64 s6, s18, v11
	ds_load_b32 v37, v37
	s_wait_dscnt 0x0
	v_dual_cndmask_b32 v38, v37, v35, s5 :: v_dual_cndmask_b32 v40, v36, v37, s5
	v_cmp_ge_i16_e64 s7, v38, v40
	s_and_b32 s6, s6, s7
	s_delay_alu instid0(SALU_CYCLE_1) | instskip(SKIP_4) | instid1(VALU_DEP_4)
	s_or_b32 s6, s8, s6
	v_cndmask_b32_e32 v9, v19, v9, vcc_lo
	v_cndmask_b32_e32 v3, v3, v19, vcc_lo
	v_and_b32_e32 v19, 0xffff, v20
	v_cndmask_b32_e64 v20, v13, v11, s6
	v_dual_cndmask_b32 v41, s12, v15, s6 :: v_dual_lshlrev_b32 v39, 16, v9
	s_delay_alu instid0(VALU_DEP_4) | instskip(NEXT) | instid1(VALU_DEP_3)
	v_dual_lshlrev_b32 v21, 16, v3 :: v_dual_cndmask_b32 v3, v3, v22, s0
	v_dual_add_nc_u32 v42, 1, v20 :: v_dual_cndmask_b32 v20, v5, v7, vcc_lo
	v_cndmask_b32_e64 v9, v22, v9, s0
	s_delay_alu instid0(VALU_DEP_3) | instskip(SKIP_1) | instid1(VALU_DEP_4)
	v_or_b32_e32 v5, v21, v17
	v_dual_lshrrev_b32 v21, 16, v25 :: v_dual_bitop2_b32 v7, v39, v19 bitop3:0x54
	v_add_min_u32_e64 v17, v41, -1, v42
	v_and_b32_e32 v22, 0xffff, v23
	v_lshlrev_b32_e32 v23, 16, v3
	v_and_b32_e32 v19, 0xffff, v24
	v_dual_lshlrev_b32 v24, 16, v9 :: v_dual_cndmask_b32 v9, v21, v9, s1
	v_lshlrev_b32_e32 v17, 2, v17
	v_cndmask_b32_e64 v3, v3, v21, s1
	v_and_b32_e32 v21, 0xffff, v27
	v_and_b32_e32 v25, 0xffff, v26
	v_dual_lshrrev_b32 v23, 16, v28 :: v_dual_bitop2_b32 v19, v23, v19 bitop3:0x54
	ds_load_b32 v17, v17
	v_dual_lshlrev_b32 v26, 16, v3 :: v_dual_bitop2_b32 v22, v24, v22 bitop3:0x54
	v_dual_lshlrev_b32 v27, 16, v9 :: v_dual_cndmask_b32 v3, v3, v23, s2
	s_delay_alu instid0(VALU_DEP_2) | instskip(NEXT) | instid1(VALU_DEP_3)
	v_dual_cndmask_b32 v11, v11, v42, s6 :: v_dual_cndmask_b32 v22, v22, v19, s1
	v_or_b32_e32 v24, v26, v21
	s_delay_alu instid0(VALU_DEP_3) | instskip(SKIP_3) | instid1(VALU_DEP_4)
	v_or_b32_e32 v25, v27, v25
	v_cndmask_b32_e64 v21, v7, v5, s0
	v_dual_cndmask_b32 v5, v23, v9, s2 :: v_dual_lshlrev_b32 v19, 16, v3
	v_and_b32_e32 v7, 0xffff, v30
	v_dual_cndmask_b32 v23, v25, v24, s2 :: v_dual_cndmask_b32 v13, v42, v13, s6
	s_delay_alu instid0(VALU_DEP_3) | instskip(SKIP_1) | instid1(VALU_DEP_4)
	v_lshlrev_b32_e32 v24, 16, v5
	v_cmp_gt_u32_e32 vcc_lo, s18, v11
	v_or_b32_e32 v7, v19, v7
	v_and_b32_e32 v9, 0xffff, v29
	v_cmp_le_u32_e64 s1, s12, v13
	s_wait_dscnt 0x0
	v_dual_cndmask_b32 v27, v17, v38, s6 :: v_dual_cndmask_b32 v28, v40, v17, s6
	s_delay_alu instid0(VALU_DEP_3) | instskip(SKIP_2) | instid1(VALU_DEP_4)
	v_dual_lshrrev_b32 v19, 16, v31 :: v_dual_bitop2_b32 v9, v24, v9 bitop3:0x54
	v_lshrrev_b32_e32 v26, 16, v34
	v_and_b32_e32 v25, 0xffff, v32
	v_cmp_ge_i16_e64 s0, v27, v28
	s_delay_alu instid0(VALU_DEP_4) | instskip(SKIP_2) | instid1(SALU_CYCLE_1)
	v_cndmask_b32_e64 v3, v3, v19, s3
	v_and_b32_e32 v31, 0xffff, v35
	s_and_b32 s0, vcc_lo, s0
	s_or_b32 vcc_lo, s1, s0
	s_delay_alu instid0(SALU_CYCLE_1) | instskip(SKIP_3) | instid1(VALU_DEP_4)
	v_dual_cndmask_b32 v5, v19, v5, s3 :: v_dual_cndmask_b32 v24, v13, v11, vcc_lo
	v_lshlrev_b32_e32 v29, 16, v3
	v_cndmask_b32_e32 v15, s12, v15, vcc_lo
	v_and_b32_e32 v19, 0xffff, v33
	v_dual_add_nc_u32 v30, 1, v24 :: v_dual_lshlrev_b32 v24, 16, v5
	s_delay_alu instid0(VALU_DEP_2) | instskip(SKIP_1) | instid1(VALU_DEP_3)
	v_dual_cndmask_b32 v3, v3, v26, s4 :: v_dual_bitop2_b32 v19, v29, v19 bitop3:0x54
	v_cndmask_b32_e64 v5, v26, v5, s4
	v_add_min_u32_e64 v15, v15, -1, v30
	v_and_b32_e32 v26, 0xffff, v36
	s_delay_alu instid0(VALU_DEP_4) | instskip(NEXT) | instid1(VALU_DEP_4)
	v_dual_lshlrev_b32 v29, 16, v3 :: v_dual_bitop2_b32 v25, v24, v25 bitop3:0x54
	v_dual_cndmask_b32 v24, v9, v7, s3 :: v_dual_lshlrev_b32 v32, 16, v5
	s_delay_alu instid0(VALU_DEP_2) | instskip(NEXT) | instid1(VALU_DEP_3)
	v_dual_lshlrev_b32 v15, 2, v15 :: v_dual_bitop2_b32 v26, v29, v26 bitop3:0x54
	v_dual_lshrrev_b32 v29, 16, v37 :: v_dual_cndmask_b32 v25, v25, v19, s4
	v_lshrrev_b32_e32 v7, 16, v17
	ds_load_b32 v15, v15
	v_dual_cndmask_b32 v3, v3, v29, s5 :: v_dual_bitop2_b32 v31, v32, v31 bitop3:0x54
	v_cndmask_b32_e64 v5, v29, v5, s5
	v_and_b32_e32 v9, 0xffff, v40
	v_and_b32_e32 v17, 0xffff, v38
	s_delay_alu instid0(VALU_DEP_4) | instskip(SKIP_4) | instid1(VALU_DEP_3)
	v_cndmask_b32_e64 v26, v31, v26, s5
	v_cndmask_b32_e64 v19, v3, v7, s6
	v_dual_lshlrev_b32 v3, 16, v3 :: v_dual_cndmask_b32 v7, v7, v5, s6
	v_lshlrev_b32_e32 v5, 16, v5
	v_and_b32_e32 v29, 0xffff, v28
	v_dual_lshlrev_b32 v31, 16, v19 :: v_dual_bitop2_b32 v3, v3, v9 bitop3:0x54
	v_and_b32_e32 v32, 0xffff, v27
	s_delay_alu instid0(VALU_DEP_4) | instskip(NEXT) | instid1(VALU_DEP_3)
	v_dual_lshlrev_b32 v33, 16, v7 :: v_dual_bitop2_b32 v5, v5, v17 bitop3:0x54
	v_or_b32_e32 v9, v31, v29
	v_dual_cndmask_b32 v13, v30, v13, vcc_lo :: v_dual_cndmask_b32 v11, v11, v30, vcc_lo
	s_wait_dscnt 0x0
	s_delay_alu instid0(VALU_DEP_3) | instskip(SKIP_3) | instid1(VALU_DEP_4)
	v_dual_lshrrev_b32 v17, 16, v15 :: v_dual_bitop2_b32 v29, v33, v32 bitop3:0x54
	v_cndmask_b32_e32 v28, v28, v15, vcc_lo
	v_cndmask_b32_e32 v15, v15, v27, vcc_lo
	v_cmp_gt_u32_e64 s0, s18, v11
	v_dual_cndmask_b32 v19, v19, v17, vcc_lo :: v_dual_cndmask_b32 v7, v17, v7, vcc_lo
	s_delay_alu instid0(VALU_DEP_4) | instskip(NEXT) | instid1(VALU_DEP_4)
	v_and_b32_e32 v17, 0xffff, v28
	v_cmp_ge_i16_e64 s1, v15, v28
	v_cndmask_b32_e32 v28, v29, v9, vcc_lo
	v_and_b32_e32 v27, 0xffff, v15
	v_lshlrev_b32_e32 v19, 16, v19
	v_lshlrev_b32_e32 v7, 16, v7
	v_cmp_le_u32_e64 s2, s12, v13
	s_and_b32 s0, s0, s1
	v_or_b32_e32 v11, v19, v17
	v_or_b32_e32 v7, v7, v27
	s_or_b32 vcc_lo, s2, s0
	v_cndmask_b32_e64 v27, v5, v3, s6
	s_delay_alu instid0(VALU_DEP_2)
	v_cndmask_b32_e32 v29, v7, v11, vcc_lo
.LBB289_70:
	s_or_b32 exec_lo, exec_lo, s9
	v_mul_i32_i24_e32 v3, 0xffffffdc, v0
	s_mov_b32 s17, 0
	s_sub_co_i32 s4, s22, s16
	s_lshl_b64 s[2:3], s[16:17], 1
	s_cmp_gt_u32 s4, 0x9ff
	v_add_nc_u32_e32 v3, v1, v3
	s_add_nc_u64 s[0:1], s[14:15], s[2:3]
	s_wait_kmcnt 0x0
	s_add_nc_u64 s[2:3], s[10:11], s[2:3]
	s_barrier_signal -1
	s_barrier_wait -1
	ds_store_2addr_b64 v1, v[20:21], v[22:23] offset1:1
	ds_store_2addr_b64 v1, v[24:25], v[26:27] offset0:2 offset1:3
	ds_store_b64 v1, v[28:29] offset:32
	s_wait_dscnt 0x0
	s_cbranch_scc0 .LBB289_72
; %bb.71:
	s_barrier_signal -1
	s_barrier_wait -1
	ds_load_2addr_stride64_b32 v[22:23], v3 offset1:4
	ds_load_2addr_stride64_b32 v[24:25], v3 offset0:8 offset1:12
	ds_load_2addr_stride64_b32 v[26:27], v3 offset0:16 offset1:20
	;; [unrolled: 1-line block ×4, first 2 shown]
	s_mov_b32 s17, -1
	s_wait_dscnt 0x4
	s_clause 0x3
	global_store_b16 v0, v22, s[0:1] scale_offset
	global_store_d16_hi_b16 v0, v22, s[2:3] scale_offset
	global_store_b16 v0, v23, s[0:1] offset:512 scale_offset
	global_store_d16_hi_b16 v0, v23, s[2:3] offset:512 scale_offset
	s_wait_dscnt 0x3
	s_clause 0x3
	global_store_b16 v0, v24, s[0:1] offset:1024 scale_offset
	global_store_d16_hi_b16 v0, v24, s[2:3] offset:1024 scale_offset
	global_store_b16 v0, v25, s[0:1] offset:1536 scale_offset
	global_store_d16_hi_b16 v0, v25, s[2:3] offset:1536 scale_offset
	s_wait_dscnt 0x2
	s_clause 0x3
	global_store_b16 v0, v26, s[0:1] offset:2048 scale_offset
	global_store_d16_hi_b16 v0, v26, s[2:3] offset:2048 scale_offset
	;; [unrolled: 6-line block ×4, first 2 shown]
	s_cbranch_execz .LBB289_73
	s_branch .LBB289_84
.LBB289_72:
                                        ; implicit-def: $vgpr21
.LBB289_73:
	s_barrier_signal -1
	s_barrier_wait -1
	s_wait_storecnt 0x0
	ds_load_2addr_stride64_b32 v[32:33], v3 offset0:4 offset1:8
	ds_load_2addr_stride64_b32 v[30:31], v3 offset0:12 offset1:16
	s_wait_xcnt 0x2
	ds_load_2addr_stride64_b32 v[28:29], v3 offset0:20 offset1:24
	ds_load_2addr_stride64_b32 v[22:23], v3 offset0:28 offset1:32
	ds_load_b32 v21, v3 offset:9216
	v_dual_mov_b32 v27, 0 :: v_dual_lshlrev_b32 v26, 1, v0
	s_mov_b32 s5, exec_lo
	s_delay_alu instid0(VALU_DEP_1)
	v_add_nc_u64_e32 v[24:25], s[0:1], v[26:27]
	v_add_nc_u64_e32 v[26:27], s[2:3], v[26:27]
	s_wait_xcnt 0x0
	v_cmpx_gt_u32_e64 s4, v0
	s_cbranch_execnz .LBB289_87
; %bb.74:
	s_or_b32 exec_lo, exec_lo, s5
	s_delay_alu instid0(SALU_CYCLE_1)
	s_mov_b32 s5, exec_lo
	v_cmpx_gt_u32_e64 s4, v2
	s_cbranch_execnz .LBB289_88
.LBB289_75:
	s_or_b32 exec_lo, exec_lo, s5
	s_delay_alu instid0(SALU_CYCLE_1)
	s_mov_b32 s5, exec_lo
	v_cmpx_gt_u32_e64 s4, v4
	s_cbranch_execnz .LBB289_89
.LBB289_76:
	s_or_b32 exec_lo, exec_lo, s5
	s_delay_alu instid0(SALU_CYCLE_1)
	s_mov_b32 s5, exec_lo
	v_cmpx_gt_u32_e64 s4, v6
	s_cbranch_execnz .LBB289_90
.LBB289_77:
	s_or_b32 exec_lo, exec_lo, s5
	s_delay_alu instid0(SALU_CYCLE_1)
	s_mov_b32 s5, exec_lo
	v_cmpx_gt_u32_e64 s4, v8
	s_cbranch_execnz .LBB289_91
.LBB289_78:
	s_or_b32 exec_lo, exec_lo, s5
	s_delay_alu instid0(SALU_CYCLE_1)
	s_mov_b32 s5, exec_lo
	v_cmpx_gt_u32_e64 s4, v10
	s_cbranch_execnz .LBB289_92
.LBB289_79:
	s_or_b32 exec_lo, exec_lo, s5
	s_delay_alu instid0(SALU_CYCLE_1)
	s_mov_b32 s5, exec_lo
	v_cmpx_gt_u32_e64 s4, v12
	s_cbranch_execnz .LBB289_93
.LBB289_80:
	s_or_b32 exec_lo, exec_lo, s5
	s_delay_alu instid0(SALU_CYCLE_1)
	s_mov_b32 s5, exec_lo
	v_cmpx_gt_u32_e64 s4, v14
	s_cbranch_execnz .LBB289_94
.LBB289_81:
	s_or_b32 exec_lo, exec_lo, s5
	s_delay_alu instid0(SALU_CYCLE_1)
	s_mov_b32 s5, exec_lo
	v_cmpx_gt_u32_e64 s4, v16
	s_cbranch_execz .LBB289_83
.LBB289_82:
	s_wait_dscnt 0x1
	global_store_b16 v[24:25], v23, off offset:4096
	global_store_d16_hi_b16 v[26:27], v23, off offset:4096
.LBB289_83:
	s_wait_xcnt 0x0
	s_or_b32 exec_lo, exec_lo, s5
	v_cmp_gt_u32_e64 s17, s4, v18
.LBB289_84:
	s_wait_xcnt 0x0
	s_delay_alu instid0(VALU_DEP_1)
	s_and_saveexec_b32 s4, s17
	s_cbranch_execnz .LBB289_86
; %bb.85:
	s_endpgm
.LBB289_86:
	s_wait_dscnt 0x0
	s_clause 0x1
	global_store_b16 v0, v21, s[0:1] offset:4608 scale_offset
	global_store_d16_hi_b16 v0, v21, s[2:3] offset:4608 scale_offset
	s_endpgm
.LBB289_87:
	ds_load_b32 v1, v3
	s_wait_dscnt 0x0
	global_store_b16 v[24:25], v1, off
	global_store_d16_hi_b16 v[26:27], v1, off
	s_wait_xcnt 0x0
	s_or_b32 exec_lo, exec_lo, s5
	s_delay_alu instid0(SALU_CYCLE_1)
	s_mov_b32 s5, exec_lo
	v_cmpx_gt_u32_e64 s4, v2
	s_cbranch_execz .LBB289_75
.LBB289_88:
	s_wait_dscnt 0x4
	global_store_b16 v[24:25], v32, off offset:512
	global_store_d16_hi_b16 v[26:27], v32, off offset:512
	s_wait_xcnt 0x0
	s_or_b32 exec_lo, exec_lo, s5
	s_delay_alu instid0(SALU_CYCLE_1)
	s_mov_b32 s5, exec_lo
	v_cmpx_gt_u32_e64 s4, v4
	s_cbranch_execz .LBB289_76
.LBB289_89:
	s_wait_dscnt 0x4
	global_store_b16 v[24:25], v33, off offset:1024
	global_store_d16_hi_b16 v[26:27], v33, off offset:1024
	s_wait_xcnt 0x0
	s_or_b32 exec_lo, exec_lo, s5
	s_delay_alu instid0(SALU_CYCLE_1)
	s_mov_b32 s5, exec_lo
	v_cmpx_gt_u32_e64 s4, v6
	s_cbranch_execz .LBB289_77
.LBB289_90:
	s_wait_dscnt 0x3
	global_store_b16 v[24:25], v30, off offset:1536
	global_store_d16_hi_b16 v[26:27], v30, off offset:1536
	s_wait_xcnt 0x0
	s_or_b32 exec_lo, exec_lo, s5
	s_delay_alu instid0(SALU_CYCLE_1)
	s_mov_b32 s5, exec_lo
	v_cmpx_gt_u32_e64 s4, v8
	s_cbranch_execz .LBB289_78
.LBB289_91:
	s_wait_dscnt 0x3
	global_store_b16 v[24:25], v31, off offset:2048
	global_store_d16_hi_b16 v[26:27], v31, off offset:2048
	s_wait_xcnt 0x0
	s_or_b32 exec_lo, exec_lo, s5
	s_delay_alu instid0(SALU_CYCLE_1)
	s_mov_b32 s5, exec_lo
	v_cmpx_gt_u32_e64 s4, v10
	s_cbranch_execz .LBB289_79
.LBB289_92:
	s_wait_dscnt 0x2
	global_store_b16 v[24:25], v28, off offset:2560
	global_store_d16_hi_b16 v[26:27], v28, off offset:2560
	s_wait_xcnt 0x0
	s_or_b32 exec_lo, exec_lo, s5
	s_delay_alu instid0(SALU_CYCLE_1)
	s_mov_b32 s5, exec_lo
	v_cmpx_gt_u32_e64 s4, v12
	s_cbranch_execz .LBB289_80
.LBB289_93:
	s_wait_dscnt 0x2
	global_store_b16 v[24:25], v29, off offset:3072
	global_store_d16_hi_b16 v[26:27], v29, off offset:3072
	s_wait_xcnt 0x0
	s_or_b32 exec_lo, exec_lo, s5
	s_delay_alu instid0(SALU_CYCLE_1)
	s_mov_b32 s5, exec_lo
	v_cmpx_gt_u32_e64 s4, v14
	s_cbranch_execz .LBB289_81
.LBB289_94:
	s_wait_dscnt 0x1
	global_store_b16 v[24:25], v22, off offset:3584
	global_store_d16_hi_b16 v[26:27], v22, off offset:3584
	s_wait_xcnt 0x0
	s_or_b32 exec_lo, exec_lo, s5
	s_delay_alu instid0(SALU_CYCLE_1)
	s_mov_b32 s5, exec_lo
	v_cmpx_gt_u32_e64 s4, v16
	s_cbranch_execnz .LBB289_82
	s_branch .LBB289_83
	.section	.rodata,"a",@progbits
	.p2align	6, 0x0
	.amdhsa_kernel _ZN7rocprim17ROCPRIM_400000_NS6detail17trampoline_kernelINS0_14default_configENS1_21merge_config_selectorINS0_5tupleIJssEEENS0_10empty_typeEEEZNS1_10merge_implIS3_NS0_12zip_iteratorINS5_IJN6thrust23THRUST_200600_302600_NS6detail15normal_iteratorINSC_10device_ptrIKsEEEESI_EEEEESK_NSA_INS5_IJNSE_INSF_IsEEEESM_EEEEEPS7_SP_SP_NSC_11hip_rocprim7__merge17predicate_wrapperIssNSC_4lessIsEEEEEE10hipError_tPvRmT0_T1_T2_T3_T4_T5_mmT6_P12ihipStream_tbEUlT_E0_NS1_11comp_targetILNS1_3genE0ELNS1_11target_archE4294967295ELNS1_3gpuE0ELNS1_3repE0EEENS1_30default_config_static_selectorELNS0_4arch9wavefront6targetE0EEEvS10_
		.amdhsa_group_segment_fixed_size 10256
		.amdhsa_private_segment_fixed_size 0
		.amdhsa_kernarg_size 112
		.amdhsa_user_sgpr_count 2
		.amdhsa_user_sgpr_dispatch_ptr 0
		.amdhsa_user_sgpr_queue_ptr 0
		.amdhsa_user_sgpr_kernarg_segment_ptr 1
		.amdhsa_user_sgpr_dispatch_id 0
		.amdhsa_user_sgpr_kernarg_preload_length 0
		.amdhsa_user_sgpr_kernarg_preload_offset 0
		.amdhsa_user_sgpr_private_segment_size 0
		.amdhsa_wavefront_size32 1
		.amdhsa_uses_dynamic_stack 0
		.amdhsa_enable_private_segment 0
		.amdhsa_system_sgpr_workgroup_id_x 1
		.amdhsa_system_sgpr_workgroup_id_y 0
		.amdhsa_system_sgpr_workgroup_id_z 0
		.amdhsa_system_sgpr_workgroup_info 0
		.amdhsa_system_vgpr_workitem_id 0
		.amdhsa_next_free_vgpr 43
		.amdhsa_next_free_sgpr 26
		.amdhsa_named_barrier_count 0
		.amdhsa_reserve_vcc 1
		.amdhsa_float_round_mode_32 0
		.amdhsa_float_round_mode_16_64 0
		.amdhsa_float_denorm_mode_32 3
		.amdhsa_float_denorm_mode_16_64 3
		.amdhsa_fp16_overflow 0
		.amdhsa_memory_ordered 1
		.amdhsa_forward_progress 1
		.amdhsa_inst_pref_size 43
		.amdhsa_round_robin_scheduling 0
		.amdhsa_exception_fp_ieee_invalid_op 0
		.amdhsa_exception_fp_denorm_src 0
		.amdhsa_exception_fp_ieee_div_zero 0
		.amdhsa_exception_fp_ieee_overflow 0
		.amdhsa_exception_fp_ieee_underflow 0
		.amdhsa_exception_fp_ieee_inexact 0
		.amdhsa_exception_int_div_zero 0
	.end_amdhsa_kernel
	.section	.text._ZN7rocprim17ROCPRIM_400000_NS6detail17trampoline_kernelINS0_14default_configENS1_21merge_config_selectorINS0_5tupleIJssEEENS0_10empty_typeEEEZNS1_10merge_implIS3_NS0_12zip_iteratorINS5_IJN6thrust23THRUST_200600_302600_NS6detail15normal_iteratorINSC_10device_ptrIKsEEEESI_EEEEESK_NSA_INS5_IJNSE_INSF_IsEEEESM_EEEEEPS7_SP_SP_NSC_11hip_rocprim7__merge17predicate_wrapperIssNSC_4lessIsEEEEEE10hipError_tPvRmT0_T1_T2_T3_T4_T5_mmT6_P12ihipStream_tbEUlT_E0_NS1_11comp_targetILNS1_3genE0ELNS1_11target_archE4294967295ELNS1_3gpuE0ELNS1_3repE0EEENS1_30default_config_static_selectorELNS0_4arch9wavefront6targetE0EEEvS10_,"axG",@progbits,_ZN7rocprim17ROCPRIM_400000_NS6detail17trampoline_kernelINS0_14default_configENS1_21merge_config_selectorINS0_5tupleIJssEEENS0_10empty_typeEEEZNS1_10merge_implIS3_NS0_12zip_iteratorINS5_IJN6thrust23THRUST_200600_302600_NS6detail15normal_iteratorINSC_10device_ptrIKsEEEESI_EEEEESK_NSA_INS5_IJNSE_INSF_IsEEEESM_EEEEEPS7_SP_SP_NSC_11hip_rocprim7__merge17predicate_wrapperIssNSC_4lessIsEEEEEE10hipError_tPvRmT0_T1_T2_T3_T4_T5_mmT6_P12ihipStream_tbEUlT_E0_NS1_11comp_targetILNS1_3genE0ELNS1_11target_archE4294967295ELNS1_3gpuE0ELNS1_3repE0EEENS1_30default_config_static_selectorELNS0_4arch9wavefront6targetE0EEEvS10_,comdat
.Lfunc_end289:
	.size	_ZN7rocprim17ROCPRIM_400000_NS6detail17trampoline_kernelINS0_14default_configENS1_21merge_config_selectorINS0_5tupleIJssEEENS0_10empty_typeEEEZNS1_10merge_implIS3_NS0_12zip_iteratorINS5_IJN6thrust23THRUST_200600_302600_NS6detail15normal_iteratorINSC_10device_ptrIKsEEEESI_EEEEESK_NSA_INS5_IJNSE_INSF_IsEEEESM_EEEEEPS7_SP_SP_NSC_11hip_rocprim7__merge17predicate_wrapperIssNSC_4lessIsEEEEEE10hipError_tPvRmT0_T1_T2_T3_T4_T5_mmT6_P12ihipStream_tbEUlT_E0_NS1_11comp_targetILNS1_3genE0ELNS1_11target_archE4294967295ELNS1_3gpuE0ELNS1_3repE0EEENS1_30default_config_static_selectorELNS0_4arch9wavefront6targetE0EEEvS10_, .Lfunc_end289-_ZN7rocprim17ROCPRIM_400000_NS6detail17trampoline_kernelINS0_14default_configENS1_21merge_config_selectorINS0_5tupleIJssEEENS0_10empty_typeEEEZNS1_10merge_implIS3_NS0_12zip_iteratorINS5_IJN6thrust23THRUST_200600_302600_NS6detail15normal_iteratorINSC_10device_ptrIKsEEEESI_EEEEESK_NSA_INS5_IJNSE_INSF_IsEEEESM_EEEEEPS7_SP_SP_NSC_11hip_rocprim7__merge17predicate_wrapperIssNSC_4lessIsEEEEEE10hipError_tPvRmT0_T1_T2_T3_T4_T5_mmT6_P12ihipStream_tbEUlT_E0_NS1_11comp_targetILNS1_3genE0ELNS1_11target_archE4294967295ELNS1_3gpuE0ELNS1_3repE0EEENS1_30default_config_static_selectorELNS0_4arch9wavefront6targetE0EEEvS10_
                                        ; -- End function
	.set _ZN7rocprim17ROCPRIM_400000_NS6detail17trampoline_kernelINS0_14default_configENS1_21merge_config_selectorINS0_5tupleIJssEEENS0_10empty_typeEEEZNS1_10merge_implIS3_NS0_12zip_iteratorINS5_IJN6thrust23THRUST_200600_302600_NS6detail15normal_iteratorINSC_10device_ptrIKsEEEESI_EEEEESK_NSA_INS5_IJNSE_INSF_IsEEEESM_EEEEEPS7_SP_SP_NSC_11hip_rocprim7__merge17predicate_wrapperIssNSC_4lessIsEEEEEE10hipError_tPvRmT0_T1_T2_T3_T4_T5_mmT6_P12ihipStream_tbEUlT_E0_NS1_11comp_targetILNS1_3genE0ELNS1_11target_archE4294967295ELNS1_3gpuE0ELNS1_3repE0EEENS1_30default_config_static_selectorELNS0_4arch9wavefront6targetE0EEEvS10_.num_vgpr, 43
	.set _ZN7rocprim17ROCPRIM_400000_NS6detail17trampoline_kernelINS0_14default_configENS1_21merge_config_selectorINS0_5tupleIJssEEENS0_10empty_typeEEEZNS1_10merge_implIS3_NS0_12zip_iteratorINS5_IJN6thrust23THRUST_200600_302600_NS6detail15normal_iteratorINSC_10device_ptrIKsEEEESI_EEEEESK_NSA_INS5_IJNSE_INSF_IsEEEESM_EEEEEPS7_SP_SP_NSC_11hip_rocprim7__merge17predicate_wrapperIssNSC_4lessIsEEEEEE10hipError_tPvRmT0_T1_T2_T3_T4_T5_mmT6_P12ihipStream_tbEUlT_E0_NS1_11comp_targetILNS1_3genE0ELNS1_11target_archE4294967295ELNS1_3gpuE0ELNS1_3repE0EEENS1_30default_config_static_selectorELNS0_4arch9wavefront6targetE0EEEvS10_.num_agpr, 0
	.set _ZN7rocprim17ROCPRIM_400000_NS6detail17trampoline_kernelINS0_14default_configENS1_21merge_config_selectorINS0_5tupleIJssEEENS0_10empty_typeEEEZNS1_10merge_implIS3_NS0_12zip_iteratorINS5_IJN6thrust23THRUST_200600_302600_NS6detail15normal_iteratorINSC_10device_ptrIKsEEEESI_EEEEESK_NSA_INS5_IJNSE_INSF_IsEEEESM_EEEEEPS7_SP_SP_NSC_11hip_rocprim7__merge17predicate_wrapperIssNSC_4lessIsEEEEEE10hipError_tPvRmT0_T1_T2_T3_T4_T5_mmT6_P12ihipStream_tbEUlT_E0_NS1_11comp_targetILNS1_3genE0ELNS1_11target_archE4294967295ELNS1_3gpuE0ELNS1_3repE0EEENS1_30default_config_static_selectorELNS0_4arch9wavefront6targetE0EEEvS10_.numbered_sgpr, 26
	.set _ZN7rocprim17ROCPRIM_400000_NS6detail17trampoline_kernelINS0_14default_configENS1_21merge_config_selectorINS0_5tupleIJssEEENS0_10empty_typeEEEZNS1_10merge_implIS3_NS0_12zip_iteratorINS5_IJN6thrust23THRUST_200600_302600_NS6detail15normal_iteratorINSC_10device_ptrIKsEEEESI_EEEEESK_NSA_INS5_IJNSE_INSF_IsEEEESM_EEEEEPS7_SP_SP_NSC_11hip_rocprim7__merge17predicate_wrapperIssNSC_4lessIsEEEEEE10hipError_tPvRmT0_T1_T2_T3_T4_T5_mmT6_P12ihipStream_tbEUlT_E0_NS1_11comp_targetILNS1_3genE0ELNS1_11target_archE4294967295ELNS1_3gpuE0ELNS1_3repE0EEENS1_30default_config_static_selectorELNS0_4arch9wavefront6targetE0EEEvS10_.num_named_barrier, 0
	.set _ZN7rocprim17ROCPRIM_400000_NS6detail17trampoline_kernelINS0_14default_configENS1_21merge_config_selectorINS0_5tupleIJssEEENS0_10empty_typeEEEZNS1_10merge_implIS3_NS0_12zip_iteratorINS5_IJN6thrust23THRUST_200600_302600_NS6detail15normal_iteratorINSC_10device_ptrIKsEEEESI_EEEEESK_NSA_INS5_IJNSE_INSF_IsEEEESM_EEEEEPS7_SP_SP_NSC_11hip_rocprim7__merge17predicate_wrapperIssNSC_4lessIsEEEEEE10hipError_tPvRmT0_T1_T2_T3_T4_T5_mmT6_P12ihipStream_tbEUlT_E0_NS1_11comp_targetILNS1_3genE0ELNS1_11target_archE4294967295ELNS1_3gpuE0ELNS1_3repE0EEENS1_30default_config_static_selectorELNS0_4arch9wavefront6targetE0EEEvS10_.private_seg_size, 0
	.set _ZN7rocprim17ROCPRIM_400000_NS6detail17trampoline_kernelINS0_14default_configENS1_21merge_config_selectorINS0_5tupleIJssEEENS0_10empty_typeEEEZNS1_10merge_implIS3_NS0_12zip_iteratorINS5_IJN6thrust23THRUST_200600_302600_NS6detail15normal_iteratorINSC_10device_ptrIKsEEEESI_EEEEESK_NSA_INS5_IJNSE_INSF_IsEEEESM_EEEEEPS7_SP_SP_NSC_11hip_rocprim7__merge17predicate_wrapperIssNSC_4lessIsEEEEEE10hipError_tPvRmT0_T1_T2_T3_T4_T5_mmT6_P12ihipStream_tbEUlT_E0_NS1_11comp_targetILNS1_3genE0ELNS1_11target_archE4294967295ELNS1_3gpuE0ELNS1_3repE0EEENS1_30default_config_static_selectorELNS0_4arch9wavefront6targetE0EEEvS10_.uses_vcc, 1
	.set _ZN7rocprim17ROCPRIM_400000_NS6detail17trampoline_kernelINS0_14default_configENS1_21merge_config_selectorINS0_5tupleIJssEEENS0_10empty_typeEEEZNS1_10merge_implIS3_NS0_12zip_iteratorINS5_IJN6thrust23THRUST_200600_302600_NS6detail15normal_iteratorINSC_10device_ptrIKsEEEESI_EEEEESK_NSA_INS5_IJNSE_INSF_IsEEEESM_EEEEEPS7_SP_SP_NSC_11hip_rocprim7__merge17predicate_wrapperIssNSC_4lessIsEEEEEE10hipError_tPvRmT0_T1_T2_T3_T4_T5_mmT6_P12ihipStream_tbEUlT_E0_NS1_11comp_targetILNS1_3genE0ELNS1_11target_archE4294967295ELNS1_3gpuE0ELNS1_3repE0EEENS1_30default_config_static_selectorELNS0_4arch9wavefront6targetE0EEEvS10_.uses_flat_scratch, 0
	.set _ZN7rocprim17ROCPRIM_400000_NS6detail17trampoline_kernelINS0_14default_configENS1_21merge_config_selectorINS0_5tupleIJssEEENS0_10empty_typeEEEZNS1_10merge_implIS3_NS0_12zip_iteratorINS5_IJN6thrust23THRUST_200600_302600_NS6detail15normal_iteratorINSC_10device_ptrIKsEEEESI_EEEEESK_NSA_INS5_IJNSE_INSF_IsEEEESM_EEEEEPS7_SP_SP_NSC_11hip_rocprim7__merge17predicate_wrapperIssNSC_4lessIsEEEEEE10hipError_tPvRmT0_T1_T2_T3_T4_T5_mmT6_P12ihipStream_tbEUlT_E0_NS1_11comp_targetILNS1_3genE0ELNS1_11target_archE4294967295ELNS1_3gpuE0ELNS1_3repE0EEENS1_30default_config_static_selectorELNS0_4arch9wavefront6targetE0EEEvS10_.has_dyn_sized_stack, 0
	.set _ZN7rocprim17ROCPRIM_400000_NS6detail17trampoline_kernelINS0_14default_configENS1_21merge_config_selectorINS0_5tupleIJssEEENS0_10empty_typeEEEZNS1_10merge_implIS3_NS0_12zip_iteratorINS5_IJN6thrust23THRUST_200600_302600_NS6detail15normal_iteratorINSC_10device_ptrIKsEEEESI_EEEEESK_NSA_INS5_IJNSE_INSF_IsEEEESM_EEEEEPS7_SP_SP_NSC_11hip_rocprim7__merge17predicate_wrapperIssNSC_4lessIsEEEEEE10hipError_tPvRmT0_T1_T2_T3_T4_T5_mmT6_P12ihipStream_tbEUlT_E0_NS1_11comp_targetILNS1_3genE0ELNS1_11target_archE4294967295ELNS1_3gpuE0ELNS1_3repE0EEENS1_30default_config_static_selectorELNS0_4arch9wavefront6targetE0EEEvS10_.has_recursion, 0
	.set _ZN7rocprim17ROCPRIM_400000_NS6detail17trampoline_kernelINS0_14default_configENS1_21merge_config_selectorINS0_5tupleIJssEEENS0_10empty_typeEEEZNS1_10merge_implIS3_NS0_12zip_iteratorINS5_IJN6thrust23THRUST_200600_302600_NS6detail15normal_iteratorINSC_10device_ptrIKsEEEESI_EEEEESK_NSA_INS5_IJNSE_INSF_IsEEEESM_EEEEEPS7_SP_SP_NSC_11hip_rocprim7__merge17predicate_wrapperIssNSC_4lessIsEEEEEE10hipError_tPvRmT0_T1_T2_T3_T4_T5_mmT6_P12ihipStream_tbEUlT_E0_NS1_11comp_targetILNS1_3genE0ELNS1_11target_archE4294967295ELNS1_3gpuE0ELNS1_3repE0EEENS1_30default_config_static_selectorELNS0_4arch9wavefront6targetE0EEEvS10_.has_indirect_call, 0
	.section	.AMDGPU.csdata,"",@progbits
; Kernel info:
; codeLenInByte = 5456
; TotalNumSgprs: 28
; NumVgprs: 43
; ScratchSize: 0
; MemoryBound: 0
; FloatMode: 240
; IeeeMode: 1
; LDSByteSize: 10256 bytes/workgroup (compile time only)
; SGPRBlocks: 0
; VGPRBlocks: 2
; NumSGPRsForWavesPerEU: 28
; NumVGPRsForWavesPerEU: 43
; NamedBarCnt: 0
; Occupancy: 16
; WaveLimiterHint : 1
; COMPUTE_PGM_RSRC2:SCRATCH_EN: 0
; COMPUTE_PGM_RSRC2:USER_SGPR: 2
; COMPUTE_PGM_RSRC2:TRAP_HANDLER: 0
; COMPUTE_PGM_RSRC2:TGID_X_EN: 1
; COMPUTE_PGM_RSRC2:TGID_Y_EN: 0
; COMPUTE_PGM_RSRC2:TGID_Z_EN: 0
; COMPUTE_PGM_RSRC2:TIDIG_COMP_CNT: 0
	.section	.text._ZN7rocprim17ROCPRIM_400000_NS6detail17trampoline_kernelINS0_14default_configENS1_21merge_config_selectorINS0_5tupleIJssEEENS0_10empty_typeEEEZNS1_10merge_implIS3_NS0_12zip_iteratorINS5_IJN6thrust23THRUST_200600_302600_NS6detail15normal_iteratorINSC_10device_ptrIKsEEEESI_EEEEESK_NSA_INS5_IJNSE_INSF_IsEEEESM_EEEEEPS7_SP_SP_NSC_11hip_rocprim7__merge17predicate_wrapperIssNSC_4lessIsEEEEEE10hipError_tPvRmT0_T1_T2_T3_T4_T5_mmT6_P12ihipStream_tbEUlT_E0_NS1_11comp_targetILNS1_3genE5ELNS1_11target_archE942ELNS1_3gpuE9ELNS1_3repE0EEENS1_30default_config_static_selectorELNS0_4arch9wavefront6targetE0EEEvS10_,"axG",@progbits,_ZN7rocprim17ROCPRIM_400000_NS6detail17trampoline_kernelINS0_14default_configENS1_21merge_config_selectorINS0_5tupleIJssEEENS0_10empty_typeEEEZNS1_10merge_implIS3_NS0_12zip_iteratorINS5_IJN6thrust23THRUST_200600_302600_NS6detail15normal_iteratorINSC_10device_ptrIKsEEEESI_EEEEESK_NSA_INS5_IJNSE_INSF_IsEEEESM_EEEEEPS7_SP_SP_NSC_11hip_rocprim7__merge17predicate_wrapperIssNSC_4lessIsEEEEEE10hipError_tPvRmT0_T1_T2_T3_T4_T5_mmT6_P12ihipStream_tbEUlT_E0_NS1_11comp_targetILNS1_3genE5ELNS1_11target_archE942ELNS1_3gpuE9ELNS1_3repE0EEENS1_30default_config_static_selectorELNS0_4arch9wavefront6targetE0EEEvS10_,comdat
	.protected	_ZN7rocprim17ROCPRIM_400000_NS6detail17trampoline_kernelINS0_14default_configENS1_21merge_config_selectorINS0_5tupleIJssEEENS0_10empty_typeEEEZNS1_10merge_implIS3_NS0_12zip_iteratorINS5_IJN6thrust23THRUST_200600_302600_NS6detail15normal_iteratorINSC_10device_ptrIKsEEEESI_EEEEESK_NSA_INS5_IJNSE_INSF_IsEEEESM_EEEEEPS7_SP_SP_NSC_11hip_rocprim7__merge17predicate_wrapperIssNSC_4lessIsEEEEEE10hipError_tPvRmT0_T1_T2_T3_T4_T5_mmT6_P12ihipStream_tbEUlT_E0_NS1_11comp_targetILNS1_3genE5ELNS1_11target_archE942ELNS1_3gpuE9ELNS1_3repE0EEENS1_30default_config_static_selectorELNS0_4arch9wavefront6targetE0EEEvS10_ ; -- Begin function _ZN7rocprim17ROCPRIM_400000_NS6detail17trampoline_kernelINS0_14default_configENS1_21merge_config_selectorINS0_5tupleIJssEEENS0_10empty_typeEEEZNS1_10merge_implIS3_NS0_12zip_iteratorINS5_IJN6thrust23THRUST_200600_302600_NS6detail15normal_iteratorINSC_10device_ptrIKsEEEESI_EEEEESK_NSA_INS5_IJNSE_INSF_IsEEEESM_EEEEEPS7_SP_SP_NSC_11hip_rocprim7__merge17predicate_wrapperIssNSC_4lessIsEEEEEE10hipError_tPvRmT0_T1_T2_T3_T4_T5_mmT6_P12ihipStream_tbEUlT_E0_NS1_11comp_targetILNS1_3genE5ELNS1_11target_archE942ELNS1_3gpuE9ELNS1_3repE0EEENS1_30default_config_static_selectorELNS0_4arch9wavefront6targetE0EEEvS10_
	.globl	_ZN7rocprim17ROCPRIM_400000_NS6detail17trampoline_kernelINS0_14default_configENS1_21merge_config_selectorINS0_5tupleIJssEEENS0_10empty_typeEEEZNS1_10merge_implIS3_NS0_12zip_iteratorINS5_IJN6thrust23THRUST_200600_302600_NS6detail15normal_iteratorINSC_10device_ptrIKsEEEESI_EEEEESK_NSA_INS5_IJNSE_INSF_IsEEEESM_EEEEEPS7_SP_SP_NSC_11hip_rocprim7__merge17predicate_wrapperIssNSC_4lessIsEEEEEE10hipError_tPvRmT0_T1_T2_T3_T4_T5_mmT6_P12ihipStream_tbEUlT_E0_NS1_11comp_targetILNS1_3genE5ELNS1_11target_archE942ELNS1_3gpuE9ELNS1_3repE0EEENS1_30default_config_static_selectorELNS0_4arch9wavefront6targetE0EEEvS10_
	.p2align	8
	.type	_ZN7rocprim17ROCPRIM_400000_NS6detail17trampoline_kernelINS0_14default_configENS1_21merge_config_selectorINS0_5tupleIJssEEENS0_10empty_typeEEEZNS1_10merge_implIS3_NS0_12zip_iteratorINS5_IJN6thrust23THRUST_200600_302600_NS6detail15normal_iteratorINSC_10device_ptrIKsEEEESI_EEEEESK_NSA_INS5_IJNSE_INSF_IsEEEESM_EEEEEPS7_SP_SP_NSC_11hip_rocprim7__merge17predicate_wrapperIssNSC_4lessIsEEEEEE10hipError_tPvRmT0_T1_T2_T3_T4_T5_mmT6_P12ihipStream_tbEUlT_E0_NS1_11comp_targetILNS1_3genE5ELNS1_11target_archE942ELNS1_3gpuE9ELNS1_3repE0EEENS1_30default_config_static_selectorELNS0_4arch9wavefront6targetE0EEEvS10_,@function
_ZN7rocprim17ROCPRIM_400000_NS6detail17trampoline_kernelINS0_14default_configENS1_21merge_config_selectorINS0_5tupleIJssEEENS0_10empty_typeEEEZNS1_10merge_implIS3_NS0_12zip_iteratorINS5_IJN6thrust23THRUST_200600_302600_NS6detail15normal_iteratorINSC_10device_ptrIKsEEEESI_EEEEESK_NSA_INS5_IJNSE_INSF_IsEEEESM_EEEEEPS7_SP_SP_NSC_11hip_rocprim7__merge17predicate_wrapperIssNSC_4lessIsEEEEEE10hipError_tPvRmT0_T1_T2_T3_T4_T5_mmT6_P12ihipStream_tbEUlT_E0_NS1_11comp_targetILNS1_3genE5ELNS1_11target_archE942ELNS1_3gpuE9ELNS1_3repE0EEENS1_30default_config_static_selectorELNS0_4arch9wavefront6targetE0EEEvS10_: ; @_ZN7rocprim17ROCPRIM_400000_NS6detail17trampoline_kernelINS0_14default_configENS1_21merge_config_selectorINS0_5tupleIJssEEENS0_10empty_typeEEEZNS1_10merge_implIS3_NS0_12zip_iteratorINS5_IJN6thrust23THRUST_200600_302600_NS6detail15normal_iteratorINSC_10device_ptrIKsEEEESI_EEEEESK_NSA_INS5_IJNSE_INSF_IsEEEESM_EEEEEPS7_SP_SP_NSC_11hip_rocprim7__merge17predicate_wrapperIssNSC_4lessIsEEEEEE10hipError_tPvRmT0_T1_T2_T3_T4_T5_mmT6_P12ihipStream_tbEUlT_E0_NS1_11comp_targetILNS1_3genE5ELNS1_11target_archE942ELNS1_3gpuE9ELNS1_3repE0EEENS1_30default_config_static_selectorELNS0_4arch9wavefront6targetE0EEEvS10_
; %bb.0:
	.section	.rodata,"a",@progbits
	.p2align	6, 0x0
	.amdhsa_kernel _ZN7rocprim17ROCPRIM_400000_NS6detail17trampoline_kernelINS0_14default_configENS1_21merge_config_selectorINS0_5tupleIJssEEENS0_10empty_typeEEEZNS1_10merge_implIS3_NS0_12zip_iteratorINS5_IJN6thrust23THRUST_200600_302600_NS6detail15normal_iteratorINSC_10device_ptrIKsEEEESI_EEEEESK_NSA_INS5_IJNSE_INSF_IsEEEESM_EEEEEPS7_SP_SP_NSC_11hip_rocprim7__merge17predicate_wrapperIssNSC_4lessIsEEEEEE10hipError_tPvRmT0_T1_T2_T3_T4_T5_mmT6_P12ihipStream_tbEUlT_E0_NS1_11comp_targetILNS1_3genE5ELNS1_11target_archE942ELNS1_3gpuE9ELNS1_3repE0EEENS1_30default_config_static_selectorELNS0_4arch9wavefront6targetE0EEEvS10_
		.amdhsa_group_segment_fixed_size 0
		.amdhsa_private_segment_fixed_size 0
		.amdhsa_kernarg_size 112
		.amdhsa_user_sgpr_count 2
		.amdhsa_user_sgpr_dispatch_ptr 0
		.amdhsa_user_sgpr_queue_ptr 0
		.amdhsa_user_sgpr_kernarg_segment_ptr 1
		.amdhsa_user_sgpr_dispatch_id 0
		.amdhsa_user_sgpr_kernarg_preload_length 0
		.amdhsa_user_sgpr_kernarg_preload_offset 0
		.amdhsa_user_sgpr_private_segment_size 0
		.amdhsa_wavefront_size32 1
		.amdhsa_uses_dynamic_stack 0
		.amdhsa_enable_private_segment 0
		.amdhsa_system_sgpr_workgroup_id_x 1
		.amdhsa_system_sgpr_workgroup_id_y 0
		.amdhsa_system_sgpr_workgroup_id_z 0
		.amdhsa_system_sgpr_workgroup_info 0
		.amdhsa_system_vgpr_workitem_id 0
		.amdhsa_next_free_vgpr 1
		.amdhsa_next_free_sgpr 1
		.amdhsa_named_barrier_count 0
		.amdhsa_reserve_vcc 0
		.amdhsa_float_round_mode_32 0
		.amdhsa_float_round_mode_16_64 0
		.amdhsa_float_denorm_mode_32 3
		.amdhsa_float_denorm_mode_16_64 3
		.amdhsa_fp16_overflow 0
		.amdhsa_memory_ordered 1
		.amdhsa_forward_progress 1
		.amdhsa_inst_pref_size 0
		.amdhsa_round_robin_scheduling 0
		.amdhsa_exception_fp_ieee_invalid_op 0
		.amdhsa_exception_fp_denorm_src 0
		.amdhsa_exception_fp_ieee_div_zero 0
		.amdhsa_exception_fp_ieee_overflow 0
		.amdhsa_exception_fp_ieee_underflow 0
		.amdhsa_exception_fp_ieee_inexact 0
		.amdhsa_exception_int_div_zero 0
	.end_amdhsa_kernel
	.section	.text._ZN7rocprim17ROCPRIM_400000_NS6detail17trampoline_kernelINS0_14default_configENS1_21merge_config_selectorINS0_5tupleIJssEEENS0_10empty_typeEEEZNS1_10merge_implIS3_NS0_12zip_iteratorINS5_IJN6thrust23THRUST_200600_302600_NS6detail15normal_iteratorINSC_10device_ptrIKsEEEESI_EEEEESK_NSA_INS5_IJNSE_INSF_IsEEEESM_EEEEEPS7_SP_SP_NSC_11hip_rocprim7__merge17predicate_wrapperIssNSC_4lessIsEEEEEE10hipError_tPvRmT0_T1_T2_T3_T4_T5_mmT6_P12ihipStream_tbEUlT_E0_NS1_11comp_targetILNS1_3genE5ELNS1_11target_archE942ELNS1_3gpuE9ELNS1_3repE0EEENS1_30default_config_static_selectorELNS0_4arch9wavefront6targetE0EEEvS10_,"axG",@progbits,_ZN7rocprim17ROCPRIM_400000_NS6detail17trampoline_kernelINS0_14default_configENS1_21merge_config_selectorINS0_5tupleIJssEEENS0_10empty_typeEEEZNS1_10merge_implIS3_NS0_12zip_iteratorINS5_IJN6thrust23THRUST_200600_302600_NS6detail15normal_iteratorINSC_10device_ptrIKsEEEESI_EEEEESK_NSA_INS5_IJNSE_INSF_IsEEEESM_EEEEEPS7_SP_SP_NSC_11hip_rocprim7__merge17predicate_wrapperIssNSC_4lessIsEEEEEE10hipError_tPvRmT0_T1_T2_T3_T4_T5_mmT6_P12ihipStream_tbEUlT_E0_NS1_11comp_targetILNS1_3genE5ELNS1_11target_archE942ELNS1_3gpuE9ELNS1_3repE0EEENS1_30default_config_static_selectorELNS0_4arch9wavefront6targetE0EEEvS10_,comdat
.Lfunc_end290:
	.size	_ZN7rocprim17ROCPRIM_400000_NS6detail17trampoline_kernelINS0_14default_configENS1_21merge_config_selectorINS0_5tupleIJssEEENS0_10empty_typeEEEZNS1_10merge_implIS3_NS0_12zip_iteratorINS5_IJN6thrust23THRUST_200600_302600_NS6detail15normal_iteratorINSC_10device_ptrIKsEEEESI_EEEEESK_NSA_INS5_IJNSE_INSF_IsEEEESM_EEEEEPS7_SP_SP_NSC_11hip_rocprim7__merge17predicate_wrapperIssNSC_4lessIsEEEEEE10hipError_tPvRmT0_T1_T2_T3_T4_T5_mmT6_P12ihipStream_tbEUlT_E0_NS1_11comp_targetILNS1_3genE5ELNS1_11target_archE942ELNS1_3gpuE9ELNS1_3repE0EEENS1_30default_config_static_selectorELNS0_4arch9wavefront6targetE0EEEvS10_, .Lfunc_end290-_ZN7rocprim17ROCPRIM_400000_NS6detail17trampoline_kernelINS0_14default_configENS1_21merge_config_selectorINS0_5tupleIJssEEENS0_10empty_typeEEEZNS1_10merge_implIS3_NS0_12zip_iteratorINS5_IJN6thrust23THRUST_200600_302600_NS6detail15normal_iteratorINSC_10device_ptrIKsEEEESI_EEEEESK_NSA_INS5_IJNSE_INSF_IsEEEESM_EEEEEPS7_SP_SP_NSC_11hip_rocprim7__merge17predicate_wrapperIssNSC_4lessIsEEEEEE10hipError_tPvRmT0_T1_T2_T3_T4_T5_mmT6_P12ihipStream_tbEUlT_E0_NS1_11comp_targetILNS1_3genE5ELNS1_11target_archE942ELNS1_3gpuE9ELNS1_3repE0EEENS1_30default_config_static_selectorELNS0_4arch9wavefront6targetE0EEEvS10_
                                        ; -- End function
	.set _ZN7rocprim17ROCPRIM_400000_NS6detail17trampoline_kernelINS0_14default_configENS1_21merge_config_selectorINS0_5tupleIJssEEENS0_10empty_typeEEEZNS1_10merge_implIS3_NS0_12zip_iteratorINS5_IJN6thrust23THRUST_200600_302600_NS6detail15normal_iteratorINSC_10device_ptrIKsEEEESI_EEEEESK_NSA_INS5_IJNSE_INSF_IsEEEESM_EEEEEPS7_SP_SP_NSC_11hip_rocprim7__merge17predicate_wrapperIssNSC_4lessIsEEEEEE10hipError_tPvRmT0_T1_T2_T3_T4_T5_mmT6_P12ihipStream_tbEUlT_E0_NS1_11comp_targetILNS1_3genE5ELNS1_11target_archE942ELNS1_3gpuE9ELNS1_3repE0EEENS1_30default_config_static_selectorELNS0_4arch9wavefront6targetE0EEEvS10_.num_vgpr, 0
	.set _ZN7rocprim17ROCPRIM_400000_NS6detail17trampoline_kernelINS0_14default_configENS1_21merge_config_selectorINS0_5tupleIJssEEENS0_10empty_typeEEEZNS1_10merge_implIS3_NS0_12zip_iteratorINS5_IJN6thrust23THRUST_200600_302600_NS6detail15normal_iteratorINSC_10device_ptrIKsEEEESI_EEEEESK_NSA_INS5_IJNSE_INSF_IsEEEESM_EEEEEPS7_SP_SP_NSC_11hip_rocprim7__merge17predicate_wrapperIssNSC_4lessIsEEEEEE10hipError_tPvRmT0_T1_T2_T3_T4_T5_mmT6_P12ihipStream_tbEUlT_E0_NS1_11comp_targetILNS1_3genE5ELNS1_11target_archE942ELNS1_3gpuE9ELNS1_3repE0EEENS1_30default_config_static_selectorELNS0_4arch9wavefront6targetE0EEEvS10_.num_agpr, 0
	.set _ZN7rocprim17ROCPRIM_400000_NS6detail17trampoline_kernelINS0_14default_configENS1_21merge_config_selectorINS0_5tupleIJssEEENS0_10empty_typeEEEZNS1_10merge_implIS3_NS0_12zip_iteratorINS5_IJN6thrust23THRUST_200600_302600_NS6detail15normal_iteratorINSC_10device_ptrIKsEEEESI_EEEEESK_NSA_INS5_IJNSE_INSF_IsEEEESM_EEEEEPS7_SP_SP_NSC_11hip_rocprim7__merge17predicate_wrapperIssNSC_4lessIsEEEEEE10hipError_tPvRmT0_T1_T2_T3_T4_T5_mmT6_P12ihipStream_tbEUlT_E0_NS1_11comp_targetILNS1_3genE5ELNS1_11target_archE942ELNS1_3gpuE9ELNS1_3repE0EEENS1_30default_config_static_selectorELNS0_4arch9wavefront6targetE0EEEvS10_.numbered_sgpr, 0
	.set _ZN7rocprim17ROCPRIM_400000_NS6detail17trampoline_kernelINS0_14default_configENS1_21merge_config_selectorINS0_5tupleIJssEEENS0_10empty_typeEEEZNS1_10merge_implIS3_NS0_12zip_iteratorINS5_IJN6thrust23THRUST_200600_302600_NS6detail15normal_iteratorINSC_10device_ptrIKsEEEESI_EEEEESK_NSA_INS5_IJNSE_INSF_IsEEEESM_EEEEEPS7_SP_SP_NSC_11hip_rocprim7__merge17predicate_wrapperIssNSC_4lessIsEEEEEE10hipError_tPvRmT0_T1_T2_T3_T4_T5_mmT6_P12ihipStream_tbEUlT_E0_NS1_11comp_targetILNS1_3genE5ELNS1_11target_archE942ELNS1_3gpuE9ELNS1_3repE0EEENS1_30default_config_static_selectorELNS0_4arch9wavefront6targetE0EEEvS10_.num_named_barrier, 0
	.set _ZN7rocprim17ROCPRIM_400000_NS6detail17trampoline_kernelINS0_14default_configENS1_21merge_config_selectorINS0_5tupleIJssEEENS0_10empty_typeEEEZNS1_10merge_implIS3_NS0_12zip_iteratorINS5_IJN6thrust23THRUST_200600_302600_NS6detail15normal_iteratorINSC_10device_ptrIKsEEEESI_EEEEESK_NSA_INS5_IJNSE_INSF_IsEEEESM_EEEEEPS7_SP_SP_NSC_11hip_rocprim7__merge17predicate_wrapperIssNSC_4lessIsEEEEEE10hipError_tPvRmT0_T1_T2_T3_T4_T5_mmT6_P12ihipStream_tbEUlT_E0_NS1_11comp_targetILNS1_3genE5ELNS1_11target_archE942ELNS1_3gpuE9ELNS1_3repE0EEENS1_30default_config_static_selectorELNS0_4arch9wavefront6targetE0EEEvS10_.private_seg_size, 0
	.set _ZN7rocprim17ROCPRIM_400000_NS6detail17trampoline_kernelINS0_14default_configENS1_21merge_config_selectorINS0_5tupleIJssEEENS0_10empty_typeEEEZNS1_10merge_implIS3_NS0_12zip_iteratorINS5_IJN6thrust23THRUST_200600_302600_NS6detail15normal_iteratorINSC_10device_ptrIKsEEEESI_EEEEESK_NSA_INS5_IJNSE_INSF_IsEEEESM_EEEEEPS7_SP_SP_NSC_11hip_rocprim7__merge17predicate_wrapperIssNSC_4lessIsEEEEEE10hipError_tPvRmT0_T1_T2_T3_T4_T5_mmT6_P12ihipStream_tbEUlT_E0_NS1_11comp_targetILNS1_3genE5ELNS1_11target_archE942ELNS1_3gpuE9ELNS1_3repE0EEENS1_30default_config_static_selectorELNS0_4arch9wavefront6targetE0EEEvS10_.uses_vcc, 0
	.set _ZN7rocprim17ROCPRIM_400000_NS6detail17trampoline_kernelINS0_14default_configENS1_21merge_config_selectorINS0_5tupleIJssEEENS0_10empty_typeEEEZNS1_10merge_implIS3_NS0_12zip_iteratorINS5_IJN6thrust23THRUST_200600_302600_NS6detail15normal_iteratorINSC_10device_ptrIKsEEEESI_EEEEESK_NSA_INS5_IJNSE_INSF_IsEEEESM_EEEEEPS7_SP_SP_NSC_11hip_rocprim7__merge17predicate_wrapperIssNSC_4lessIsEEEEEE10hipError_tPvRmT0_T1_T2_T3_T4_T5_mmT6_P12ihipStream_tbEUlT_E0_NS1_11comp_targetILNS1_3genE5ELNS1_11target_archE942ELNS1_3gpuE9ELNS1_3repE0EEENS1_30default_config_static_selectorELNS0_4arch9wavefront6targetE0EEEvS10_.uses_flat_scratch, 0
	.set _ZN7rocprim17ROCPRIM_400000_NS6detail17trampoline_kernelINS0_14default_configENS1_21merge_config_selectorINS0_5tupleIJssEEENS0_10empty_typeEEEZNS1_10merge_implIS3_NS0_12zip_iteratorINS5_IJN6thrust23THRUST_200600_302600_NS6detail15normal_iteratorINSC_10device_ptrIKsEEEESI_EEEEESK_NSA_INS5_IJNSE_INSF_IsEEEESM_EEEEEPS7_SP_SP_NSC_11hip_rocprim7__merge17predicate_wrapperIssNSC_4lessIsEEEEEE10hipError_tPvRmT0_T1_T2_T3_T4_T5_mmT6_P12ihipStream_tbEUlT_E0_NS1_11comp_targetILNS1_3genE5ELNS1_11target_archE942ELNS1_3gpuE9ELNS1_3repE0EEENS1_30default_config_static_selectorELNS0_4arch9wavefront6targetE0EEEvS10_.has_dyn_sized_stack, 0
	.set _ZN7rocprim17ROCPRIM_400000_NS6detail17trampoline_kernelINS0_14default_configENS1_21merge_config_selectorINS0_5tupleIJssEEENS0_10empty_typeEEEZNS1_10merge_implIS3_NS0_12zip_iteratorINS5_IJN6thrust23THRUST_200600_302600_NS6detail15normal_iteratorINSC_10device_ptrIKsEEEESI_EEEEESK_NSA_INS5_IJNSE_INSF_IsEEEESM_EEEEEPS7_SP_SP_NSC_11hip_rocprim7__merge17predicate_wrapperIssNSC_4lessIsEEEEEE10hipError_tPvRmT0_T1_T2_T3_T4_T5_mmT6_P12ihipStream_tbEUlT_E0_NS1_11comp_targetILNS1_3genE5ELNS1_11target_archE942ELNS1_3gpuE9ELNS1_3repE0EEENS1_30default_config_static_selectorELNS0_4arch9wavefront6targetE0EEEvS10_.has_recursion, 0
	.set _ZN7rocprim17ROCPRIM_400000_NS6detail17trampoline_kernelINS0_14default_configENS1_21merge_config_selectorINS0_5tupleIJssEEENS0_10empty_typeEEEZNS1_10merge_implIS3_NS0_12zip_iteratorINS5_IJN6thrust23THRUST_200600_302600_NS6detail15normal_iteratorINSC_10device_ptrIKsEEEESI_EEEEESK_NSA_INS5_IJNSE_INSF_IsEEEESM_EEEEEPS7_SP_SP_NSC_11hip_rocprim7__merge17predicate_wrapperIssNSC_4lessIsEEEEEE10hipError_tPvRmT0_T1_T2_T3_T4_T5_mmT6_P12ihipStream_tbEUlT_E0_NS1_11comp_targetILNS1_3genE5ELNS1_11target_archE942ELNS1_3gpuE9ELNS1_3repE0EEENS1_30default_config_static_selectorELNS0_4arch9wavefront6targetE0EEEvS10_.has_indirect_call, 0
	.section	.AMDGPU.csdata,"",@progbits
; Kernel info:
; codeLenInByte = 0
; TotalNumSgprs: 0
; NumVgprs: 0
; ScratchSize: 0
; MemoryBound: 0
; FloatMode: 240
; IeeeMode: 1
; LDSByteSize: 0 bytes/workgroup (compile time only)
; SGPRBlocks: 0
; VGPRBlocks: 0
; NumSGPRsForWavesPerEU: 1
; NumVGPRsForWavesPerEU: 1
; NamedBarCnt: 0
; Occupancy: 16
; WaveLimiterHint : 0
; COMPUTE_PGM_RSRC2:SCRATCH_EN: 0
; COMPUTE_PGM_RSRC2:USER_SGPR: 2
; COMPUTE_PGM_RSRC2:TRAP_HANDLER: 0
; COMPUTE_PGM_RSRC2:TGID_X_EN: 1
; COMPUTE_PGM_RSRC2:TGID_Y_EN: 0
; COMPUTE_PGM_RSRC2:TGID_Z_EN: 0
; COMPUTE_PGM_RSRC2:TIDIG_COMP_CNT: 0
	.section	.text._ZN7rocprim17ROCPRIM_400000_NS6detail17trampoline_kernelINS0_14default_configENS1_21merge_config_selectorINS0_5tupleIJssEEENS0_10empty_typeEEEZNS1_10merge_implIS3_NS0_12zip_iteratorINS5_IJN6thrust23THRUST_200600_302600_NS6detail15normal_iteratorINSC_10device_ptrIKsEEEESI_EEEEESK_NSA_INS5_IJNSE_INSF_IsEEEESM_EEEEEPS7_SP_SP_NSC_11hip_rocprim7__merge17predicate_wrapperIssNSC_4lessIsEEEEEE10hipError_tPvRmT0_T1_T2_T3_T4_T5_mmT6_P12ihipStream_tbEUlT_E0_NS1_11comp_targetILNS1_3genE4ELNS1_11target_archE910ELNS1_3gpuE8ELNS1_3repE0EEENS1_30default_config_static_selectorELNS0_4arch9wavefront6targetE0EEEvS10_,"axG",@progbits,_ZN7rocprim17ROCPRIM_400000_NS6detail17trampoline_kernelINS0_14default_configENS1_21merge_config_selectorINS0_5tupleIJssEEENS0_10empty_typeEEEZNS1_10merge_implIS3_NS0_12zip_iteratorINS5_IJN6thrust23THRUST_200600_302600_NS6detail15normal_iteratorINSC_10device_ptrIKsEEEESI_EEEEESK_NSA_INS5_IJNSE_INSF_IsEEEESM_EEEEEPS7_SP_SP_NSC_11hip_rocprim7__merge17predicate_wrapperIssNSC_4lessIsEEEEEE10hipError_tPvRmT0_T1_T2_T3_T4_T5_mmT6_P12ihipStream_tbEUlT_E0_NS1_11comp_targetILNS1_3genE4ELNS1_11target_archE910ELNS1_3gpuE8ELNS1_3repE0EEENS1_30default_config_static_selectorELNS0_4arch9wavefront6targetE0EEEvS10_,comdat
	.protected	_ZN7rocprim17ROCPRIM_400000_NS6detail17trampoline_kernelINS0_14default_configENS1_21merge_config_selectorINS0_5tupleIJssEEENS0_10empty_typeEEEZNS1_10merge_implIS3_NS0_12zip_iteratorINS5_IJN6thrust23THRUST_200600_302600_NS6detail15normal_iteratorINSC_10device_ptrIKsEEEESI_EEEEESK_NSA_INS5_IJNSE_INSF_IsEEEESM_EEEEEPS7_SP_SP_NSC_11hip_rocprim7__merge17predicate_wrapperIssNSC_4lessIsEEEEEE10hipError_tPvRmT0_T1_T2_T3_T4_T5_mmT6_P12ihipStream_tbEUlT_E0_NS1_11comp_targetILNS1_3genE4ELNS1_11target_archE910ELNS1_3gpuE8ELNS1_3repE0EEENS1_30default_config_static_selectorELNS0_4arch9wavefront6targetE0EEEvS10_ ; -- Begin function _ZN7rocprim17ROCPRIM_400000_NS6detail17trampoline_kernelINS0_14default_configENS1_21merge_config_selectorINS0_5tupleIJssEEENS0_10empty_typeEEEZNS1_10merge_implIS3_NS0_12zip_iteratorINS5_IJN6thrust23THRUST_200600_302600_NS6detail15normal_iteratorINSC_10device_ptrIKsEEEESI_EEEEESK_NSA_INS5_IJNSE_INSF_IsEEEESM_EEEEEPS7_SP_SP_NSC_11hip_rocprim7__merge17predicate_wrapperIssNSC_4lessIsEEEEEE10hipError_tPvRmT0_T1_T2_T3_T4_T5_mmT6_P12ihipStream_tbEUlT_E0_NS1_11comp_targetILNS1_3genE4ELNS1_11target_archE910ELNS1_3gpuE8ELNS1_3repE0EEENS1_30default_config_static_selectorELNS0_4arch9wavefront6targetE0EEEvS10_
	.globl	_ZN7rocprim17ROCPRIM_400000_NS6detail17trampoline_kernelINS0_14default_configENS1_21merge_config_selectorINS0_5tupleIJssEEENS0_10empty_typeEEEZNS1_10merge_implIS3_NS0_12zip_iteratorINS5_IJN6thrust23THRUST_200600_302600_NS6detail15normal_iteratorINSC_10device_ptrIKsEEEESI_EEEEESK_NSA_INS5_IJNSE_INSF_IsEEEESM_EEEEEPS7_SP_SP_NSC_11hip_rocprim7__merge17predicate_wrapperIssNSC_4lessIsEEEEEE10hipError_tPvRmT0_T1_T2_T3_T4_T5_mmT6_P12ihipStream_tbEUlT_E0_NS1_11comp_targetILNS1_3genE4ELNS1_11target_archE910ELNS1_3gpuE8ELNS1_3repE0EEENS1_30default_config_static_selectorELNS0_4arch9wavefront6targetE0EEEvS10_
	.p2align	8
	.type	_ZN7rocprim17ROCPRIM_400000_NS6detail17trampoline_kernelINS0_14default_configENS1_21merge_config_selectorINS0_5tupleIJssEEENS0_10empty_typeEEEZNS1_10merge_implIS3_NS0_12zip_iteratorINS5_IJN6thrust23THRUST_200600_302600_NS6detail15normal_iteratorINSC_10device_ptrIKsEEEESI_EEEEESK_NSA_INS5_IJNSE_INSF_IsEEEESM_EEEEEPS7_SP_SP_NSC_11hip_rocprim7__merge17predicate_wrapperIssNSC_4lessIsEEEEEE10hipError_tPvRmT0_T1_T2_T3_T4_T5_mmT6_P12ihipStream_tbEUlT_E0_NS1_11comp_targetILNS1_3genE4ELNS1_11target_archE910ELNS1_3gpuE8ELNS1_3repE0EEENS1_30default_config_static_selectorELNS0_4arch9wavefront6targetE0EEEvS10_,@function
_ZN7rocprim17ROCPRIM_400000_NS6detail17trampoline_kernelINS0_14default_configENS1_21merge_config_selectorINS0_5tupleIJssEEENS0_10empty_typeEEEZNS1_10merge_implIS3_NS0_12zip_iteratorINS5_IJN6thrust23THRUST_200600_302600_NS6detail15normal_iteratorINSC_10device_ptrIKsEEEESI_EEEEESK_NSA_INS5_IJNSE_INSF_IsEEEESM_EEEEEPS7_SP_SP_NSC_11hip_rocprim7__merge17predicate_wrapperIssNSC_4lessIsEEEEEE10hipError_tPvRmT0_T1_T2_T3_T4_T5_mmT6_P12ihipStream_tbEUlT_E0_NS1_11comp_targetILNS1_3genE4ELNS1_11target_archE910ELNS1_3gpuE8ELNS1_3repE0EEENS1_30default_config_static_selectorELNS0_4arch9wavefront6targetE0EEEvS10_: ; @_ZN7rocprim17ROCPRIM_400000_NS6detail17trampoline_kernelINS0_14default_configENS1_21merge_config_selectorINS0_5tupleIJssEEENS0_10empty_typeEEEZNS1_10merge_implIS3_NS0_12zip_iteratorINS5_IJN6thrust23THRUST_200600_302600_NS6detail15normal_iteratorINSC_10device_ptrIKsEEEESI_EEEEESK_NSA_INS5_IJNSE_INSF_IsEEEESM_EEEEEPS7_SP_SP_NSC_11hip_rocprim7__merge17predicate_wrapperIssNSC_4lessIsEEEEEE10hipError_tPvRmT0_T1_T2_T3_T4_T5_mmT6_P12ihipStream_tbEUlT_E0_NS1_11comp_targetILNS1_3genE4ELNS1_11target_archE910ELNS1_3gpuE8ELNS1_3repE0EEENS1_30default_config_static_selectorELNS0_4arch9wavefront6targetE0EEEvS10_
; %bb.0:
	.section	.rodata,"a",@progbits
	.p2align	6, 0x0
	.amdhsa_kernel _ZN7rocprim17ROCPRIM_400000_NS6detail17trampoline_kernelINS0_14default_configENS1_21merge_config_selectorINS0_5tupleIJssEEENS0_10empty_typeEEEZNS1_10merge_implIS3_NS0_12zip_iteratorINS5_IJN6thrust23THRUST_200600_302600_NS6detail15normal_iteratorINSC_10device_ptrIKsEEEESI_EEEEESK_NSA_INS5_IJNSE_INSF_IsEEEESM_EEEEEPS7_SP_SP_NSC_11hip_rocprim7__merge17predicate_wrapperIssNSC_4lessIsEEEEEE10hipError_tPvRmT0_T1_T2_T3_T4_T5_mmT6_P12ihipStream_tbEUlT_E0_NS1_11comp_targetILNS1_3genE4ELNS1_11target_archE910ELNS1_3gpuE8ELNS1_3repE0EEENS1_30default_config_static_selectorELNS0_4arch9wavefront6targetE0EEEvS10_
		.amdhsa_group_segment_fixed_size 0
		.amdhsa_private_segment_fixed_size 0
		.amdhsa_kernarg_size 112
		.amdhsa_user_sgpr_count 2
		.amdhsa_user_sgpr_dispatch_ptr 0
		.amdhsa_user_sgpr_queue_ptr 0
		.amdhsa_user_sgpr_kernarg_segment_ptr 1
		.amdhsa_user_sgpr_dispatch_id 0
		.amdhsa_user_sgpr_kernarg_preload_length 0
		.amdhsa_user_sgpr_kernarg_preload_offset 0
		.amdhsa_user_sgpr_private_segment_size 0
		.amdhsa_wavefront_size32 1
		.amdhsa_uses_dynamic_stack 0
		.amdhsa_enable_private_segment 0
		.amdhsa_system_sgpr_workgroup_id_x 1
		.amdhsa_system_sgpr_workgroup_id_y 0
		.amdhsa_system_sgpr_workgroup_id_z 0
		.amdhsa_system_sgpr_workgroup_info 0
		.amdhsa_system_vgpr_workitem_id 0
		.amdhsa_next_free_vgpr 1
		.amdhsa_next_free_sgpr 1
		.amdhsa_named_barrier_count 0
		.amdhsa_reserve_vcc 0
		.amdhsa_float_round_mode_32 0
		.amdhsa_float_round_mode_16_64 0
		.amdhsa_float_denorm_mode_32 3
		.amdhsa_float_denorm_mode_16_64 3
		.amdhsa_fp16_overflow 0
		.amdhsa_memory_ordered 1
		.amdhsa_forward_progress 1
		.amdhsa_inst_pref_size 0
		.amdhsa_round_robin_scheduling 0
		.amdhsa_exception_fp_ieee_invalid_op 0
		.amdhsa_exception_fp_denorm_src 0
		.amdhsa_exception_fp_ieee_div_zero 0
		.amdhsa_exception_fp_ieee_overflow 0
		.amdhsa_exception_fp_ieee_underflow 0
		.amdhsa_exception_fp_ieee_inexact 0
		.amdhsa_exception_int_div_zero 0
	.end_amdhsa_kernel
	.section	.text._ZN7rocprim17ROCPRIM_400000_NS6detail17trampoline_kernelINS0_14default_configENS1_21merge_config_selectorINS0_5tupleIJssEEENS0_10empty_typeEEEZNS1_10merge_implIS3_NS0_12zip_iteratorINS5_IJN6thrust23THRUST_200600_302600_NS6detail15normal_iteratorINSC_10device_ptrIKsEEEESI_EEEEESK_NSA_INS5_IJNSE_INSF_IsEEEESM_EEEEEPS7_SP_SP_NSC_11hip_rocprim7__merge17predicate_wrapperIssNSC_4lessIsEEEEEE10hipError_tPvRmT0_T1_T2_T3_T4_T5_mmT6_P12ihipStream_tbEUlT_E0_NS1_11comp_targetILNS1_3genE4ELNS1_11target_archE910ELNS1_3gpuE8ELNS1_3repE0EEENS1_30default_config_static_selectorELNS0_4arch9wavefront6targetE0EEEvS10_,"axG",@progbits,_ZN7rocprim17ROCPRIM_400000_NS6detail17trampoline_kernelINS0_14default_configENS1_21merge_config_selectorINS0_5tupleIJssEEENS0_10empty_typeEEEZNS1_10merge_implIS3_NS0_12zip_iteratorINS5_IJN6thrust23THRUST_200600_302600_NS6detail15normal_iteratorINSC_10device_ptrIKsEEEESI_EEEEESK_NSA_INS5_IJNSE_INSF_IsEEEESM_EEEEEPS7_SP_SP_NSC_11hip_rocprim7__merge17predicate_wrapperIssNSC_4lessIsEEEEEE10hipError_tPvRmT0_T1_T2_T3_T4_T5_mmT6_P12ihipStream_tbEUlT_E0_NS1_11comp_targetILNS1_3genE4ELNS1_11target_archE910ELNS1_3gpuE8ELNS1_3repE0EEENS1_30default_config_static_selectorELNS0_4arch9wavefront6targetE0EEEvS10_,comdat
.Lfunc_end291:
	.size	_ZN7rocprim17ROCPRIM_400000_NS6detail17trampoline_kernelINS0_14default_configENS1_21merge_config_selectorINS0_5tupleIJssEEENS0_10empty_typeEEEZNS1_10merge_implIS3_NS0_12zip_iteratorINS5_IJN6thrust23THRUST_200600_302600_NS6detail15normal_iteratorINSC_10device_ptrIKsEEEESI_EEEEESK_NSA_INS5_IJNSE_INSF_IsEEEESM_EEEEEPS7_SP_SP_NSC_11hip_rocprim7__merge17predicate_wrapperIssNSC_4lessIsEEEEEE10hipError_tPvRmT0_T1_T2_T3_T4_T5_mmT6_P12ihipStream_tbEUlT_E0_NS1_11comp_targetILNS1_3genE4ELNS1_11target_archE910ELNS1_3gpuE8ELNS1_3repE0EEENS1_30default_config_static_selectorELNS0_4arch9wavefront6targetE0EEEvS10_, .Lfunc_end291-_ZN7rocprim17ROCPRIM_400000_NS6detail17trampoline_kernelINS0_14default_configENS1_21merge_config_selectorINS0_5tupleIJssEEENS0_10empty_typeEEEZNS1_10merge_implIS3_NS0_12zip_iteratorINS5_IJN6thrust23THRUST_200600_302600_NS6detail15normal_iteratorINSC_10device_ptrIKsEEEESI_EEEEESK_NSA_INS5_IJNSE_INSF_IsEEEESM_EEEEEPS7_SP_SP_NSC_11hip_rocprim7__merge17predicate_wrapperIssNSC_4lessIsEEEEEE10hipError_tPvRmT0_T1_T2_T3_T4_T5_mmT6_P12ihipStream_tbEUlT_E0_NS1_11comp_targetILNS1_3genE4ELNS1_11target_archE910ELNS1_3gpuE8ELNS1_3repE0EEENS1_30default_config_static_selectorELNS0_4arch9wavefront6targetE0EEEvS10_
                                        ; -- End function
	.set _ZN7rocprim17ROCPRIM_400000_NS6detail17trampoline_kernelINS0_14default_configENS1_21merge_config_selectorINS0_5tupleIJssEEENS0_10empty_typeEEEZNS1_10merge_implIS3_NS0_12zip_iteratorINS5_IJN6thrust23THRUST_200600_302600_NS6detail15normal_iteratorINSC_10device_ptrIKsEEEESI_EEEEESK_NSA_INS5_IJNSE_INSF_IsEEEESM_EEEEEPS7_SP_SP_NSC_11hip_rocprim7__merge17predicate_wrapperIssNSC_4lessIsEEEEEE10hipError_tPvRmT0_T1_T2_T3_T4_T5_mmT6_P12ihipStream_tbEUlT_E0_NS1_11comp_targetILNS1_3genE4ELNS1_11target_archE910ELNS1_3gpuE8ELNS1_3repE0EEENS1_30default_config_static_selectorELNS0_4arch9wavefront6targetE0EEEvS10_.num_vgpr, 0
	.set _ZN7rocprim17ROCPRIM_400000_NS6detail17trampoline_kernelINS0_14default_configENS1_21merge_config_selectorINS0_5tupleIJssEEENS0_10empty_typeEEEZNS1_10merge_implIS3_NS0_12zip_iteratorINS5_IJN6thrust23THRUST_200600_302600_NS6detail15normal_iteratorINSC_10device_ptrIKsEEEESI_EEEEESK_NSA_INS5_IJNSE_INSF_IsEEEESM_EEEEEPS7_SP_SP_NSC_11hip_rocprim7__merge17predicate_wrapperIssNSC_4lessIsEEEEEE10hipError_tPvRmT0_T1_T2_T3_T4_T5_mmT6_P12ihipStream_tbEUlT_E0_NS1_11comp_targetILNS1_3genE4ELNS1_11target_archE910ELNS1_3gpuE8ELNS1_3repE0EEENS1_30default_config_static_selectorELNS0_4arch9wavefront6targetE0EEEvS10_.num_agpr, 0
	.set _ZN7rocprim17ROCPRIM_400000_NS6detail17trampoline_kernelINS0_14default_configENS1_21merge_config_selectorINS0_5tupleIJssEEENS0_10empty_typeEEEZNS1_10merge_implIS3_NS0_12zip_iteratorINS5_IJN6thrust23THRUST_200600_302600_NS6detail15normal_iteratorINSC_10device_ptrIKsEEEESI_EEEEESK_NSA_INS5_IJNSE_INSF_IsEEEESM_EEEEEPS7_SP_SP_NSC_11hip_rocprim7__merge17predicate_wrapperIssNSC_4lessIsEEEEEE10hipError_tPvRmT0_T1_T2_T3_T4_T5_mmT6_P12ihipStream_tbEUlT_E0_NS1_11comp_targetILNS1_3genE4ELNS1_11target_archE910ELNS1_3gpuE8ELNS1_3repE0EEENS1_30default_config_static_selectorELNS0_4arch9wavefront6targetE0EEEvS10_.numbered_sgpr, 0
	.set _ZN7rocprim17ROCPRIM_400000_NS6detail17trampoline_kernelINS0_14default_configENS1_21merge_config_selectorINS0_5tupleIJssEEENS0_10empty_typeEEEZNS1_10merge_implIS3_NS0_12zip_iteratorINS5_IJN6thrust23THRUST_200600_302600_NS6detail15normal_iteratorINSC_10device_ptrIKsEEEESI_EEEEESK_NSA_INS5_IJNSE_INSF_IsEEEESM_EEEEEPS7_SP_SP_NSC_11hip_rocprim7__merge17predicate_wrapperIssNSC_4lessIsEEEEEE10hipError_tPvRmT0_T1_T2_T3_T4_T5_mmT6_P12ihipStream_tbEUlT_E0_NS1_11comp_targetILNS1_3genE4ELNS1_11target_archE910ELNS1_3gpuE8ELNS1_3repE0EEENS1_30default_config_static_selectorELNS0_4arch9wavefront6targetE0EEEvS10_.num_named_barrier, 0
	.set _ZN7rocprim17ROCPRIM_400000_NS6detail17trampoline_kernelINS0_14default_configENS1_21merge_config_selectorINS0_5tupleIJssEEENS0_10empty_typeEEEZNS1_10merge_implIS3_NS0_12zip_iteratorINS5_IJN6thrust23THRUST_200600_302600_NS6detail15normal_iteratorINSC_10device_ptrIKsEEEESI_EEEEESK_NSA_INS5_IJNSE_INSF_IsEEEESM_EEEEEPS7_SP_SP_NSC_11hip_rocprim7__merge17predicate_wrapperIssNSC_4lessIsEEEEEE10hipError_tPvRmT0_T1_T2_T3_T4_T5_mmT6_P12ihipStream_tbEUlT_E0_NS1_11comp_targetILNS1_3genE4ELNS1_11target_archE910ELNS1_3gpuE8ELNS1_3repE0EEENS1_30default_config_static_selectorELNS0_4arch9wavefront6targetE0EEEvS10_.private_seg_size, 0
	.set _ZN7rocprim17ROCPRIM_400000_NS6detail17trampoline_kernelINS0_14default_configENS1_21merge_config_selectorINS0_5tupleIJssEEENS0_10empty_typeEEEZNS1_10merge_implIS3_NS0_12zip_iteratorINS5_IJN6thrust23THRUST_200600_302600_NS6detail15normal_iteratorINSC_10device_ptrIKsEEEESI_EEEEESK_NSA_INS5_IJNSE_INSF_IsEEEESM_EEEEEPS7_SP_SP_NSC_11hip_rocprim7__merge17predicate_wrapperIssNSC_4lessIsEEEEEE10hipError_tPvRmT0_T1_T2_T3_T4_T5_mmT6_P12ihipStream_tbEUlT_E0_NS1_11comp_targetILNS1_3genE4ELNS1_11target_archE910ELNS1_3gpuE8ELNS1_3repE0EEENS1_30default_config_static_selectorELNS0_4arch9wavefront6targetE0EEEvS10_.uses_vcc, 0
	.set _ZN7rocprim17ROCPRIM_400000_NS6detail17trampoline_kernelINS0_14default_configENS1_21merge_config_selectorINS0_5tupleIJssEEENS0_10empty_typeEEEZNS1_10merge_implIS3_NS0_12zip_iteratorINS5_IJN6thrust23THRUST_200600_302600_NS6detail15normal_iteratorINSC_10device_ptrIKsEEEESI_EEEEESK_NSA_INS5_IJNSE_INSF_IsEEEESM_EEEEEPS7_SP_SP_NSC_11hip_rocprim7__merge17predicate_wrapperIssNSC_4lessIsEEEEEE10hipError_tPvRmT0_T1_T2_T3_T4_T5_mmT6_P12ihipStream_tbEUlT_E0_NS1_11comp_targetILNS1_3genE4ELNS1_11target_archE910ELNS1_3gpuE8ELNS1_3repE0EEENS1_30default_config_static_selectorELNS0_4arch9wavefront6targetE0EEEvS10_.uses_flat_scratch, 0
	.set _ZN7rocprim17ROCPRIM_400000_NS6detail17trampoline_kernelINS0_14default_configENS1_21merge_config_selectorINS0_5tupleIJssEEENS0_10empty_typeEEEZNS1_10merge_implIS3_NS0_12zip_iteratorINS5_IJN6thrust23THRUST_200600_302600_NS6detail15normal_iteratorINSC_10device_ptrIKsEEEESI_EEEEESK_NSA_INS5_IJNSE_INSF_IsEEEESM_EEEEEPS7_SP_SP_NSC_11hip_rocprim7__merge17predicate_wrapperIssNSC_4lessIsEEEEEE10hipError_tPvRmT0_T1_T2_T3_T4_T5_mmT6_P12ihipStream_tbEUlT_E0_NS1_11comp_targetILNS1_3genE4ELNS1_11target_archE910ELNS1_3gpuE8ELNS1_3repE0EEENS1_30default_config_static_selectorELNS0_4arch9wavefront6targetE0EEEvS10_.has_dyn_sized_stack, 0
	.set _ZN7rocprim17ROCPRIM_400000_NS6detail17trampoline_kernelINS0_14default_configENS1_21merge_config_selectorINS0_5tupleIJssEEENS0_10empty_typeEEEZNS1_10merge_implIS3_NS0_12zip_iteratorINS5_IJN6thrust23THRUST_200600_302600_NS6detail15normal_iteratorINSC_10device_ptrIKsEEEESI_EEEEESK_NSA_INS5_IJNSE_INSF_IsEEEESM_EEEEEPS7_SP_SP_NSC_11hip_rocprim7__merge17predicate_wrapperIssNSC_4lessIsEEEEEE10hipError_tPvRmT0_T1_T2_T3_T4_T5_mmT6_P12ihipStream_tbEUlT_E0_NS1_11comp_targetILNS1_3genE4ELNS1_11target_archE910ELNS1_3gpuE8ELNS1_3repE0EEENS1_30default_config_static_selectorELNS0_4arch9wavefront6targetE0EEEvS10_.has_recursion, 0
	.set _ZN7rocprim17ROCPRIM_400000_NS6detail17trampoline_kernelINS0_14default_configENS1_21merge_config_selectorINS0_5tupleIJssEEENS0_10empty_typeEEEZNS1_10merge_implIS3_NS0_12zip_iteratorINS5_IJN6thrust23THRUST_200600_302600_NS6detail15normal_iteratorINSC_10device_ptrIKsEEEESI_EEEEESK_NSA_INS5_IJNSE_INSF_IsEEEESM_EEEEEPS7_SP_SP_NSC_11hip_rocprim7__merge17predicate_wrapperIssNSC_4lessIsEEEEEE10hipError_tPvRmT0_T1_T2_T3_T4_T5_mmT6_P12ihipStream_tbEUlT_E0_NS1_11comp_targetILNS1_3genE4ELNS1_11target_archE910ELNS1_3gpuE8ELNS1_3repE0EEENS1_30default_config_static_selectorELNS0_4arch9wavefront6targetE0EEEvS10_.has_indirect_call, 0
	.section	.AMDGPU.csdata,"",@progbits
; Kernel info:
; codeLenInByte = 0
; TotalNumSgprs: 0
; NumVgprs: 0
; ScratchSize: 0
; MemoryBound: 0
; FloatMode: 240
; IeeeMode: 1
; LDSByteSize: 0 bytes/workgroup (compile time only)
; SGPRBlocks: 0
; VGPRBlocks: 0
; NumSGPRsForWavesPerEU: 1
; NumVGPRsForWavesPerEU: 1
; NamedBarCnt: 0
; Occupancy: 16
; WaveLimiterHint : 0
; COMPUTE_PGM_RSRC2:SCRATCH_EN: 0
; COMPUTE_PGM_RSRC2:USER_SGPR: 2
; COMPUTE_PGM_RSRC2:TRAP_HANDLER: 0
; COMPUTE_PGM_RSRC2:TGID_X_EN: 1
; COMPUTE_PGM_RSRC2:TGID_Y_EN: 0
; COMPUTE_PGM_RSRC2:TGID_Z_EN: 0
; COMPUTE_PGM_RSRC2:TIDIG_COMP_CNT: 0
	.section	.text._ZN7rocprim17ROCPRIM_400000_NS6detail17trampoline_kernelINS0_14default_configENS1_21merge_config_selectorINS0_5tupleIJssEEENS0_10empty_typeEEEZNS1_10merge_implIS3_NS0_12zip_iteratorINS5_IJN6thrust23THRUST_200600_302600_NS6detail15normal_iteratorINSC_10device_ptrIKsEEEESI_EEEEESK_NSA_INS5_IJNSE_INSF_IsEEEESM_EEEEEPS7_SP_SP_NSC_11hip_rocprim7__merge17predicate_wrapperIssNSC_4lessIsEEEEEE10hipError_tPvRmT0_T1_T2_T3_T4_T5_mmT6_P12ihipStream_tbEUlT_E0_NS1_11comp_targetILNS1_3genE3ELNS1_11target_archE908ELNS1_3gpuE7ELNS1_3repE0EEENS1_30default_config_static_selectorELNS0_4arch9wavefront6targetE0EEEvS10_,"axG",@progbits,_ZN7rocprim17ROCPRIM_400000_NS6detail17trampoline_kernelINS0_14default_configENS1_21merge_config_selectorINS0_5tupleIJssEEENS0_10empty_typeEEEZNS1_10merge_implIS3_NS0_12zip_iteratorINS5_IJN6thrust23THRUST_200600_302600_NS6detail15normal_iteratorINSC_10device_ptrIKsEEEESI_EEEEESK_NSA_INS5_IJNSE_INSF_IsEEEESM_EEEEEPS7_SP_SP_NSC_11hip_rocprim7__merge17predicate_wrapperIssNSC_4lessIsEEEEEE10hipError_tPvRmT0_T1_T2_T3_T4_T5_mmT6_P12ihipStream_tbEUlT_E0_NS1_11comp_targetILNS1_3genE3ELNS1_11target_archE908ELNS1_3gpuE7ELNS1_3repE0EEENS1_30default_config_static_selectorELNS0_4arch9wavefront6targetE0EEEvS10_,comdat
	.protected	_ZN7rocprim17ROCPRIM_400000_NS6detail17trampoline_kernelINS0_14default_configENS1_21merge_config_selectorINS0_5tupleIJssEEENS0_10empty_typeEEEZNS1_10merge_implIS3_NS0_12zip_iteratorINS5_IJN6thrust23THRUST_200600_302600_NS6detail15normal_iteratorINSC_10device_ptrIKsEEEESI_EEEEESK_NSA_INS5_IJNSE_INSF_IsEEEESM_EEEEEPS7_SP_SP_NSC_11hip_rocprim7__merge17predicate_wrapperIssNSC_4lessIsEEEEEE10hipError_tPvRmT0_T1_T2_T3_T4_T5_mmT6_P12ihipStream_tbEUlT_E0_NS1_11comp_targetILNS1_3genE3ELNS1_11target_archE908ELNS1_3gpuE7ELNS1_3repE0EEENS1_30default_config_static_selectorELNS0_4arch9wavefront6targetE0EEEvS10_ ; -- Begin function _ZN7rocprim17ROCPRIM_400000_NS6detail17trampoline_kernelINS0_14default_configENS1_21merge_config_selectorINS0_5tupleIJssEEENS0_10empty_typeEEEZNS1_10merge_implIS3_NS0_12zip_iteratorINS5_IJN6thrust23THRUST_200600_302600_NS6detail15normal_iteratorINSC_10device_ptrIKsEEEESI_EEEEESK_NSA_INS5_IJNSE_INSF_IsEEEESM_EEEEEPS7_SP_SP_NSC_11hip_rocprim7__merge17predicate_wrapperIssNSC_4lessIsEEEEEE10hipError_tPvRmT0_T1_T2_T3_T4_T5_mmT6_P12ihipStream_tbEUlT_E0_NS1_11comp_targetILNS1_3genE3ELNS1_11target_archE908ELNS1_3gpuE7ELNS1_3repE0EEENS1_30default_config_static_selectorELNS0_4arch9wavefront6targetE0EEEvS10_
	.globl	_ZN7rocprim17ROCPRIM_400000_NS6detail17trampoline_kernelINS0_14default_configENS1_21merge_config_selectorINS0_5tupleIJssEEENS0_10empty_typeEEEZNS1_10merge_implIS3_NS0_12zip_iteratorINS5_IJN6thrust23THRUST_200600_302600_NS6detail15normal_iteratorINSC_10device_ptrIKsEEEESI_EEEEESK_NSA_INS5_IJNSE_INSF_IsEEEESM_EEEEEPS7_SP_SP_NSC_11hip_rocprim7__merge17predicate_wrapperIssNSC_4lessIsEEEEEE10hipError_tPvRmT0_T1_T2_T3_T4_T5_mmT6_P12ihipStream_tbEUlT_E0_NS1_11comp_targetILNS1_3genE3ELNS1_11target_archE908ELNS1_3gpuE7ELNS1_3repE0EEENS1_30default_config_static_selectorELNS0_4arch9wavefront6targetE0EEEvS10_
	.p2align	8
	.type	_ZN7rocprim17ROCPRIM_400000_NS6detail17trampoline_kernelINS0_14default_configENS1_21merge_config_selectorINS0_5tupleIJssEEENS0_10empty_typeEEEZNS1_10merge_implIS3_NS0_12zip_iteratorINS5_IJN6thrust23THRUST_200600_302600_NS6detail15normal_iteratorINSC_10device_ptrIKsEEEESI_EEEEESK_NSA_INS5_IJNSE_INSF_IsEEEESM_EEEEEPS7_SP_SP_NSC_11hip_rocprim7__merge17predicate_wrapperIssNSC_4lessIsEEEEEE10hipError_tPvRmT0_T1_T2_T3_T4_T5_mmT6_P12ihipStream_tbEUlT_E0_NS1_11comp_targetILNS1_3genE3ELNS1_11target_archE908ELNS1_3gpuE7ELNS1_3repE0EEENS1_30default_config_static_selectorELNS0_4arch9wavefront6targetE0EEEvS10_,@function
_ZN7rocprim17ROCPRIM_400000_NS6detail17trampoline_kernelINS0_14default_configENS1_21merge_config_selectorINS0_5tupleIJssEEENS0_10empty_typeEEEZNS1_10merge_implIS3_NS0_12zip_iteratorINS5_IJN6thrust23THRUST_200600_302600_NS6detail15normal_iteratorINSC_10device_ptrIKsEEEESI_EEEEESK_NSA_INS5_IJNSE_INSF_IsEEEESM_EEEEEPS7_SP_SP_NSC_11hip_rocprim7__merge17predicate_wrapperIssNSC_4lessIsEEEEEE10hipError_tPvRmT0_T1_T2_T3_T4_T5_mmT6_P12ihipStream_tbEUlT_E0_NS1_11comp_targetILNS1_3genE3ELNS1_11target_archE908ELNS1_3gpuE7ELNS1_3repE0EEENS1_30default_config_static_selectorELNS0_4arch9wavefront6targetE0EEEvS10_: ; @_ZN7rocprim17ROCPRIM_400000_NS6detail17trampoline_kernelINS0_14default_configENS1_21merge_config_selectorINS0_5tupleIJssEEENS0_10empty_typeEEEZNS1_10merge_implIS3_NS0_12zip_iteratorINS5_IJN6thrust23THRUST_200600_302600_NS6detail15normal_iteratorINSC_10device_ptrIKsEEEESI_EEEEESK_NSA_INS5_IJNSE_INSF_IsEEEESM_EEEEEPS7_SP_SP_NSC_11hip_rocprim7__merge17predicate_wrapperIssNSC_4lessIsEEEEEE10hipError_tPvRmT0_T1_T2_T3_T4_T5_mmT6_P12ihipStream_tbEUlT_E0_NS1_11comp_targetILNS1_3genE3ELNS1_11target_archE908ELNS1_3gpuE7ELNS1_3repE0EEENS1_30default_config_static_selectorELNS0_4arch9wavefront6targetE0EEEvS10_
; %bb.0:
	.section	.rodata,"a",@progbits
	.p2align	6, 0x0
	.amdhsa_kernel _ZN7rocprim17ROCPRIM_400000_NS6detail17trampoline_kernelINS0_14default_configENS1_21merge_config_selectorINS0_5tupleIJssEEENS0_10empty_typeEEEZNS1_10merge_implIS3_NS0_12zip_iteratorINS5_IJN6thrust23THRUST_200600_302600_NS6detail15normal_iteratorINSC_10device_ptrIKsEEEESI_EEEEESK_NSA_INS5_IJNSE_INSF_IsEEEESM_EEEEEPS7_SP_SP_NSC_11hip_rocprim7__merge17predicate_wrapperIssNSC_4lessIsEEEEEE10hipError_tPvRmT0_T1_T2_T3_T4_T5_mmT6_P12ihipStream_tbEUlT_E0_NS1_11comp_targetILNS1_3genE3ELNS1_11target_archE908ELNS1_3gpuE7ELNS1_3repE0EEENS1_30default_config_static_selectorELNS0_4arch9wavefront6targetE0EEEvS10_
		.amdhsa_group_segment_fixed_size 0
		.amdhsa_private_segment_fixed_size 0
		.amdhsa_kernarg_size 112
		.amdhsa_user_sgpr_count 2
		.amdhsa_user_sgpr_dispatch_ptr 0
		.amdhsa_user_sgpr_queue_ptr 0
		.amdhsa_user_sgpr_kernarg_segment_ptr 1
		.amdhsa_user_sgpr_dispatch_id 0
		.amdhsa_user_sgpr_kernarg_preload_length 0
		.amdhsa_user_sgpr_kernarg_preload_offset 0
		.amdhsa_user_sgpr_private_segment_size 0
		.amdhsa_wavefront_size32 1
		.amdhsa_uses_dynamic_stack 0
		.amdhsa_enable_private_segment 0
		.amdhsa_system_sgpr_workgroup_id_x 1
		.amdhsa_system_sgpr_workgroup_id_y 0
		.amdhsa_system_sgpr_workgroup_id_z 0
		.amdhsa_system_sgpr_workgroup_info 0
		.amdhsa_system_vgpr_workitem_id 0
		.amdhsa_next_free_vgpr 1
		.amdhsa_next_free_sgpr 1
		.amdhsa_named_barrier_count 0
		.amdhsa_reserve_vcc 0
		.amdhsa_float_round_mode_32 0
		.amdhsa_float_round_mode_16_64 0
		.amdhsa_float_denorm_mode_32 3
		.amdhsa_float_denorm_mode_16_64 3
		.amdhsa_fp16_overflow 0
		.amdhsa_memory_ordered 1
		.amdhsa_forward_progress 1
		.amdhsa_inst_pref_size 0
		.amdhsa_round_robin_scheduling 0
		.amdhsa_exception_fp_ieee_invalid_op 0
		.amdhsa_exception_fp_denorm_src 0
		.amdhsa_exception_fp_ieee_div_zero 0
		.amdhsa_exception_fp_ieee_overflow 0
		.amdhsa_exception_fp_ieee_underflow 0
		.amdhsa_exception_fp_ieee_inexact 0
		.amdhsa_exception_int_div_zero 0
	.end_amdhsa_kernel
	.section	.text._ZN7rocprim17ROCPRIM_400000_NS6detail17trampoline_kernelINS0_14default_configENS1_21merge_config_selectorINS0_5tupleIJssEEENS0_10empty_typeEEEZNS1_10merge_implIS3_NS0_12zip_iteratorINS5_IJN6thrust23THRUST_200600_302600_NS6detail15normal_iteratorINSC_10device_ptrIKsEEEESI_EEEEESK_NSA_INS5_IJNSE_INSF_IsEEEESM_EEEEEPS7_SP_SP_NSC_11hip_rocprim7__merge17predicate_wrapperIssNSC_4lessIsEEEEEE10hipError_tPvRmT0_T1_T2_T3_T4_T5_mmT6_P12ihipStream_tbEUlT_E0_NS1_11comp_targetILNS1_3genE3ELNS1_11target_archE908ELNS1_3gpuE7ELNS1_3repE0EEENS1_30default_config_static_selectorELNS0_4arch9wavefront6targetE0EEEvS10_,"axG",@progbits,_ZN7rocprim17ROCPRIM_400000_NS6detail17trampoline_kernelINS0_14default_configENS1_21merge_config_selectorINS0_5tupleIJssEEENS0_10empty_typeEEEZNS1_10merge_implIS3_NS0_12zip_iteratorINS5_IJN6thrust23THRUST_200600_302600_NS6detail15normal_iteratorINSC_10device_ptrIKsEEEESI_EEEEESK_NSA_INS5_IJNSE_INSF_IsEEEESM_EEEEEPS7_SP_SP_NSC_11hip_rocprim7__merge17predicate_wrapperIssNSC_4lessIsEEEEEE10hipError_tPvRmT0_T1_T2_T3_T4_T5_mmT6_P12ihipStream_tbEUlT_E0_NS1_11comp_targetILNS1_3genE3ELNS1_11target_archE908ELNS1_3gpuE7ELNS1_3repE0EEENS1_30default_config_static_selectorELNS0_4arch9wavefront6targetE0EEEvS10_,comdat
.Lfunc_end292:
	.size	_ZN7rocprim17ROCPRIM_400000_NS6detail17trampoline_kernelINS0_14default_configENS1_21merge_config_selectorINS0_5tupleIJssEEENS0_10empty_typeEEEZNS1_10merge_implIS3_NS0_12zip_iteratorINS5_IJN6thrust23THRUST_200600_302600_NS6detail15normal_iteratorINSC_10device_ptrIKsEEEESI_EEEEESK_NSA_INS5_IJNSE_INSF_IsEEEESM_EEEEEPS7_SP_SP_NSC_11hip_rocprim7__merge17predicate_wrapperIssNSC_4lessIsEEEEEE10hipError_tPvRmT0_T1_T2_T3_T4_T5_mmT6_P12ihipStream_tbEUlT_E0_NS1_11comp_targetILNS1_3genE3ELNS1_11target_archE908ELNS1_3gpuE7ELNS1_3repE0EEENS1_30default_config_static_selectorELNS0_4arch9wavefront6targetE0EEEvS10_, .Lfunc_end292-_ZN7rocprim17ROCPRIM_400000_NS6detail17trampoline_kernelINS0_14default_configENS1_21merge_config_selectorINS0_5tupleIJssEEENS0_10empty_typeEEEZNS1_10merge_implIS3_NS0_12zip_iteratorINS5_IJN6thrust23THRUST_200600_302600_NS6detail15normal_iteratorINSC_10device_ptrIKsEEEESI_EEEEESK_NSA_INS5_IJNSE_INSF_IsEEEESM_EEEEEPS7_SP_SP_NSC_11hip_rocprim7__merge17predicate_wrapperIssNSC_4lessIsEEEEEE10hipError_tPvRmT0_T1_T2_T3_T4_T5_mmT6_P12ihipStream_tbEUlT_E0_NS1_11comp_targetILNS1_3genE3ELNS1_11target_archE908ELNS1_3gpuE7ELNS1_3repE0EEENS1_30default_config_static_selectorELNS0_4arch9wavefront6targetE0EEEvS10_
                                        ; -- End function
	.set _ZN7rocprim17ROCPRIM_400000_NS6detail17trampoline_kernelINS0_14default_configENS1_21merge_config_selectorINS0_5tupleIJssEEENS0_10empty_typeEEEZNS1_10merge_implIS3_NS0_12zip_iteratorINS5_IJN6thrust23THRUST_200600_302600_NS6detail15normal_iteratorINSC_10device_ptrIKsEEEESI_EEEEESK_NSA_INS5_IJNSE_INSF_IsEEEESM_EEEEEPS7_SP_SP_NSC_11hip_rocprim7__merge17predicate_wrapperIssNSC_4lessIsEEEEEE10hipError_tPvRmT0_T1_T2_T3_T4_T5_mmT6_P12ihipStream_tbEUlT_E0_NS1_11comp_targetILNS1_3genE3ELNS1_11target_archE908ELNS1_3gpuE7ELNS1_3repE0EEENS1_30default_config_static_selectorELNS0_4arch9wavefront6targetE0EEEvS10_.num_vgpr, 0
	.set _ZN7rocprim17ROCPRIM_400000_NS6detail17trampoline_kernelINS0_14default_configENS1_21merge_config_selectorINS0_5tupleIJssEEENS0_10empty_typeEEEZNS1_10merge_implIS3_NS0_12zip_iteratorINS5_IJN6thrust23THRUST_200600_302600_NS6detail15normal_iteratorINSC_10device_ptrIKsEEEESI_EEEEESK_NSA_INS5_IJNSE_INSF_IsEEEESM_EEEEEPS7_SP_SP_NSC_11hip_rocprim7__merge17predicate_wrapperIssNSC_4lessIsEEEEEE10hipError_tPvRmT0_T1_T2_T3_T4_T5_mmT6_P12ihipStream_tbEUlT_E0_NS1_11comp_targetILNS1_3genE3ELNS1_11target_archE908ELNS1_3gpuE7ELNS1_3repE0EEENS1_30default_config_static_selectorELNS0_4arch9wavefront6targetE0EEEvS10_.num_agpr, 0
	.set _ZN7rocprim17ROCPRIM_400000_NS6detail17trampoline_kernelINS0_14default_configENS1_21merge_config_selectorINS0_5tupleIJssEEENS0_10empty_typeEEEZNS1_10merge_implIS3_NS0_12zip_iteratorINS5_IJN6thrust23THRUST_200600_302600_NS6detail15normal_iteratorINSC_10device_ptrIKsEEEESI_EEEEESK_NSA_INS5_IJNSE_INSF_IsEEEESM_EEEEEPS7_SP_SP_NSC_11hip_rocprim7__merge17predicate_wrapperIssNSC_4lessIsEEEEEE10hipError_tPvRmT0_T1_T2_T3_T4_T5_mmT6_P12ihipStream_tbEUlT_E0_NS1_11comp_targetILNS1_3genE3ELNS1_11target_archE908ELNS1_3gpuE7ELNS1_3repE0EEENS1_30default_config_static_selectorELNS0_4arch9wavefront6targetE0EEEvS10_.numbered_sgpr, 0
	.set _ZN7rocprim17ROCPRIM_400000_NS6detail17trampoline_kernelINS0_14default_configENS1_21merge_config_selectorINS0_5tupleIJssEEENS0_10empty_typeEEEZNS1_10merge_implIS3_NS0_12zip_iteratorINS5_IJN6thrust23THRUST_200600_302600_NS6detail15normal_iteratorINSC_10device_ptrIKsEEEESI_EEEEESK_NSA_INS5_IJNSE_INSF_IsEEEESM_EEEEEPS7_SP_SP_NSC_11hip_rocprim7__merge17predicate_wrapperIssNSC_4lessIsEEEEEE10hipError_tPvRmT0_T1_T2_T3_T4_T5_mmT6_P12ihipStream_tbEUlT_E0_NS1_11comp_targetILNS1_3genE3ELNS1_11target_archE908ELNS1_3gpuE7ELNS1_3repE0EEENS1_30default_config_static_selectorELNS0_4arch9wavefront6targetE0EEEvS10_.num_named_barrier, 0
	.set _ZN7rocprim17ROCPRIM_400000_NS6detail17trampoline_kernelINS0_14default_configENS1_21merge_config_selectorINS0_5tupleIJssEEENS0_10empty_typeEEEZNS1_10merge_implIS3_NS0_12zip_iteratorINS5_IJN6thrust23THRUST_200600_302600_NS6detail15normal_iteratorINSC_10device_ptrIKsEEEESI_EEEEESK_NSA_INS5_IJNSE_INSF_IsEEEESM_EEEEEPS7_SP_SP_NSC_11hip_rocprim7__merge17predicate_wrapperIssNSC_4lessIsEEEEEE10hipError_tPvRmT0_T1_T2_T3_T4_T5_mmT6_P12ihipStream_tbEUlT_E0_NS1_11comp_targetILNS1_3genE3ELNS1_11target_archE908ELNS1_3gpuE7ELNS1_3repE0EEENS1_30default_config_static_selectorELNS0_4arch9wavefront6targetE0EEEvS10_.private_seg_size, 0
	.set _ZN7rocprim17ROCPRIM_400000_NS6detail17trampoline_kernelINS0_14default_configENS1_21merge_config_selectorINS0_5tupleIJssEEENS0_10empty_typeEEEZNS1_10merge_implIS3_NS0_12zip_iteratorINS5_IJN6thrust23THRUST_200600_302600_NS6detail15normal_iteratorINSC_10device_ptrIKsEEEESI_EEEEESK_NSA_INS5_IJNSE_INSF_IsEEEESM_EEEEEPS7_SP_SP_NSC_11hip_rocprim7__merge17predicate_wrapperIssNSC_4lessIsEEEEEE10hipError_tPvRmT0_T1_T2_T3_T4_T5_mmT6_P12ihipStream_tbEUlT_E0_NS1_11comp_targetILNS1_3genE3ELNS1_11target_archE908ELNS1_3gpuE7ELNS1_3repE0EEENS1_30default_config_static_selectorELNS0_4arch9wavefront6targetE0EEEvS10_.uses_vcc, 0
	.set _ZN7rocprim17ROCPRIM_400000_NS6detail17trampoline_kernelINS0_14default_configENS1_21merge_config_selectorINS0_5tupleIJssEEENS0_10empty_typeEEEZNS1_10merge_implIS3_NS0_12zip_iteratorINS5_IJN6thrust23THRUST_200600_302600_NS6detail15normal_iteratorINSC_10device_ptrIKsEEEESI_EEEEESK_NSA_INS5_IJNSE_INSF_IsEEEESM_EEEEEPS7_SP_SP_NSC_11hip_rocprim7__merge17predicate_wrapperIssNSC_4lessIsEEEEEE10hipError_tPvRmT0_T1_T2_T3_T4_T5_mmT6_P12ihipStream_tbEUlT_E0_NS1_11comp_targetILNS1_3genE3ELNS1_11target_archE908ELNS1_3gpuE7ELNS1_3repE0EEENS1_30default_config_static_selectorELNS0_4arch9wavefront6targetE0EEEvS10_.uses_flat_scratch, 0
	.set _ZN7rocprim17ROCPRIM_400000_NS6detail17trampoline_kernelINS0_14default_configENS1_21merge_config_selectorINS0_5tupleIJssEEENS0_10empty_typeEEEZNS1_10merge_implIS3_NS0_12zip_iteratorINS5_IJN6thrust23THRUST_200600_302600_NS6detail15normal_iteratorINSC_10device_ptrIKsEEEESI_EEEEESK_NSA_INS5_IJNSE_INSF_IsEEEESM_EEEEEPS7_SP_SP_NSC_11hip_rocprim7__merge17predicate_wrapperIssNSC_4lessIsEEEEEE10hipError_tPvRmT0_T1_T2_T3_T4_T5_mmT6_P12ihipStream_tbEUlT_E0_NS1_11comp_targetILNS1_3genE3ELNS1_11target_archE908ELNS1_3gpuE7ELNS1_3repE0EEENS1_30default_config_static_selectorELNS0_4arch9wavefront6targetE0EEEvS10_.has_dyn_sized_stack, 0
	.set _ZN7rocprim17ROCPRIM_400000_NS6detail17trampoline_kernelINS0_14default_configENS1_21merge_config_selectorINS0_5tupleIJssEEENS0_10empty_typeEEEZNS1_10merge_implIS3_NS0_12zip_iteratorINS5_IJN6thrust23THRUST_200600_302600_NS6detail15normal_iteratorINSC_10device_ptrIKsEEEESI_EEEEESK_NSA_INS5_IJNSE_INSF_IsEEEESM_EEEEEPS7_SP_SP_NSC_11hip_rocprim7__merge17predicate_wrapperIssNSC_4lessIsEEEEEE10hipError_tPvRmT0_T1_T2_T3_T4_T5_mmT6_P12ihipStream_tbEUlT_E0_NS1_11comp_targetILNS1_3genE3ELNS1_11target_archE908ELNS1_3gpuE7ELNS1_3repE0EEENS1_30default_config_static_selectorELNS0_4arch9wavefront6targetE0EEEvS10_.has_recursion, 0
	.set _ZN7rocprim17ROCPRIM_400000_NS6detail17trampoline_kernelINS0_14default_configENS1_21merge_config_selectorINS0_5tupleIJssEEENS0_10empty_typeEEEZNS1_10merge_implIS3_NS0_12zip_iteratorINS5_IJN6thrust23THRUST_200600_302600_NS6detail15normal_iteratorINSC_10device_ptrIKsEEEESI_EEEEESK_NSA_INS5_IJNSE_INSF_IsEEEESM_EEEEEPS7_SP_SP_NSC_11hip_rocprim7__merge17predicate_wrapperIssNSC_4lessIsEEEEEE10hipError_tPvRmT0_T1_T2_T3_T4_T5_mmT6_P12ihipStream_tbEUlT_E0_NS1_11comp_targetILNS1_3genE3ELNS1_11target_archE908ELNS1_3gpuE7ELNS1_3repE0EEENS1_30default_config_static_selectorELNS0_4arch9wavefront6targetE0EEEvS10_.has_indirect_call, 0
	.section	.AMDGPU.csdata,"",@progbits
; Kernel info:
; codeLenInByte = 0
; TotalNumSgprs: 0
; NumVgprs: 0
; ScratchSize: 0
; MemoryBound: 0
; FloatMode: 240
; IeeeMode: 1
; LDSByteSize: 0 bytes/workgroup (compile time only)
; SGPRBlocks: 0
; VGPRBlocks: 0
; NumSGPRsForWavesPerEU: 1
; NumVGPRsForWavesPerEU: 1
; NamedBarCnt: 0
; Occupancy: 16
; WaveLimiterHint : 0
; COMPUTE_PGM_RSRC2:SCRATCH_EN: 0
; COMPUTE_PGM_RSRC2:USER_SGPR: 2
; COMPUTE_PGM_RSRC2:TRAP_HANDLER: 0
; COMPUTE_PGM_RSRC2:TGID_X_EN: 1
; COMPUTE_PGM_RSRC2:TGID_Y_EN: 0
; COMPUTE_PGM_RSRC2:TGID_Z_EN: 0
; COMPUTE_PGM_RSRC2:TIDIG_COMP_CNT: 0
	.section	.text._ZN7rocprim17ROCPRIM_400000_NS6detail17trampoline_kernelINS0_14default_configENS1_21merge_config_selectorINS0_5tupleIJssEEENS0_10empty_typeEEEZNS1_10merge_implIS3_NS0_12zip_iteratorINS5_IJN6thrust23THRUST_200600_302600_NS6detail15normal_iteratorINSC_10device_ptrIKsEEEESI_EEEEESK_NSA_INS5_IJNSE_INSF_IsEEEESM_EEEEEPS7_SP_SP_NSC_11hip_rocprim7__merge17predicate_wrapperIssNSC_4lessIsEEEEEE10hipError_tPvRmT0_T1_T2_T3_T4_T5_mmT6_P12ihipStream_tbEUlT_E0_NS1_11comp_targetILNS1_3genE2ELNS1_11target_archE906ELNS1_3gpuE6ELNS1_3repE0EEENS1_30default_config_static_selectorELNS0_4arch9wavefront6targetE0EEEvS10_,"axG",@progbits,_ZN7rocprim17ROCPRIM_400000_NS6detail17trampoline_kernelINS0_14default_configENS1_21merge_config_selectorINS0_5tupleIJssEEENS0_10empty_typeEEEZNS1_10merge_implIS3_NS0_12zip_iteratorINS5_IJN6thrust23THRUST_200600_302600_NS6detail15normal_iteratorINSC_10device_ptrIKsEEEESI_EEEEESK_NSA_INS5_IJNSE_INSF_IsEEEESM_EEEEEPS7_SP_SP_NSC_11hip_rocprim7__merge17predicate_wrapperIssNSC_4lessIsEEEEEE10hipError_tPvRmT0_T1_T2_T3_T4_T5_mmT6_P12ihipStream_tbEUlT_E0_NS1_11comp_targetILNS1_3genE2ELNS1_11target_archE906ELNS1_3gpuE6ELNS1_3repE0EEENS1_30default_config_static_selectorELNS0_4arch9wavefront6targetE0EEEvS10_,comdat
	.protected	_ZN7rocprim17ROCPRIM_400000_NS6detail17trampoline_kernelINS0_14default_configENS1_21merge_config_selectorINS0_5tupleIJssEEENS0_10empty_typeEEEZNS1_10merge_implIS3_NS0_12zip_iteratorINS5_IJN6thrust23THRUST_200600_302600_NS6detail15normal_iteratorINSC_10device_ptrIKsEEEESI_EEEEESK_NSA_INS5_IJNSE_INSF_IsEEEESM_EEEEEPS7_SP_SP_NSC_11hip_rocprim7__merge17predicate_wrapperIssNSC_4lessIsEEEEEE10hipError_tPvRmT0_T1_T2_T3_T4_T5_mmT6_P12ihipStream_tbEUlT_E0_NS1_11comp_targetILNS1_3genE2ELNS1_11target_archE906ELNS1_3gpuE6ELNS1_3repE0EEENS1_30default_config_static_selectorELNS0_4arch9wavefront6targetE0EEEvS10_ ; -- Begin function _ZN7rocprim17ROCPRIM_400000_NS6detail17trampoline_kernelINS0_14default_configENS1_21merge_config_selectorINS0_5tupleIJssEEENS0_10empty_typeEEEZNS1_10merge_implIS3_NS0_12zip_iteratorINS5_IJN6thrust23THRUST_200600_302600_NS6detail15normal_iteratorINSC_10device_ptrIKsEEEESI_EEEEESK_NSA_INS5_IJNSE_INSF_IsEEEESM_EEEEEPS7_SP_SP_NSC_11hip_rocprim7__merge17predicate_wrapperIssNSC_4lessIsEEEEEE10hipError_tPvRmT0_T1_T2_T3_T4_T5_mmT6_P12ihipStream_tbEUlT_E0_NS1_11comp_targetILNS1_3genE2ELNS1_11target_archE906ELNS1_3gpuE6ELNS1_3repE0EEENS1_30default_config_static_selectorELNS0_4arch9wavefront6targetE0EEEvS10_
	.globl	_ZN7rocprim17ROCPRIM_400000_NS6detail17trampoline_kernelINS0_14default_configENS1_21merge_config_selectorINS0_5tupleIJssEEENS0_10empty_typeEEEZNS1_10merge_implIS3_NS0_12zip_iteratorINS5_IJN6thrust23THRUST_200600_302600_NS6detail15normal_iteratorINSC_10device_ptrIKsEEEESI_EEEEESK_NSA_INS5_IJNSE_INSF_IsEEEESM_EEEEEPS7_SP_SP_NSC_11hip_rocprim7__merge17predicate_wrapperIssNSC_4lessIsEEEEEE10hipError_tPvRmT0_T1_T2_T3_T4_T5_mmT6_P12ihipStream_tbEUlT_E0_NS1_11comp_targetILNS1_3genE2ELNS1_11target_archE906ELNS1_3gpuE6ELNS1_3repE0EEENS1_30default_config_static_selectorELNS0_4arch9wavefront6targetE0EEEvS10_
	.p2align	8
	.type	_ZN7rocprim17ROCPRIM_400000_NS6detail17trampoline_kernelINS0_14default_configENS1_21merge_config_selectorINS0_5tupleIJssEEENS0_10empty_typeEEEZNS1_10merge_implIS3_NS0_12zip_iteratorINS5_IJN6thrust23THRUST_200600_302600_NS6detail15normal_iteratorINSC_10device_ptrIKsEEEESI_EEEEESK_NSA_INS5_IJNSE_INSF_IsEEEESM_EEEEEPS7_SP_SP_NSC_11hip_rocprim7__merge17predicate_wrapperIssNSC_4lessIsEEEEEE10hipError_tPvRmT0_T1_T2_T3_T4_T5_mmT6_P12ihipStream_tbEUlT_E0_NS1_11comp_targetILNS1_3genE2ELNS1_11target_archE906ELNS1_3gpuE6ELNS1_3repE0EEENS1_30default_config_static_selectorELNS0_4arch9wavefront6targetE0EEEvS10_,@function
_ZN7rocprim17ROCPRIM_400000_NS6detail17trampoline_kernelINS0_14default_configENS1_21merge_config_selectorINS0_5tupleIJssEEENS0_10empty_typeEEEZNS1_10merge_implIS3_NS0_12zip_iteratorINS5_IJN6thrust23THRUST_200600_302600_NS6detail15normal_iteratorINSC_10device_ptrIKsEEEESI_EEEEESK_NSA_INS5_IJNSE_INSF_IsEEEESM_EEEEEPS7_SP_SP_NSC_11hip_rocprim7__merge17predicate_wrapperIssNSC_4lessIsEEEEEE10hipError_tPvRmT0_T1_T2_T3_T4_T5_mmT6_P12ihipStream_tbEUlT_E0_NS1_11comp_targetILNS1_3genE2ELNS1_11target_archE906ELNS1_3gpuE6ELNS1_3repE0EEENS1_30default_config_static_selectorELNS0_4arch9wavefront6targetE0EEEvS10_: ; @_ZN7rocprim17ROCPRIM_400000_NS6detail17trampoline_kernelINS0_14default_configENS1_21merge_config_selectorINS0_5tupleIJssEEENS0_10empty_typeEEEZNS1_10merge_implIS3_NS0_12zip_iteratorINS5_IJN6thrust23THRUST_200600_302600_NS6detail15normal_iteratorINSC_10device_ptrIKsEEEESI_EEEEESK_NSA_INS5_IJNSE_INSF_IsEEEESM_EEEEEPS7_SP_SP_NSC_11hip_rocprim7__merge17predicate_wrapperIssNSC_4lessIsEEEEEE10hipError_tPvRmT0_T1_T2_T3_T4_T5_mmT6_P12ihipStream_tbEUlT_E0_NS1_11comp_targetILNS1_3genE2ELNS1_11target_archE906ELNS1_3gpuE6ELNS1_3repE0EEENS1_30default_config_static_selectorELNS0_4arch9wavefront6targetE0EEEvS10_
; %bb.0:
	.section	.rodata,"a",@progbits
	.p2align	6, 0x0
	.amdhsa_kernel _ZN7rocprim17ROCPRIM_400000_NS6detail17trampoline_kernelINS0_14default_configENS1_21merge_config_selectorINS0_5tupleIJssEEENS0_10empty_typeEEEZNS1_10merge_implIS3_NS0_12zip_iteratorINS5_IJN6thrust23THRUST_200600_302600_NS6detail15normal_iteratorINSC_10device_ptrIKsEEEESI_EEEEESK_NSA_INS5_IJNSE_INSF_IsEEEESM_EEEEEPS7_SP_SP_NSC_11hip_rocprim7__merge17predicate_wrapperIssNSC_4lessIsEEEEEE10hipError_tPvRmT0_T1_T2_T3_T4_T5_mmT6_P12ihipStream_tbEUlT_E0_NS1_11comp_targetILNS1_3genE2ELNS1_11target_archE906ELNS1_3gpuE6ELNS1_3repE0EEENS1_30default_config_static_selectorELNS0_4arch9wavefront6targetE0EEEvS10_
		.amdhsa_group_segment_fixed_size 0
		.amdhsa_private_segment_fixed_size 0
		.amdhsa_kernarg_size 112
		.amdhsa_user_sgpr_count 2
		.amdhsa_user_sgpr_dispatch_ptr 0
		.amdhsa_user_sgpr_queue_ptr 0
		.amdhsa_user_sgpr_kernarg_segment_ptr 1
		.amdhsa_user_sgpr_dispatch_id 0
		.amdhsa_user_sgpr_kernarg_preload_length 0
		.amdhsa_user_sgpr_kernarg_preload_offset 0
		.amdhsa_user_sgpr_private_segment_size 0
		.amdhsa_wavefront_size32 1
		.amdhsa_uses_dynamic_stack 0
		.amdhsa_enable_private_segment 0
		.amdhsa_system_sgpr_workgroup_id_x 1
		.amdhsa_system_sgpr_workgroup_id_y 0
		.amdhsa_system_sgpr_workgroup_id_z 0
		.amdhsa_system_sgpr_workgroup_info 0
		.amdhsa_system_vgpr_workitem_id 0
		.amdhsa_next_free_vgpr 1
		.amdhsa_next_free_sgpr 1
		.amdhsa_named_barrier_count 0
		.amdhsa_reserve_vcc 0
		.amdhsa_float_round_mode_32 0
		.amdhsa_float_round_mode_16_64 0
		.amdhsa_float_denorm_mode_32 3
		.amdhsa_float_denorm_mode_16_64 3
		.amdhsa_fp16_overflow 0
		.amdhsa_memory_ordered 1
		.amdhsa_forward_progress 1
		.amdhsa_inst_pref_size 0
		.amdhsa_round_robin_scheduling 0
		.amdhsa_exception_fp_ieee_invalid_op 0
		.amdhsa_exception_fp_denorm_src 0
		.amdhsa_exception_fp_ieee_div_zero 0
		.amdhsa_exception_fp_ieee_overflow 0
		.amdhsa_exception_fp_ieee_underflow 0
		.amdhsa_exception_fp_ieee_inexact 0
		.amdhsa_exception_int_div_zero 0
	.end_amdhsa_kernel
	.section	.text._ZN7rocprim17ROCPRIM_400000_NS6detail17trampoline_kernelINS0_14default_configENS1_21merge_config_selectorINS0_5tupleIJssEEENS0_10empty_typeEEEZNS1_10merge_implIS3_NS0_12zip_iteratorINS5_IJN6thrust23THRUST_200600_302600_NS6detail15normal_iteratorINSC_10device_ptrIKsEEEESI_EEEEESK_NSA_INS5_IJNSE_INSF_IsEEEESM_EEEEEPS7_SP_SP_NSC_11hip_rocprim7__merge17predicate_wrapperIssNSC_4lessIsEEEEEE10hipError_tPvRmT0_T1_T2_T3_T4_T5_mmT6_P12ihipStream_tbEUlT_E0_NS1_11comp_targetILNS1_3genE2ELNS1_11target_archE906ELNS1_3gpuE6ELNS1_3repE0EEENS1_30default_config_static_selectorELNS0_4arch9wavefront6targetE0EEEvS10_,"axG",@progbits,_ZN7rocprim17ROCPRIM_400000_NS6detail17trampoline_kernelINS0_14default_configENS1_21merge_config_selectorINS0_5tupleIJssEEENS0_10empty_typeEEEZNS1_10merge_implIS3_NS0_12zip_iteratorINS5_IJN6thrust23THRUST_200600_302600_NS6detail15normal_iteratorINSC_10device_ptrIKsEEEESI_EEEEESK_NSA_INS5_IJNSE_INSF_IsEEEESM_EEEEEPS7_SP_SP_NSC_11hip_rocprim7__merge17predicate_wrapperIssNSC_4lessIsEEEEEE10hipError_tPvRmT0_T1_T2_T3_T4_T5_mmT6_P12ihipStream_tbEUlT_E0_NS1_11comp_targetILNS1_3genE2ELNS1_11target_archE906ELNS1_3gpuE6ELNS1_3repE0EEENS1_30default_config_static_selectorELNS0_4arch9wavefront6targetE0EEEvS10_,comdat
.Lfunc_end293:
	.size	_ZN7rocprim17ROCPRIM_400000_NS6detail17trampoline_kernelINS0_14default_configENS1_21merge_config_selectorINS0_5tupleIJssEEENS0_10empty_typeEEEZNS1_10merge_implIS3_NS0_12zip_iteratorINS5_IJN6thrust23THRUST_200600_302600_NS6detail15normal_iteratorINSC_10device_ptrIKsEEEESI_EEEEESK_NSA_INS5_IJNSE_INSF_IsEEEESM_EEEEEPS7_SP_SP_NSC_11hip_rocprim7__merge17predicate_wrapperIssNSC_4lessIsEEEEEE10hipError_tPvRmT0_T1_T2_T3_T4_T5_mmT6_P12ihipStream_tbEUlT_E0_NS1_11comp_targetILNS1_3genE2ELNS1_11target_archE906ELNS1_3gpuE6ELNS1_3repE0EEENS1_30default_config_static_selectorELNS0_4arch9wavefront6targetE0EEEvS10_, .Lfunc_end293-_ZN7rocprim17ROCPRIM_400000_NS6detail17trampoline_kernelINS0_14default_configENS1_21merge_config_selectorINS0_5tupleIJssEEENS0_10empty_typeEEEZNS1_10merge_implIS3_NS0_12zip_iteratorINS5_IJN6thrust23THRUST_200600_302600_NS6detail15normal_iteratorINSC_10device_ptrIKsEEEESI_EEEEESK_NSA_INS5_IJNSE_INSF_IsEEEESM_EEEEEPS7_SP_SP_NSC_11hip_rocprim7__merge17predicate_wrapperIssNSC_4lessIsEEEEEE10hipError_tPvRmT0_T1_T2_T3_T4_T5_mmT6_P12ihipStream_tbEUlT_E0_NS1_11comp_targetILNS1_3genE2ELNS1_11target_archE906ELNS1_3gpuE6ELNS1_3repE0EEENS1_30default_config_static_selectorELNS0_4arch9wavefront6targetE0EEEvS10_
                                        ; -- End function
	.set _ZN7rocprim17ROCPRIM_400000_NS6detail17trampoline_kernelINS0_14default_configENS1_21merge_config_selectorINS0_5tupleIJssEEENS0_10empty_typeEEEZNS1_10merge_implIS3_NS0_12zip_iteratorINS5_IJN6thrust23THRUST_200600_302600_NS6detail15normal_iteratorINSC_10device_ptrIKsEEEESI_EEEEESK_NSA_INS5_IJNSE_INSF_IsEEEESM_EEEEEPS7_SP_SP_NSC_11hip_rocprim7__merge17predicate_wrapperIssNSC_4lessIsEEEEEE10hipError_tPvRmT0_T1_T2_T3_T4_T5_mmT6_P12ihipStream_tbEUlT_E0_NS1_11comp_targetILNS1_3genE2ELNS1_11target_archE906ELNS1_3gpuE6ELNS1_3repE0EEENS1_30default_config_static_selectorELNS0_4arch9wavefront6targetE0EEEvS10_.num_vgpr, 0
	.set _ZN7rocprim17ROCPRIM_400000_NS6detail17trampoline_kernelINS0_14default_configENS1_21merge_config_selectorINS0_5tupleIJssEEENS0_10empty_typeEEEZNS1_10merge_implIS3_NS0_12zip_iteratorINS5_IJN6thrust23THRUST_200600_302600_NS6detail15normal_iteratorINSC_10device_ptrIKsEEEESI_EEEEESK_NSA_INS5_IJNSE_INSF_IsEEEESM_EEEEEPS7_SP_SP_NSC_11hip_rocprim7__merge17predicate_wrapperIssNSC_4lessIsEEEEEE10hipError_tPvRmT0_T1_T2_T3_T4_T5_mmT6_P12ihipStream_tbEUlT_E0_NS1_11comp_targetILNS1_3genE2ELNS1_11target_archE906ELNS1_3gpuE6ELNS1_3repE0EEENS1_30default_config_static_selectorELNS0_4arch9wavefront6targetE0EEEvS10_.num_agpr, 0
	.set _ZN7rocprim17ROCPRIM_400000_NS6detail17trampoline_kernelINS0_14default_configENS1_21merge_config_selectorINS0_5tupleIJssEEENS0_10empty_typeEEEZNS1_10merge_implIS3_NS0_12zip_iteratorINS5_IJN6thrust23THRUST_200600_302600_NS6detail15normal_iteratorINSC_10device_ptrIKsEEEESI_EEEEESK_NSA_INS5_IJNSE_INSF_IsEEEESM_EEEEEPS7_SP_SP_NSC_11hip_rocprim7__merge17predicate_wrapperIssNSC_4lessIsEEEEEE10hipError_tPvRmT0_T1_T2_T3_T4_T5_mmT6_P12ihipStream_tbEUlT_E0_NS1_11comp_targetILNS1_3genE2ELNS1_11target_archE906ELNS1_3gpuE6ELNS1_3repE0EEENS1_30default_config_static_selectorELNS0_4arch9wavefront6targetE0EEEvS10_.numbered_sgpr, 0
	.set _ZN7rocprim17ROCPRIM_400000_NS6detail17trampoline_kernelINS0_14default_configENS1_21merge_config_selectorINS0_5tupleIJssEEENS0_10empty_typeEEEZNS1_10merge_implIS3_NS0_12zip_iteratorINS5_IJN6thrust23THRUST_200600_302600_NS6detail15normal_iteratorINSC_10device_ptrIKsEEEESI_EEEEESK_NSA_INS5_IJNSE_INSF_IsEEEESM_EEEEEPS7_SP_SP_NSC_11hip_rocprim7__merge17predicate_wrapperIssNSC_4lessIsEEEEEE10hipError_tPvRmT0_T1_T2_T3_T4_T5_mmT6_P12ihipStream_tbEUlT_E0_NS1_11comp_targetILNS1_3genE2ELNS1_11target_archE906ELNS1_3gpuE6ELNS1_3repE0EEENS1_30default_config_static_selectorELNS0_4arch9wavefront6targetE0EEEvS10_.num_named_barrier, 0
	.set _ZN7rocprim17ROCPRIM_400000_NS6detail17trampoline_kernelINS0_14default_configENS1_21merge_config_selectorINS0_5tupleIJssEEENS0_10empty_typeEEEZNS1_10merge_implIS3_NS0_12zip_iteratorINS5_IJN6thrust23THRUST_200600_302600_NS6detail15normal_iteratorINSC_10device_ptrIKsEEEESI_EEEEESK_NSA_INS5_IJNSE_INSF_IsEEEESM_EEEEEPS7_SP_SP_NSC_11hip_rocprim7__merge17predicate_wrapperIssNSC_4lessIsEEEEEE10hipError_tPvRmT0_T1_T2_T3_T4_T5_mmT6_P12ihipStream_tbEUlT_E0_NS1_11comp_targetILNS1_3genE2ELNS1_11target_archE906ELNS1_3gpuE6ELNS1_3repE0EEENS1_30default_config_static_selectorELNS0_4arch9wavefront6targetE0EEEvS10_.private_seg_size, 0
	.set _ZN7rocprim17ROCPRIM_400000_NS6detail17trampoline_kernelINS0_14default_configENS1_21merge_config_selectorINS0_5tupleIJssEEENS0_10empty_typeEEEZNS1_10merge_implIS3_NS0_12zip_iteratorINS5_IJN6thrust23THRUST_200600_302600_NS6detail15normal_iteratorINSC_10device_ptrIKsEEEESI_EEEEESK_NSA_INS5_IJNSE_INSF_IsEEEESM_EEEEEPS7_SP_SP_NSC_11hip_rocprim7__merge17predicate_wrapperIssNSC_4lessIsEEEEEE10hipError_tPvRmT0_T1_T2_T3_T4_T5_mmT6_P12ihipStream_tbEUlT_E0_NS1_11comp_targetILNS1_3genE2ELNS1_11target_archE906ELNS1_3gpuE6ELNS1_3repE0EEENS1_30default_config_static_selectorELNS0_4arch9wavefront6targetE0EEEvS10_.uses_vcc, 0
	.set _ZN7rocprim17ROCPRIM_400000_NS6detail17trampoline_kernelINS0_14default_configENS1_21merge_config_selectorINS0_5tupleIJssEEENS0_10empty_typeEEEZNS1_10merge_implIS3_NS0_12zip_iteratorINS5_IJN6thrust23THRUST_200600_302600_NS6detail15normal_iteratorINSC_10device_ptrIKsEEEESI_EEEEESK_NSA_INS5_IJNSE_INSF_IsEEEESM_EEEEEPS7_SP_SP_NSC_11hip_rocprim7__merge17predicate_wrapperIssNSC_4lessIsEEEEEE10hipError_tPvRmT0_T1_T2_T3_T4_T5_mmT6_P12ihipStream_tbEUlT_E0_NS1_11comp_targetILNS1_3genE2ELNS1_11target_archE906ELNS1_3gpuE6ELNS1_3repE0EEENS1_30default_config_static_selectorELNS0_4arch9wavefront6targetE0EEEvS10_.uses_flat_scratch, 0
	.set _ZN7rocprim17ROCPRIM_400000_NS6detail17trampoline_kernelINS0_14default_configENS1_21merge_config_selectorINS0_5tupleIJssEEENS0_10empty_typeEEEZNS1_10merge_implIS3_NS0_12zip_iteratorINS5_IJN6thrust23THRUST_200600_302600_NS6detail15normal_iteratorINSC_10device_ptrIKsEEEESI_EEEEESK_NSA_INS5_IJNSE_INSF_IsEEEESM_EEEEEPS7_SP_SP_NSC_11hip_rocprim7__merge17predicate_wrapperIssNSC_4lessIsEEEEEE10hipError_tPvRmT0_T1_T2_T3_T4_T5_mmT6_P12ihipStream_tbEUlT_E0_NS1_11comp_targetILNS1_3genE2ELNS1_11target_archE906ELNS1_3gpuE6ELNS1_3repE0EEENS1_30default_config_static_selectorELNS0_4arch9wavefront6targetE0EEEvS10_.has_dyn_sized_stack, 0
	.set _ZN7rocprim17ROCPRIM_400000_NS6detail17trampoline_kernelINS0_14default_configENS1_21merge_config_selectorINS0_5tupleIJssEEENS0_10empty_typeEEEZNS1_10merge_implIS3_NS0_12zip_iteratorINS5_IJN6thrust23THRUST_200600_302600_NS6detail15normal_iteratorINSC_10device_ptrIKsEEEESI_EEEEESK_NSA_INS5_IJNSE_INSF_IsEEEESM_EEEEEPS7_SP_SP_NSC_11hip_rocprim7__merge17predicate_wrapperIssNSC_4lessIsEEEEEE10hipError_tPvRmT0_T1_T2_T3_T4_T5_mmT6_P12ihipStream_tbEUlT_E0_NS1_11comp_targetILNS1_3genE2ELNS1_11target_archE906ELNS1_3gpuE6ELNS1_3repE0EEENS1_30default_config_static_selectorELNS0_4arch9wavefront6targetE0EEEvS10_.has_recursion, 0
	.set _ZN7rocprim17ROCPRIM_400000_NS6detail17trampoline_kernelINS0_14default_configENS1_21merge_config_selectorINS0_5tupleIJssEEENS0_10empty_typeEEEZNS1_10merge_implIS3_NS0_12zip_iteratorINS5_IJN6thrust23THRUST_200600_302600_NS6detail15normal_iteratorINSC_10device_ptrIKsEEEESI_EEEEESK_NSA_INS5_IJNSE_INSF_IsEEEESM_EEEEEPS7_SP_SP_NSC_11hip_rocprim7__merge17predicate_wrapperIssNSC_4lessIsEEEEEE10hipError_tPvRmT0_T1_T2_T3_T4_T5_mmT6_P12ihipStream_tbEUlT_E0_NS1_11comp_targetILNS1_3genE2ELNS1_11target_archE906ELNS1_3gpuE6ELNS1_3repE0EEENS1_30default_config_static_selectorELNS0_4arch9wavefront6targetE0EEEvS10_.has_indirect_call, 0
	.section	.AMDGPU.csdata,"",@progbits
; Kernel info:
; codeLenInByte = 0
; TotalNumSgprs: 0
; NumVgprs: 0
; ScratchSize: 0
; MemoryBound: 0
; FloatMode: 240
; IeeeMode: 1
; LDSByteSize: 0 bytes/workgroup (compile time only)
; SGPRBlocks: 0
; VGPRBlocks: 0
; NumSGPRsForWavesPerEU: 1
; NumVGPRsForWavesPerEU: 1
; NamedBarCnt: 0
; Occupancy: 16
; WaveLimiterHint : 0
; COMPUTE_PGM_RSRC2:SCRATCH_EN: 0
; COMPUTE_PGM_RSRC2:USER_SGPR: 2
; COMPUTE_PGM_RSRC2:TRAP_HANDLER: 0
; COMPUTE_PGM_RSRC2:TGID_X_EN: 1
; COMPUTE_PGM_RSRC2:TGID_Y_EN: 0
; COMPUTE_PGM_RSRC2:TGID_Z_EN: 0
; COMPUTE_PGM_RSRC2:TIDIG_COMP_CNT: 0
	.section	.text._ZN7rocprim17ROCPRIM_400000_NS6detail17trampoline_kernelINS0_14default_configENS1_21merge_config_selectorINS0_5tupleIJssEEENS0_10empty_typeEEEZNS1_10merge_implIS3_NS0_12zip_iteratorINS5_IJN6thrust23THRUST_200600_302600_NS6detail15normal_iteratorINSC_10device_ptrIKsEEEESI_EEEEESK_NSA_INS5_IJNSE_INSF_IsEEEESM_EEEEEPS7_SP_SP_NSC_11hip_rocprim7__merge17predicate_wrapperIssNSC_4lessIsEEEEEE10hipError_tPvRmT0_T1_T2_T3_T4_T5_mmT6_P12ihipStream_tbEUlT_E0_NS1_11comp_targetILNS1_3genE10ELNS1_11target_archE1201ELNS1_3gpuE5ELNS1_3repE0EEENS1_30default_config_static_selectorELNS0_4arch9wavefront6targetE0EEEvS10_,"axG",@progbits,_ZN7rocprim17ROCPRIM_400000_NS6detail17trampoline_kernelINS0_14default_configENS1_21merge_config_selectorINS0_5tupleIJssEEENS0_10empty_typeEEEZNS1_10merge_implIS3_NS0_12zip_iteratorINS5_IJN6thrust23THRUST_200600_302600_NS6detail15normal_iteratorINSC_10device_ptrIKsEEEESI_EEEEESK_NSA_INS5_IJNSE_INSF_IsEEEESM_EEEEEPS7_SP_SP_NSC_11hip_rocprim7__merge17predicate_wrapperIssNSC_4lessIsEEEEEE10hipError_tPvRmT0_T1_T2_T3_T4_T5_mmT6_P12ihipStream_tbEUlT_E0_NS1_11comp_targetILNS1_3genE10ELNS1_11target_archE1201ELNS1_3gpuE5ELNS1_3repE0EEENS1_30default_config_static_selectorELNS0_4arch9wavefront6targetE0EEEvS10_,comdat
	.protected	_ZN7rocprim17ROCPRIM_400000_NS6detail17trampoline_kernelINS0_14default_configENS1_21merge_config_selectorINS0_5tupleIJssEEENS0_10empty_typeEEEZNS1_10merge_implIS3_NS0_12zip_iteratorINS5_IJN6thrust23THRUST_200600_302600_NS6detail15normal_iteratorINSC_10device_ptrIKsEEEESI_EEEEESK_NSA_INS5_IJNSE_INSF_IsEEEESM_EEEEEPS7_SP_SP_NSC_11hip_rocprim7__merge17predicate_wrapperIssNSC_4lessIsEEEEEE10hipError_tPvRmT0_T1_T2_T3_T4_T5_mmT6_P12ihipStream_tbEUlT_E0_NS1_11comp_targetILNS1_3genE10ELNS1_11target_archE1201ELNS1_3gpuE5ELNS1_3repE0EEENS1_30default_config_static_selectorELNS0_4arch9wavefront6targetE0EEEvS10_ ; -- Begin function _ZN7rocprim17ROCPRIM_400000_NS6detail17trampoline_kernelINS0_14default_configENS1_21merge_config_selectorINS0_5tupleIJssEEENS0_10empty_typeEEEZNS1_10merge_implIS3_NS0_12zip_iteratorINS5_IJN6thrust23THRUST_200600_302600_NS6detail15normal_iteratorINSC_10device_ptrIKsEEEESI_EEEEESK_NSA_INS5_IJNSE_INSF_IsEEEESM_EEEEEPS7_SP_SP_NSC_11hip_rocprim7__merge17predicate_wrapperIssNSC_4lessIsEEEEEE10hipError_tPvRmT0_T1_T2_T3_T4_T5_mmT6_P12ihipStream_tbEUlT_E0_NS1_11comp_targetILNS1_3genE10ELNS1_11target_archE1201ELNS1_3gpuE5ELNS1_3repE0EEENS1_30default_config_static_selectorELNS0_4arch9wavefront6targetE0EEEvS10_
	.globl	_ZN7rocprim17ROCPRIM_400000_NS6detail17trampoline_kernelINS0_14default_configENS1_21merge_config_selectorINS0_5tupleIJssEEENS0_10empty_typeEEEZNS1_10merge_implIS3_NS0_12zip_iteratorINS5_IJN6thrust23THRUST_200600_302600_NS6detail15normal_iteratorINSC_10device_ptrIKsEEEESI_EEEEESK_NSA_INS5_IJNSE_INSF_IsEEEESM_EEEEEPS7_SP_SP_NSC_11hip_rocprim7__merge17predicate_wrapperIssNSC_4lessIsEEEEEE10hipError_tPvRmT0_T1_T2_T3_T4_T5_mmT6_P12ihipStream_tbEUlT_E0_NS1_11comp_targetILNS1_3genE10ELNS1_11target_archE1201ELNS1_3gpuE5ELNS1_3repE0EEENS1_30default_config_static_selectorELNS0_4arch9wavefront6targetE0EEEvS10_
	.p2align	8
	.type	_ZN7rocprim17ROCPRIM_400000_NS6detail17trampoline_kernelINS0_14default_configENS1_21merge_config_selectorINS0_5tupleIJssEEENS0_10empty_typeEEEZNS1_10merge_implIS3_NS0_12zip_iteratorINS5_IJN6thrust23THRUST_200600_302600_NS6detail15normal_iteratorINSC_10device_ptrIKsEEEESI_EEEEESK_NSA_INS5_IJNSE_INSF_IsEEEESM_EEEEEPS7_SP_SP_NSC_11hip_rocprim7__merge17predicate_wrapperIssNSC_4lessIsEEEEEE10hipError_tPvRmT0_T1_T2_T3_T4_T5_mmT6_P12ihipStream_tbEUlT_E0_NS1_11comp_targetILNS1_3genE10ELNS1_11target_archE1201ELNS1_3gpuE5ELNS1_3repE0EEENS1_30default_config_static_selectorELNS0_4arch9wavefront6targetE0EEEvS10_,@function
_ZN7rocprim17ROCPRIM_400000_NS6detail17trampoline_kernelINS0_14default_configENS1_21merge_config_selectorINS0_5tupleIJssEEENS0_10empty_typeEEEZNS1_10merge_implIS3_NS0_12zip_iteratorINS5_IJN6thrust23THRUST_200600_302600_NS6detail15normal_iteratorINSC_10device_ptrIKsEEEESI_EEEEESK_NSA_INS5_IJNSE_INSF_IsEEEESM_EEEEEPS7_SP_SP_NSC_11hip_rocprim7__merge17predicate_wrapperIssNSC_4lessIsEEEEEE10hipError_tPvRmT0_T1_T2_T3_T4_T5_mmT6_P12ihipStream_tbEUlT_E0_NS1_11comp_targetILNS1_3genE10ELNS1_11target_archE1201ELNS1_3gpuE5ELNS1_3repE0EEENS1_30default_config_static_selectorELNS0_4arch9wavefront6targetE0EEEvS10_: ; @_ZN7rocprim17ROCPRIM_400000_NS6detail17trampoline_kernelINS0_14default_configENS1_21merge_config_selectorINS0_5tupleIJssEEENS0_10empty_typeEEEZNS1_10merge_implIS3_NS0_12zip_iteratorINS5_IJN6thrust23THRUST_200600_302600_NS6detail15normal_iteratorINSC_10device_ptrIKsEEEESI_EEEEESK_NSA_INS5_IJNSE_INSF_IsEEEESM_EEEEEPS7_SP_SP_NSC_11hip_rocprim7__merge17predicate_wrapperIssNSC_4lessIsEEEEEE10hipError_tPvRmT0_T1_T2_T3_T4_T5_mmT6_P12ihipStream_tbEUlT_E0_NS1_11comp_targetILNS1_3genE10ELNS1_11target_archE1201ELNS1_3gpuE5ELNS1_3repE0EEENS1_30default_config_static_selectorELNS0_4arch9wavefront6targetE0EEEvS10_
; %bb.0:
	.section	.rodata,"a",@progbits
	.p2align	6, 0x0
	.amdhsa_kernel _ZN7rocprim17ROCPRIM_400000_NS6detail17trampoline_kernelINS0_14default_configENS1_21merge_config_selectorINS0_5tupleIJssEEENS0_10empty_typeEEEZNS1_10merge_implIS3_NS0_12zip_iteratorINS5_IJN6thrust23THRUST_200600_302600_NS6detail15normal_iteratorINSC_10device_ptrIKsEEEESI_EEEEESK_NSA_INS5_IJNSE_INSF_IsEEEESM_EEEEEPS7_SP_SP_NSC_11hip_rocprim7__merge17predicate_wrapperIssNSC_4lessIsEEEEEE10hipError_tPvRmT0_T1_T2_T3_T4_T5_mmT6_P12ihipStream_tbEUlT_E0_NS1_11comp_targetILNS1_3genE10ELNS1_11target_archE1201ELNS1_3gpuE5ELNS1_3repE0EEENS1_30default_config_static_selectorELNS0_4arch9wavefront6targetE0EEEvS10_
		.amdhsa_group_segment_fixed_size 0
		.amdhsa_private_segment_fixed_size 0
		.amdhsa_kernarg_size 112
		.amdhsa_user_sgpr_count 2
		.amdhsa_user_sgpr_dispatch_ptr 0
		.amdhsa_user_sgpr_queue_ptr 0
		.amdhsa_user_sgpr_kernarg_segment_ptr 1
		.amdhsa_user_sgpr_dispatch_id 0
		.amdhsa_user_sgpr_kernarg_preload_length 0
		.amdhsa_user_sgpr_kernarg_preload_offset 0
		.amdhsa_user_sgpr_private_segment_size 0
		.amdhsa_wavefront_size32 1
		.amdhsa_uses_dynamic_stack 0
		.amdhsa_enable_private_segment 0
		.amdhsa_system_sgpr_workgroup_id_x 1
		.amdhsa_system_sgpr_workgroup_id_y 0
		.amdhsa_system_sgpr_workgroup_id_z 0
		.amdhsa_system_sgpr_workgroup_info 0
		.amdhsa_system_vgpr_workitem_id 0
		.amdhsa_next_free_vgpr 1
		.amdhsa_next_free_sgpr 1
		.amdhsa_named_barrier_count 0
		.amdhsa_reserve_vcc 0
		.amdhsa_float_round_mode_32 0
		.amdhsa_float_round_mode_16_64 0
		.amdhsa_float_denorm_mode_32 3
		.amdhsa_float_denorm_mode_16_64 3
		.amdhsa_fp16_overflow 0
		.amdhsa_memory_ordered 1
		.amdhsa_forward_progress 1
		.amdhsa_inst_pref_size 0
		.amdhsa_round_robin_scheduling 0
		.amdhsa_exception_fp_ieee_invalid_op 0
		.amdhsa_exception_fp_denorm_src 0
		.amdhsa_exception_fp_ieee_div_zero 0
		.amdhsa_exception_fp_ieee_overflow 0
		.amdhsa_exception_fp_ieee_underflow 0
		.amdhsa_exception_fp_ieee_inexact 0
		.amdhsa_exception_int_div_zero 0
	.end_amdhsa_kernel
	.section	.text._ZN7rocprim17ROCPRIM_400000_NS6detail17trampoline_kernelINS0_14default_configENS1_21merge_config_selectorINS0_5tupleIJssEEENS0_10empty_typeEEEZNS1_10merge_implIS3_NS0_12zip_iteratorINS5_IJN6thrust23THRUST_200600_302600_NS6detail15normal_iteratorINSC_10device_ptrIKsEEEESI_EEEEESK_NSA_INS5_IJNSE_INSF_IsEEEESM_EEEEEPS7_SP_SP_NSC_11hip_rocprim7__merge17predicate_wrapperIssNSC_4lessIsEEEEEE10hipError_tPvRmT0_T1_T2_T3_T4_T5_mmT6_P12ihipStream_tbEUlT_E0_NS1_11comp_targetILNS1_3genE10ELNS1_11target_archE1201ELNS1_3gpuE5ELNS1_3repE0EEENS1_30default_config_static_selectorELNS0_4arch9wavefront6targetE0EEEvS10_,"axG",@progbits,_ZN7rocprim17ROCPRIM_400000_NS6detail17trampoline_kernelINS0_14default_configENS1_21merge_config_selectorINS0_5tupleIJssEEENS0_10empty_typeEEEZNS1_10merge_implIS3_NS0_12zip_iteratorINS5_IJN6thrust23THRUST_200600_302600_NS6detail15normal_iteratorINSC_10device_ptrIKsEEEESI_EEEEESK_NSA_INS5_IJNSE_INSF_IsEEEESM_EEEEEPS7_SP_SP_NSC_11hip_rocprim7__merge17predicate_wrapperIssNSC_4lessIsEEEEEE10hipError_tPvRmT0_T1_T2_T3_T4_T5_mmT6_P12ihipStream_tbEUlT_E0_NS1_11comp_targetILNS1_3genE10ELNS1_11target_archE1201ELNS1_3gpuE5ELNS1_3repE0EEENS1_30default_config_static_selectorELNS0_4arch9wavefront6targetE0EEEvS10_,comdat
.Lfunc_end294:
	.size	_ZN7rocprim17ROCPRIM_400000_NS6detail17trampoline_kernelINS0_14default_configENS1_21merge_config_selectorINS0_5tupleIJssEEENS0_10empty_typeEEEZNS1_10merge_implIS3_NS0_12zip_iteratorINS5_IJN6thrust23THRUST_200600_302600_NS6detail15normal_iteratorINSC_10device_ptrIKsEEEESI_EEEEESK_NSA_INS5_IJNSE_INSF_IsEEEESM_EEEEEPS7_SP_SP_NSC_11hip_rocprim7__merge17predicate_wrapperIssNSC_4lessIsEEEEEE10hipError_tPvRmT0_T1_T2_T3_T4_T5_mmT6_P12ihipStream_tbEUlT_E0_NS1_11comp_targetILNS1_3genE10ELNS1_11target_archE1201ELNS1_3gpuE5ELNS1_3repE0EEENS1_30default_config_static_selectorELNS0_4arch9wavefront6targetE0EEEvS10_, .Lfunc_end294-_ZN7rocprim17ROCPRIM_400000_NS6detail17trampoline_kernelINS0_14default_configENS1_21merge_config_selectorINS0_5tupleIJssEEENS0_10empty_typeEEEZNS1_10merge_implIS3_NS0_12zip_iteratorINS5_IJN6thrust23THRUST_200600_302600_NS6detail15normal_iteratorINSC_10device_ptrIKsEEEESI_EEEEESK_NSA_INS5_IJNSE_INSF_IsEEEESM_EEEEEPS7_SP_SP_NSC_11hip_rocprim7__merge17predicate_wrapperIssNSC_4lessIsEEEEEE10hipError_tPvRmT0_T1_T2_T3_T4_T5_mmT6_P12ihipStream_tbEUlT_E0_NS1_11comp_targetILNS1_3genE10ELNS1_11target_archE1201ELNS1_3gpuE5ELNS1_3repE0EEENS1_30default_config_static_selectorELNS0_4arch9wavefront6targetE0EEEvS10_
                                        ; -- End function
	.set _ZN7rocprim17ROCPRIM_400000_NS6detail17trampoline_kernelINS0_14default_configENS1_21merge_config_selectorINS0_5tupleIJssEEENS0_10empty_typeEEEZNS1_10merge_implIS3_NS0_12zip_iteratorINS5_IJN6thrust23THRUST_200600_302600_NS6detail15normal_iteratorINSC_10device_ptrIKsEEEESI_EEEEESK_NSA_INS5_IJNSE_INSF_IsEEEESM_EEEEEPS7_SP_SP_NSC_11hip_rocprim7__merge17predicate_wrapperIssNSC_4lessIsEEEEEE10hipError_tPvRmT0_T1_T2_T3_T4_T5_mmT6_P12ihipStream_tbEUlT_E0_NS1_11comp_targetILNS1_3genE10ELNS1_11target_archE1201ELNS1_3gpuE5ELNS1_3repE0EEENS1_30default_config_static_selectorELNS0_4arch9wavefront6targetE0EEEvS10_.num_vgpr, 0
	.set _ZN7rocprim17ROCPRIM_400000_NS6detail17trampoline_kernelINS0_14default_configENS1_21merge_config_selectorINS0_5tupleIJssEEENS0_10empty_typeEEEZNS1_10merge_implIS3_NS0_12zip_iteratorINS5_IJN6thrust23THRUST_200600_302600_NS6detail15normal_iteratorINSC_10device_ptrIKsEEEESI_EEEEESK_NSA_INS5_IJNSE_INSF_IsEEEESM_EEEEEPS7_SP_SP_NSC_11hip_rocprim7__merge17predicate_wrapperIssNSC_4lessIsEEEEEE10hipError_tPvRmT0_T1_T2_T3_T4_T5_mmT6_P12ihipStream_tbEUlT_E0_NS1_11comp_targetILNS1_3genE10ELNS1_11target_archE1201ELNS1_3gpuE5ELNS1_3repE0EEENS1_30default_config_static_selectorELNS0_4arch9wavefront6targetE0EEEvS10_.num_agpr, 0
	.set _ZN7rocprim17ROCPRIM_400000_NS6detail17trampoline_kernelINS0_14default_configENS1_21merge_config_selectorINS0_5tupleIJssEEENS0_10empty_typeEEEZNS1_10merge_implIS3_NS0_12zip_iteratorINS5_IJN6thrust23THRUST_200600_302600_NS6detail15normal_iteratorINSC_10device_ptrIKsEEEESI_EEEEESK_NSA_INS5_IJNSE_INSF_IsEEEESM_EEEEEPS7_SP_SP_NSC_11hip_rocprim7__merge17predicate_wrapperIssNSC_4lessIsEEEEEE10hipError_tPvRmT0_T1_T2_T3_T4_T5_mmT6_P12ihipStream_tbEUlT_E0_NS1_11comp_targetILNS1_3genE10ELNS1_11target_archE1201ELNS1_3gpuE5ELNS1_3repE0EEENS1_30default_config_static_selectorELNS0_4arch9wavefront6targetE0EEEvS10_.numbered_sgpr, 0
	.set _ZN7rocprim17ROCPRIM_400000_NS6detail17trampoline_kernelINS0_14default_configENS1_21merge_config_selectorINS0_5tupleIJssEEENS0_10empty_typeEEEZNS1_10merge_implIS3_NS0_12zip_iteratorINS5_IJN6thrust23THRUST_200600_302600_NS6detail15normal_iteratorINSC_10device_ptrIKsEEEESI_EEEEESK_NSA_INS5_IJNSE_INSF_IsEEEESM_EEEEEPS7_SP_SP_NSC_11hip_rocprim7__merge17predicate_wrapperIssNSC_4lessIsEEEEEE10hipError_tPvRmT0_T1_T2_T3_T4_T5_mmT6_P12ihipStream_tbEUlT_E0_NS1_11comp_targetILNS1_3genE10ELNS1_11target_archE1201ELNS1_3gpuE5ELNS1_3repE0EEENS1_30default_config_static_selectorELNS0_4arch9wavefront6targetE0EEEvS10_.num_named_barrier, 0
	.set _ZN7rocprim17ROCPRIM_400000_NS6detail17trampoline_kernelINS0_14default_configENS1_21merge_config_selectorINS0_5tupleIJssEEENS0_10empty_typeEEEZNS1_10merge_implIS3_NS0_12zip_iteratorINS5_IJN6thrust23THRUST_200600_302600_NS6detail15normal_iteratorINSC_10device_ptrIKsEEEESI_EEEEESK_NSA_INS5_IJNSE_INSF_IsEEEESM_EEEEEPS7_SP_SP_NSC_11hip_rocprim7__merge17predicate_wrapperIssNSC_4lessIsEEEEEE10hipError_tPvRmT0_T1_T2_T3_T4_T5_mmT6_P12ihipStream_tbEUlT_E0_NS1_11comp_targetILNS1_3genE10ELNS1_11target_archE1201ELNS1_3gpuE5ELNS1_3repE0EEENS1_30default_config_static_selectorELNS0_4arch9wavefront6targetE0EEEvS10_.private_seg_size, 0
	.set _ZN7rocprim17ROCPRIM_400000_NS6detail17trampoline_kernelINS0_14default_configENS1_21merge_config_selectorINS0_5tupleIJssEEENS0_10empty_typeEEEZNS1_10merge_implIS3_NS0_12zip_iteratorINS5_IJN6thrust23THRUST_200600_302600_NS6detail15normal_iteratorINSC_10device_ptrIKsEEEESI_EEEEESK_NSA_INS5_IJNSE_INSF_IsEEEESM_EEEEEPS7_SP_SP_NSC_11hip_rocprim7__merge17predicate_wrapperIssNSC_4lessIsEEEEEE10hipError_tPvRmT0_T1_T2_T3_T4_T5_mmT6_P12ihipStream_tbEUlT_E0_NS1_11comp_targetILNS1_3genE10ELNS1_11target_archE1201ELNS1_3gpuE5ELNS1_3repE0EEENS1_30default_config_static_selectorELNS0_4arch9wavefront6targetE0EEEvS10_.uses_vcc, 0
	.set _ZN7rocprim17ROCPRIM_400000_NS6detail17trampoline_kernelINS0_14default_configENS1_21merge_config_selectorINS0_5tupleIJssEEENS0_10empty_typeEEEZNS1_10merge_implIS3_NS0_12zip_iteratorINS5_IJN6thrust23THRUST_200600_302600_NS6detail15normal_iteratorINSC_10device_ptrIKsEEEESI_EEEEESK_NSA_INS5_IJNSE_INSF_IsEEEESM_EEEEEPS7_SP_SP_NSC_11hip_rocprim7__merge17predicate_wrapperIssNSC_4lessIsEEEEEE10hipError_tPvRmT0_T1_T2_T3_T4_T5_mmT6_P12ihipStream_tbEUlT_E0_NS1_11comp_targetILNS1_3genE10ELNS1_11target_archE1201ELNS1_3gpuE5ELNS1_3repE0EEENS1_30default_config_static_selectorELNS0_4arch9wavefront6targetE0EEEvS10_.uses_flat_scratch, 0
	.set _ZN7rocprim17ROCPRIM_400000_NS6detail17trampoline_kernelINS0_14default_configENS1_21merge_config_selectorINS0_5tupleIJssEEENS0_10empty_typeEEEZNS1_10merge_implIS3_NS0_12zip_iteratorINS5_IJN6thrust23THRUST_200600_302600_NS6detail15normal_iteratorINSC_10device_ptrIKsEEEESI_EEEEESK_NSA_INS5_IJNSE_INSF_IsEEEESM_EEEEEPS7_SP_SP_NSC_11hip_rocprim7__merge17predicate_wrapperIssNSC_4lessIsEEEEEE10hipError_tPvRmT0_T1_T2_T3_T4_T5_mmT6_P12ihipStream_tbEUlT_E0_NS1_11comp_targetILNS1_3genE10ELNS1_11target_archE1201ELNS1_3gpuE5ELNS1_3repE0EEENS1_30default_config_static_selectorELNS0_4arch9wavefront6targetE0EEEvS10_.has_dyn_sized_stack, 0
	.set _ZN7rocprim17ROCPRIM_400000_NS6detail17trampoline_kernelINS0_14default_configENS1_21merge_config_selectorINS0_5tupleIJssEEENS0_10empty_typeEEEZNS1_10merge_implIS3_NS0_12zip_iteratorINS5_IJN6thrust23THRUST_200600_302600_NS6detail15normal_iteratorINSC_10device_ptrIKsEEEESI_EEEEESK_NSA_INS5_IJNSE_INSF_IsEEEESM_EEEEEPS7_SP_SP_NSC_11hip_rocprim7__merge17predicate_wrapperIssNSC_4lessIsEEEEEE10hipError_tPvRmT0_T1_T2_T3_T4_T5_mmT6_P12ihipStream_tbEUlT_E0_NS1_11comp_targetILNS1_3genE10ELNS1_11target_archE1201ELNS1_3gpuE5ELNS1_3repE0EEENS1_30default_config_static_selectorELNS0_4arch9wavefront6targetE0EEEvS10_.has_recursion, 0
	.set _ZN7rocprim17ROCPRIM_400000_NS6detail17trampoline_kernelINS0_14default_configENS1_21merge_config_selectorINS0_5tupleIJssEEENS0_10empty_typeEEEZNS1_10merge_implIS3_NS0_12zip_iteratorINS5_IJN6thrust23THRUST_200600_302600_NS6detail15normal_iteratorINSC_10device_ptrIKsEEEESI_EEEEESK_NSA_INS5_IJNSE_INSF_IsEEEESM_EEEEEPS7_SP_SP_NSC_11hip_rocprim7__merge17predicate_wrapperIssNSC_4lessIsEEEEEE10hipError_tPvRmT0_T1_T2_T3_T4_T5_mmT6_P12ihipStream_tbEUlT_E0_NS1_11comp_targetILNS1_3genE10ELNS1_11target_archE1201ELNS1_3gpuE5ELNS1_3repE0EEENS1_30default_config_static_selectorELNS0_4arch9wavefront6targetE0EEEvS10_.has_indirect_call, 0
	.section	.AMDGPU.csdata,"",@progbits
; Kernel info:
; codeLenInByte = 0
; TotalNumSgprs: 0
; NumVgprs: 0
; ScratchSize: 0
; MemoryBound: 0
; FloatMode: 240
; IeeeMode: 1
; LDSByteSize: 0 bytes/workgroup (compile time only)
; SGPRBlocks: 0
; VGPRBlocks: 0
; NumSGPRsForWavesPerEU: 1
; NumVGPRsForWavesPerEU: 1
; NamedBarCnt: 0
; Occupancy: 16
; WaveLimiterHint : 0
; COMPUTE_PGM_RSRC2:SCRATCH_EN: 0
; COMPUTE_PGM_RSRC2:USER_SGPR: 2
; COMPUTE_PGM_RSRC2:TRAP_HANDLER: 0
; COMPUTE_PGM_RSRC2:TGID_X_EN: 1
; COMPUTE_PGM_RSRC2:TGID_Y_EN: 0
; COMPUTE_PGM_RSRC2:TGID_Z_EN: 0
; COMPUTE_PGM_RSRC2:TIDIG_COMP_CNT: 0
	.section	.text._ZN7rocprim17ROCPRIM_400000_NS6detail17trampoline_kernelINS0_14default_configENS1_21merge_config_selectorINS0_5tupleIJssEEENS0_10empty_typeEEEZNS1_10merge_implIS3_NS0_12zip_iteratorINS5_IJN6thrust23THRUST_200600_302600_NS6detail15normal_iteratorINSC_10device_ptrIKsEEEESI_EEEEESK_NSA_INS5_IJNSE_INSF_IsEEEESM_EEEEEPS7_SP_SP_NSC_11hip_rocprim7__merge17predicate_wrapperIssNSC_4lessIsEEEEEE10hipError_tPvRmT0_T1_T2_T3_T4_T5_mmT6_P12ihipStream_tbEUlT_E0_NS1_11comp_targetILNS1_3genE10ELNS1_11target_archE1200ELNS1_3gpuE4ELNS1_3repE0EEENS1_30default_config_static_selectorELNS0_4arch9wavefront6targetE0EEEvS10_,"axG",@progbits,_ZN7rocprim17ROCPRIM_400000_NS6detail17trampoline_kernelINS0_14default_configENS1_21merge_config_selectorINS0_5tupleIJssEEENS0_10empty_typeEEEZNS1_10merge_implIS3_NS0_12zip_iteratorINS5_IJN6thrust23THRUST_200600_302600_NS6detail15normal_iteratorINSC_10device_ptrIKsEEEESI_EEEEESK_NSA_INS5_IJNSE_INSF_IsEEEESM_EEEEEPS7_SP_SP_NSC_11hip_rocprim7__merge17predicate_wrapperIssNSC_4lessIsEEEEEE10hipError_tPvRmT0_T1_T2_T3_T4_T5_mmT6_P12ihipStream_tbEUlT_E0_NS1_11comp_targetILNS1_3genE10ELNS1_11target_archE1200ELNS1_3gpuE4ELNS1_3repE0EEENS1_30default_config_static_selectorELNS0_4arch9wavefront6targetE0EEEvS10_,comdat
	.protected	_ZN7rocprim17ROCPRIM_400000_NS6detail17trampoline_kernelINS0_14default_configENS1_21merge_config_selectorINS0_5tupleIJssEEENS0_10empty_typeEEEZNS1_10merge_implIS3_NS0_12zip_iteratorINS5_IJN6thrust23THRUST_200600_302600_NS6detail15normal_iteratorINSC_10device_ptrIKsEEEESI_EEEEESK_NSA_INS5_IJNSE_INSF_IsEEEESM_EEEEEPS7_SP_SP_NSC_11hip_rocprim7__merge17predicate_wrapperIssNSC_4lessIsEEEEEE10hipError_tPvRmT0_T1_T2_T3_T4_T5_mmT6_P12ihipStream_tbEUlT_E0_NS1_11comp_targetILNS1_3genE10ELNS1_11target_archE1200ELNS1_3gpuE4ELNS1_3repE0EEENS1_30default_config_static_selectorELNS0_4arch9wavefront6targetE0EEEvS10_ ; -- Begin function _ZN7rocprim17ROCPRIM_400000_NS6detail17trampoline_kernelINS0_14default_configENS1_21merge_config_selectorINS0_5tupleIJssEEENS0_10empty_typeEEEZNS1_10merge_implIS3_NS0_12zip_iteratorINS5_IJN6thrust23THRUST_200600_302600_NS6detail15normal_iteratorINSC_10device_ptrIKsEEEESI_EEEEESK_NSA_INS5_IJNSE_INSF_IsEEEESM_EEEEEPS7_SP_SP_NSC_11hip_rocprim7__merge17predicate_wrapperIssNSC_4lessIsEEEEEE10hipError_tPvRmT0_T1_T2_T3_T4_T5_mmT6_P12ihipStream_tbEUlT_E0_NS1_11comp_targetILNS1_3genE10ELNS1_11target_archE1200ELNS1_3gpuE4ELNS1_3repE0EEENS1_30default_config_static_selectorELNS0_4arch9wavefront6targetE0EEEvS10_
	.globl	_ZN7rocprim17ROCPRIM_400000_NS6detail17trampoline_kernelINS0_14default_configENS1_21merge_config_selectorINS0_5tupleIJssEEENS0_10empty_typeEEEZNS1_10merge_implIS3_NS0_12zip_iteratorINS5_IJN6thrust23THRUST_200600_302600_NS6detail15normal_iteratorINSC_10device_ptrIKsEEEESI_EEEEESK_NSA_INS5_IJNSE_INSF_IsEEEESM_EEEEEPS7_SP_SP_NSC_11hip_rocprim7__merge17predicate_wrapperIssNSC_4lessIsEEEEEE10hipError_tPvRmT0_T1_T2_T3_T4_T5_mmT6_P12ihipStream_tbEUlT_E0_NS1_11comp_targetILNS1_3genE10ELNS1_11target_archE1200ELNS1_3gpuE4ELNS1_3repE0EEENS1_30default_config_static_selectorELNS0_4arch9wavefront6targetE0EEEvS10_
	.p2align	8
	.type	_ZN7rocprim17ROCPRIM_400000_NS6detail17trampoline_kernelINS0_14default_configENS1_21merge_config_selectorINS0_5tupleIJssEEENS0_10empty_typeEEEZNS1_10merge_implIS3_NS0_12zip_iteratorINS5_IJN6thrust23THRUST_200600_302600_NS6detail15normal_iteratorINSC_10device_ptrIKsEEEESI_EEEEESK_NSA_INS5_IJNSE_INSF_IsEEEESM_EEEEEPS7_SP_SP_NSC_11hip_rocprim7__merge17predicate_wrapperIssNSC_4lessIsEEEEEE10hipError_tPvRmT0_T1_T2_T3_T4_T5_mmT6_P12ihipStream_tbEUlT_E0_NS1_11comp_targetILNS1_3genE10ELNS1_11target_archE1200ELNS1_3gpuE4ELNS1_3repE0EEENS1_30default_config_static_selectorELNS0_4arch9wavefront6targetE0EEEvS10_,@function
_ZN7rocprim17ROCPRIM_400000_NS6detail17trampoline_kernelINS0_14default_configENS1_21merge_config_selectorINS0_5tupleIJssEEENS0_10empty_typeEEEZNS1_10merge_implIS3_NS0_12zip_iteratorINS5_IJN6thrust23THRUST_200600_302600_NS6detail15normal_iteratorINSC_10device_ptrIKsEEEESI_EEEEESK_NSA_INS5_IJNSE_INSF_IsEEEESM_EEEEEPS7_SP_SP_NSC_11hip_rocprim7__merge17predicate_wrapperIssNSC_4lessIsEEEEEE10hipError_tPvRmT0_T1_T2_T3_T4_T5_mmT6_P12ihipStream_tbEUlT_E0_NS1_11comp_targetILNS1_3genE10ELNS1_11target_archE1200ELNS1_3gpuE4ELNS1_3repE0EEENS1_30default_config_static_selectorELNS0_4arch9wavefront6targetE0EEEvS10_: ; @_ZN7rocprim17ROCPRIM_400000_NS6detail17trampoline_kernelINS0_14default_configENS1_21merge_config_selectorINS0_5tupleIJssEEENS0_10empty_typeEEEZNS1_10merge_implIS3_NS0_12zip_iteratorINS5_IJN6thrust23THRUST_200600_302600_NS6detail15normal_iteratorINSC_10device_ptrIKsEEEESI_EEEEESK_NSA_INS5_IJNSE_INSF_IsEEEESM_EEEEEPS7_SP_SP_NSC_11hip_rocprim7__merge17predicate_wrapperIssNSC_4lessIsEEEEEE10hipError_tPvRmT0_T1_T2_T3_T4_T5_mmT6_P12ihipStream_tbEUlT_E0_NS1_11comp_targetILNS1_3genE10ELNS1_11target_archE1200ELNS1_3gpuE4ELNS1_3repE0EEENS1_30default_config_static_selectorELNS0_4arch9wavefront6targetE0EEEvS10_
; %bb.0:
	.section	.rodata,"a",@progbits
	.p2align	6, 0x0
	.amdhsa_kernel _ZN7rocprim17ROCPRIM_400000_NS6detail17trampoline_kernelINS0_14default_configENS1_21merge_config_selectorINS0_5tupleIJssEEENS0_10empty_typeEEEZNS1_10merge_implIS3_NS0_12zip_iteratorINS5_IJN6thrust23THRUST_200600_302600_NS6detail15normal_iteratorINSC_10device_ptrIKsEEEESI_EEEEESK_NSA_INS5_IJNSE_INSF_IsEEEESM_EEEEEPS7_SP_SP_NSC_11hip_rocprim7__merge17predicate_wrapperIssNSC_4lessIsEEEEEE10hipError_tPvRmT0_T1_T2_T3_T4_T5_mmT6_P12ihipStream_tbEUlT_E0_NS1_11comp_targetILNS1_3genE10ELNS1_11target_archE1200ELNS1_3gpuE4ELNS1_3repE0EEENS1_30default_config_static_selectorELNS0_4arch9wavefront6targetE0EEEvS10_
		.amdhsa_group_segment_fixed_size 0
		.amdhsa_private_segment_fixed_size 0
		.amdhsa_kernarg_size 112
		.amdhsa_user_sgpr_count 2
		.amdhsa_user_sgpr_dispatch_ptr 0
		.amdhsa_user_sgpr_queue_ptr 0
		.amdhsa_user_sgpr_kernarg_segment_ptr 1
		.amdhsa_user_sgpr_dispatch_id 0
		.amdhsa_user_sgpr_kernarg_preload_length 0
		.amdhsa_user_sgpr_kernarg_preload_offset 0
		.amdhsa_user_sgpr_private_segment_size 0
		.amdhsa_wavefront_size32 1
		.amdhsa_uses_dynamic_stack 0
		.amdhsa_enable_private_segment 0
		.amdhsa_system_sgpr_workgroup_id_x 1
		.amdhsa_system_sgpr_workgroup_id_y 0
		.amdhsa_system_sgpr_workgroup_id_z 0
		.amdhsa_system_sgpr_workgroup_info 0
		.amdhsa_system_vgpr_workitem_id 0
		.amdhsa_next_free_vgpr 1
		.amdhsa_next_free_sgpr 1
		.amdhsa_named_barrier_count 0
		.amdhsa_reserve_vcc 0
		.amdhsa_float_round_mode_32 0
		.amdhsa_float_round_mode_16_64 0
		.amdhsa_float_denorm_mode_32 3
		.amdhsa_float_denorm_mode_16_64 3
		.amdhsa_fp16_overflow 0
		.amdhsa_memory_ordered 1
		.amdhsa_forward_progress 1
		.amdhsa_inst_pref_size 0
		.amdhsa_round_robin_scheduling 0
		.amdhsa_exception_fp_ieee_invalid_op 0
		.amdhsa_exception_fp_denorm_src 0
		.amdhsa_exception_fp_ieee_div_zero 0
		.amdhsa_exception_fp_ieee_overflow 0
		.amdhsa_exception_fp_ieee_underflow 0
		.amdhsa_exception_fp_ieee_inexact 0
		.amdhsa_exception_int_div_zero 0
	.end_amdhsa_kernel
	.section	.text._ZN7rocprim17ROCPRIM_400000_NS6detail17trampoline_kernelINS0_14default_configENS1_21merge_config_selectorINS0_5tupleIJssEEENS0_10empty_typeEEEZNS1_10merge_implIS3_NS0_12zip_iteratorINS5_IJN6thrust23THRUST_200600_302600_NS6detail15normal_iteratorINSC_10device_ptrIKsEEEESI_EEEEESK_NSA_INS5_IJNSE_INSF_IsEEEESM_EEEEEPS7_SP_SP_NSC_11hip_rocprim7__merge17predicate_wrapperIssNSC_4lessIsEEEEEE10hipError_tPvRmT0_T1_T2_T3_T4_T5_mmT6_P12ihipStream_tbEUlT_E0_NS1_11comp_targetILNS1_3genE10ELNS1_11target_archE1200ELNS1_3gpuE4ELNS1_3repE0EEENS1_30default_config_static_selectorELNS0_4arch9wavefront6targetE0EEEvS10_,"axG",@progbits,_ZN7rocprim17ROCPRIM_400000_NS6detail17trampoline_kernelINS0_14default_configENS1_21merge_config_selectorINS0_5tupleIJssEEENS0_10empty_typeEEEZNS1_10merge_implIS3_NS0_12zip_iteratorINS5_IJN6thrust23THRUST_200600_302600_NS6detail15normal_iteratorINSC_10device_ptrIKsEEEESI_EEEEESK_NSA_INS5_IJNSE_INSF_IsEEEESM_EEEEEPS7_SP_SP_NSC_11hip_rocprim7__merge17predicate_wrapperIssNSC_4lessIsEEEEEE10hipError_tPvRmT0_T1_T2_T3_T4_T5_mmT6_P12ihipStream_tbEUlT_E0_NS1_11comp_targetILNS1_3genE10ELNS1_11target_archE1200ELNS1_3gpuE4ELNS1_3repE0EEENS1_30default_config_static_selectorELNS0_4arch9wavefront6targetE0EEEvS10_,comdat
.Lfunc_end295:
	.size	_ZN7rocprim17ROCPRIM_400000_NS6detail17trampoline_kernelINS0_14default_configENS1_21merge_config_selectorINS0_5tupleIJssEEENS0_10empty_typeEEEZNS1_10merge_implIS3_NS0_12zip_iteratorINS5_IJN6thrust23THRUST_200600_302600_NS6detail15normal_iteratorINSC_10device_ptrIKsEEEESI_EEEEESK_NSA_INS5_IJNSE_INSF_IsEEEESM_EEEEEPS7_SP_SP_NSC_11hip_rocprim7__merge17predicate_wrapperIssNSC_4lessIsEEEEEE10hipError_tPvRmT0_T1_T2_T3_T4_T5_mmT6_P12ihipStream_tbEUlT_E0_NS1_11comp_targetILNS1_3genE10ELNS1_11target_archE1200ELNS1_3gpuE4ELNS1_3repE0EEENS1_30default_config_static_selectorELNS0_4arch9wavefront6targetE0EEEvS10_, .Lfunc_end295-_ZN7rocprim17ROCPRIM_400000_NS6detail17trampoline_kernelINS0_14default_configENS1_21merge_config_selectorINS0_5tupleIJssEEENS0_10empty_typeEEEZNS1_10merge_implIS3_NS0_12zip_iteratorINS5_IJN6thrust23THRUST_200600_302600_NS6detail15normal_iteratorINSC_10device_ptrIKsEEEESI_EEEEESK_NSA_INS5_IJNSE_INSF_IsEEEESM_EEEEEPS7_SP_SP_NSC_11hip_rocprim7__merge17predicate_wrapperIssNSC_4lessIsEEEEEE10hipError_tPvRmT0_T1_T2_T3_T4_T5_mmT6_P12ihipStream_tbEUlT_E0_NS1_11comp_targetILNS1_3genE10ELNS1_11target_archE1200ELNS1_3gpuE4ELNS1_3repE0EEENS1_30default_config_static_selectorELNS0_4arch9wavefront6targetE0EEEvS10_
                                        ; -- End function
	.set _ZN7rocprim17ROCPRIM_400000_NS6detail17trampoline_kernelINS0_14default_configENS1_21merge_config_selectorINS0_5tupleIJssEEENS0_10empty_typeEEEZNS1_10merge_implIS3_NS0_12zip_iteratorINS5_IJN6thrust23THRUST_200600_302600_NS6detail15normal_iteratorINSC_10device_ptrIKsEEEESI_EEEEESK_NSA_INS5_IJNSE_INSF_IsEEEESM_EEEEEPS7_SP_SP_NSC_11hip_rocprim7__merge17predicate_wrapperIssNSC_4lessIsEEEEEE10hipError_tPvRmT0_T1_T2_T3_T4_T5_mmT6_P12ihipStream_tbEUlT_E0_NS1_11comp_targetILNS1_3genE10ELNS1_11target_archE1200ELNS1_3gpuE4ELNS1_3repE0EEENS1_30default_config_static_selectorELNS0_4arch9wavefront6targetE0EEEvS10_.num_vgpr, 0
	.set _ZN7rocprim17ROCPRIM_400000_NS6detail17trampoline_kernelINS0_14default_configENS1_21merge_config_selectorINS0_5tupleIJssEEENS0_10empty_typeEEEZNS1_10merge_implIS3_NS0_12zip_iteratorINS5_IJN6thrust23THRUST_200600_302600_NS6detail15normal_iteratorINSC_10device_ptrIKsEEEESI_EEEEESK_NSA_INS5_IJNSE_INSF_IsEEEESM_EEEEEPS7_SP_SP_NSC_11hip_rocprim7__merge17predicate_wrapperIssNSC_4lessIsEEEEEE10hipError_tPvRmT0_T1_T2_T3_T4_T5_mmT6_P12ihipStream_tbEUlT_E0_NS1_11comp_targetILNS1_3genE10ELNS1_11target_archE1200ELNS1_3gpuE4ELNS1_3repE0EEENS1_30default_config_static_selectorELNS0_4arch9wavefront6targetE0EEEvS10_.num_agpr, 0
	.set _ZN7rocprim17ROCPRIM_400000_NS6detail17trampoline_kernelINS0_14default_configENS1_21merge_config_selectorINS0_5tupleIJssEEENS0_10empty_typeEEEZNS1_10merge_implIS3_NS0_12zip_iteratorINS5_IJN6thrust23THRUST_200600_302600_NS6detail15normal_iteratorINSC_10device_ptrIKsEEEESI_EEEEESK_NSA_INS5_IJNSE_INSF_IsEEEESM_EEEEEPS7_SP_SP_NSC_11hip_rocprim7__merge17predicate_wrapperIssNSC_4lessIsEEEEEE10hipError_tPvRmT0_T1_T2_T3_T4_T5_mmT6_P12ihipStream_tbEUlT_E0_NS1_11comp_targetILNS1_3genE10ELNS1_11target_archE1200ELNS1_3gpuE4ELNS1_3repE0EEENS1_30default_config_static_selectorELNS0_4arch9wavefront6targetE0EEEvS10_.numbered_sgpr, 0
	.set _ZN7rocprim17ROCPRIM_400000_NS6detail17trampoline_kernelINS0_14default_configENS1_21merge_config_selectorINS0_5tupleIJssEEENS0_10empty_typeEEEZNS1_10merge_implIS3_NS0_12zip_iteratorINS5_IJN6thrust23THRUST_200600_302600_NS6detail15normal_iteratorINSC_10device_ptrIKsEEEESI_EEEEESK_NSA_INS5_IJNSE_INSF_IsEEEESM_EEEEEPS7_SP_SP_NSC_11hip_rocprim7__merge17predicate_wrapperIssNSC_4lessIsEEEEEE10hipError_tPvRmT0_T1_T2_T3_T4_T5_mmT6_P12ihipStream_tbEUlT_E0_NS1_11comp_targetILNS1_3genE10ELNS1_11target_archE1200ELNS1_3gpuE4ELNS1_3repE0EEENS1_30default_config_static_selectorELNS0_4arch9wavefront6targetE0EEEvS10_.num_named_barrier, 0
	.set _ZN7rocprim17ROCPRIM_400000_NS6detail17trampoline_kernelINS0_14default_configENS1_21merge_config_selectorINS0_5tupleIJssEEENS0_10empty_typeEEEZNS1_10merge_implIS3_NS0_12zip_iteratorINS5_IJN6thrust23THRUST_200600_302600_NS6detail15normal_iteratorINSC_10device_ptrIKsEEEESI_EEEEESK_NSA_INS5_IJNSE_INSF_IsEEEESM_EEEEEPS7_SP_SP_NSC_11hip_rocprim7__merge17predicate_wrapperIssNSC_4lessIsEEEEEE10hipError_tPvRmT0_T1_T2_T3_T4_T5_mmT6_P12ihipStream_tbEUlT_E0_NS1_11comp_targetILNS1_3genE10ELNS1_11target_archE1200ELNS1_3gpuE4ELNS1_3repE0EEENS1_30default_config_static_selectorELNS0_4arch9wavefront6targetE0EEEvS10_.private_seg_size, 0
	.set _ZN7rocprim17ROCPRIM_400000_NS6detail17trampoline_kernelINS0_14default_configENS1_21merge_config_selectorINS0_5tupleIJssEEENS0_10empty_typeEEEZNS1_10merge_implIS3_NS0_12zip_iteratorINS5_IJN6thrust23THRUST_200600_302600_NS6detail15normal_iteratorINSC_10device_ptrIKsEEEESI_EEEEESK_NSA_INS5_IJNSE_INSF_IsEEEESM_EEEEEPS7_SP_SP_NSC_11hip_rocprim7__merge17predicate_wrapperIssNSC_4lessIsEEEEEE10hipError_tPvRmT0_T1_T2_T3_T4_T5_mmT6_P12ihipStream_tbEUlT_E0_NS1_11comp_targetILNS1_3genE10ELNS1_11target_archE1200ELNS1_3gpuE4ELNS1_3repE0EEENS1_30default_config_static_selectorELNS0_4arch9wavefront6targetE0EEEvS10_.uses_vcc, 0
	.set _ZN7rocprim17ROCPRIM_400000_NS6detail17trampoline_kernelINS0_14default_configENS1_21merge_config_selectorINS0_5tupleIJssEEENS0_10empty_typeEEEZNS1_10merge_implIS3_NS0_12zip_iteratorINS5_IJN6thrust23THRUST_200600_302600_NS6detail15normal_iteratorINSC_10device_ptrIKsEEEESI_EEEEESK_NSA_INS5_IJNSE_INSF_IsEEEESM_EEEEEPS7_SP_SP_NSC_11hip_rocprim7__merge17predicate_wrapperIssNSC_4lessIsEEEEEE10hipError_tPvRmT0_T1_T2_T3_T4_T5_mmT6_P12ihipStream_tbEUlT_E0_NS1_11comp_targetILNS1_3genE10ELNS1_11target_archE1200ELNS1_3gpuE4ELNS1_3repE0EEENS1_30default_config_static_selectorELNS0_4arch9wavefront6targetE0EEEvS10_.uses_flat_scratch, 0
	.set _ZN7rocprim17ROCPRIM_400000_NS6detail17trampoline_kernelINS0_14default_configENS1_21merge_config_selectorINS0_5tupleIJssEEENS0_10empty_typeEEEZNS1_10merge_implIS3_NS0_12zip_iteratorINS5_IJN6thrust23THRUST_200600_302600_NS6detail15normal_iteratorINSC_10device_ptrIKsEEEESI_EEEEESK_NSA_INS5_IJNSE_INSF_IsEEEESM_EEEEEPS7_SP_SP_NSC_11hip_rocprim7__merge17predicate_wrapperIssNSC_4lessIsEEEEEE10hipError_tPvRmT0_T1_T2_T3_T4_T5_mmT6_P12ihipStream_tbEUlT_E0_NS1_11comp_targetILNS1_3genE10ELNS1_11target_archE1200ELNS1_3gpuE4ELNS1_3repE0EEENS1_30default_config_static_selectorELNS0_4arch9wavefront6targetE0EEEvS10_.has_dyn_sized_stack, 0
	.set _ZN7rocprim17ROCPRIM_400000_NS6detail17trampoline_kernelINS0_14default_configENS1_21merge_config_selectorINS0_5tupleIJssEEENS0_10empty_typeEEEZNS1_10merge_implIS3_NS0_12zip_iteratorINS5_IJN6thrust23THRUST_200600_302600_NS6detail15normal_iteratorINSC_10device_ptrIKsEEEESI_EEEEESK_NSA_INS5_IJNSE_INSF_IsEEEESM_EEEEEPS7_SP_SP_NSC_11hip_rocprim7__merge17predicate_wrapperIssNSC_4lessIsEEEEEE10hipError_tPvRmT0_T1_T2_T3_T4_T5_mmT6_P12ihipStream_tbEUlT_E0_NS1_11comp_targetILNS1_3genE10ELNS1_11target_archE1200ELNS1_3gpuE4ELNS1_3repE0EEENS1_30default_config_static_selectorELNS0_4arch9wavefront6targetE0EEEvS10_.has_recursion, 0
	.set _ZN7rocprim17ROCPRIM_400000_NS6detail17trampoline_kernelINS0_14default_configENS1_21merge_config_selectorINS0_5tupleIJssEEENS0_10empty_typeEEEZNS1_10merge_implIS3_NS0_12zip_iteratorINS5_IJN6thrust23THRUST_200600_302600_NS6detail15normal_iteratorINSC_10device_ptrIKsEEEESI_EEEEESK_NSA_INS5_IJNSE_INSF_IsEEEESM_EEEEEPS7_SP_SP_NSC_11hip_rocprim7__merge17predicate_wrapperIssNSC_4lessIsEEEEEE10hipError_tPvRmT0_T1_T2_T3_T4_T5_mmT6_P12ihipStream_tbEUlT_E0_NS1_11comp_targetILNS1_3genE10ELNS1_11target_archE1200ELNS1_3gpuE4ELNS1_3repE0EEENS1_30default_config_static_selectorELNS0_4arch9wavefront6targetE0EEEvS10_.has_indirect_call, 0
	.section	.AMDGPU.csdata,"",@progbits
; Kernel info:
; codeLenInByte = 0
; TotalNumSgprs: 0
; NumVgprs: 0
; ScratchSize: 0
; MemoryBound: 0
; FloatMode: 240
; IeeeMode: 1
; LDSByteSize: 0 bytes/workgroup (compile time only)
; SGPRBlocks: 0
; VGPRBlocks: 0
; NumSGPRsForWavesPerEU: 1
; NumVGPRsForWavesPerEU: 1
; NamedBarCnt: 0
; Occupancy: 16
; WaveLimiterHint : 0
; COMPUTE_PGM_RSRC2:SCRATCH_EN: 0
; COMPUTE_PGM_RSRC2:USER_SGPR: 2
; COMPUTE_PGM_RSRC2:TRAP_HANDLER: 0
; COMPUTE_PGM_RSRC2:TGID_X_EN: 1
; COMPUTE_PGM_RSRC2:TGID_Y_EN: 0
; COMPUTE_PGM_RSRC2:TGID_Z_EN: 0
; COMPUTE_PGM_RSRC2:TIDIG_COMP_CNT: 0
	.section	.text._ZN7rocprim17ROCPRIM_400000_NS6detail17trampoline_kernelINS0_14default_configENS1_21merge_config_selectorINS0_5tupleIJssEEENS0_10empty_typeEEEZNS1_10merge_implIS3_NS0_12zip_iteratorINS5_IJN6thrust23THRUST_200600_302600_NS6detail15normal_iteratorINSC_10device_ptrIKsEEEESI_EEEEESK_NSA_INS5_IJNSE_INSF_IsEEEESM_EEEEEPS7_SP_SP_NSC_11hip_rocprim7__merge17predicate_wrapperIssNSC_4lessIsEEEEEE10hipError_tPvRmT0_T1_T2_T3_T4_T5_mmT6_P12ihipStream_tbEUlT_E0_NS1_11comp_targetILNS1_3genE9ELNS1_11target_archE1100ELNS1_3gpuE3ELNS1_3repE0EEENS1_30default_config_static_selectorELNS0_4arch9wavefront6targetE0EEEvS10_,"axG",@progbits,_ZN7rocprim17ROCPRIM_400000_NS6detail17trampoline_kernelINS0_14default_configENS1_21merge_config_selectorINS0_5tupleIJssEEENS0_10empty_typeEEEZNS1_10merge_implIS3_NS0_12zip_iteratorINS5_IJN6thrust23THRUST_200600_302600_NS6detail15normal_iteratorINSC_10device_ptrIKsEEEESI_EEEEESK_NSA_INS5_IJNSE_INSF_IsEEEESM_EEEEEPS7_SP_SP_NSC_11hip_rocprim7__merge17predicate_wrapperIssNSC_4lessIsEEEEEE10hipError_tPvRmT0_T1_T2_T3_T4_T5_mmT6_P12ihipStream_tbEUlT_E0_NS1_11comp_targetILNS1_3genE9ELNS1_11target_archE1100ELNS1_3gpuE3ELNS1_3repE0EEENS1_30default_config_static_selectorELNS0_4arch9wavefront6targetE0EEEvS10_,comdat
	.protected	_ZN7rocprim17ROCPRIM_400000_NS6detail17trampoline_kernelINS0_14default_configENS1_21merge_config_selectorINS0_5tupleIJssEEENS0_10empty_typeEEEZNS1_10merge_implIS3_NS0_12zip_iteratorINS5_IJN6thrust23THRUST_200600_302600_NS6detail15normal_iteratorINSC_10device_ptrIKsEEEESI_EEEEESK_NSA_INS5_IJNSE_INSF_IsEEEESM_EEEEEPS7_SP_SP_NSC_11hip_rocprim7__merge17predicate_wrapperIssNSC_4lessIsEEEEEE10hipError_tPvRmT0_T1_T2_T3_T4_T5_mmT6_P12ihipStream_tbEUlT_E0_NS1_11comp_targetILNS1_3genE9ELNS1_11target_archE1100ELNS1_3gpuE3ELNS1_3repE0EEENS1_30default_config_static_selectorELNS0_4arch9wavefront6targetE0EEEvS10_ ; -- Begin function _ZN7rocprim17ROCPRIM_400000_NS6detail17trampoline_kernelINS0_14default_configENS1_21merge_config_selectorINS0_5tupleIJssEEENS0_10empty_typeEEEZNS1_10merge_implIS3_NS0_12zip_iteratorINS5_IJN6thrust23THRUST_200600_302600_NS6detail15normal_iteratorINSC_10device_ptrIKsEEEESI_EEEEESK_NSA_INS5_IJNSE_INSF_IsEEEESM_EEEEEPS7_SP_SP_NSC_11hip_rocprim7__merge17predicate_wrapperIssNSC_4lessIsEEEEEE10hipError_tPvRmT0_T1_T2_T3_T4_T5_mmT6_P12ihipStream_tbEUlT_E0_NS1_11comp_targetILNS1_3genE9ELNS1_11target_archE1100ELNS1_3gpuE3ELNS1_3repE0EEENS1_30default_config_static_selectorELNS0_4arch9wavefront6targetE0EEEvS10_
	.globl	_ZN7rocprim17ROCPRIM_400000_NS6detail17trampoline_kernelINS0_14default_configENS1_21merge_config_selectorINS0_5tupleIJssEEENS0_10empty_typeEEEZNS1_10merge_implIS3_NS0_12zip_iteratorINS5_IJN6thrust23THRUST_200600_302600_NS6detail15normal_iteratorINSC_10device_ptrIKsEEEESI_EEEEESK_NSA_INS5_IJNSE_INSF_IsEEEESM_EEEEEPS7_SP_SP_NSC_11hip_rocprim7__merge17predicate_wrapperIssNSC_4lessIsEEEEEE10hipError_tPvRmT0_T1_T2_T3_T4_T5_mmT6_P12ihipStream_tbEUlT_E0_NS1_11comp_targetILNS1_3genE9ELNS1_11target_archE1100ELNS1_3gpuE3ELNS1_3repE0EEENS1_30default_config_static_selectorELNS0_4arch9wavefront6targetE0EEEvS10_
	.p2align	8
	.type	_ZN7rocprim17ROCPRIM_400000_NS6detail17trampoline_kernelINS0_14default_configENS1_21merge_config_selectorINS0_5tupleIJssEEENS0_10empty_typeEEEZNS1_10merge_implIS3_NS0_12zip_iteratorINS5_IJN6thrust23THRUST_200600_302600_NS6detail15normal_iteratorINSC_10device_ptrIKsEEEESI_EEEEESK_NSA_INS5_IJNSE_INSF_IsEEEESM_EEEEEPS7_SP_SP_NSC_11hip_rocprim7__merge17predicate_wrapperIssNSC_4lessIsEEEEEE10hipError_tPvRmT0_T1_T2_T3_T4_T5_mmT6_P12ihipStream_tbEUlT_E0_NS1_11comp_targetILNS1_3genE9ELNS1_11target_archE1100ELNS1_3gpuE3ELNS1_3repE0EEENS1_30default_config_static_selectorELNS0_4arch9wavefront6targetE0EEEvS10_,@function
_ZN7rocprim17ROCPRIM_400000_NS6detail17trampoline_kernelINS0_14default_configENS1_21merge_config_selectorINS0_5tupleIJssEEENS0_10empty_typeEEEZNS1_10merge_implIS3_NS0_12zip_iteratorINS5_IJN6thrust23THRUST_200600_302600_NS6detail15normal_iteratorINSC_10device_ptrIKsEEEESI_EEEEESK_NSA_INS5_IJNSE_INSF_IsEEEESM_EEEEEPS7_SP_SP_NSC_11hip_rocprim7__merge17predicate_wrapperIssNSC_4lessIsEEEEEE10hipError_tPvRmT0_T1_T2_T3_T4_T5_mmT6_P12ihipStream_tbEUlT_E0_NS1_11comp_targetILNS1_3genE9ELNS1_11target_archE1100ELNS1_3gpuE3ELNS1_3repE0EEENS1_30default_config_static_selectorELNS0_4arch9wavefront6targetE0EEEvS10_: ; @_ZN7rocprim17ROCPRIM_400000_NS6detail17trampoline_kernelINS0_14default_configENS1_21merge_config_selectorINS0_5tupleIJssEEENS0_10empty_typeEEEZNS1_10merge_implIS3_NS0_12zip_iteratorINS5_IJN6thrust23THRUST_200600_302600_NS6detail15normal_iteratorINSC_10device_ptrIKsEEEESI_EEEEESK_NSA_INS5_IJNSE_INSF_IsEEEESM_EEEEEPS7_SP_SP_NSC_11hip_rocprim7__merge17predicate_wrapperIssNSC_4lessIsEEEEEE10hipError_tPvRmT0_T1_T2_T3_T4_T5_mmT6_P12ihipStream_tbEUlT_E0_NS1_11comp_targetILNS1_3genE9ELNS1_11target_archE1100ELNS1_3gpuE3ELNS1_3repE0EEENS1_30default_config_static_selectorELNS0_4arch9wavefront6targetE0EEEvS10_
; %bb.0:
	.section	.rodata,"a",@progbits
	.p2align	6, 0x0
	.amdhsa_kernel _ZN7rocprim17ROCPRIM_400000_NS6detail17trampoline_kernelINS0_14default_configENS1_21merge_config_selectorINS0_5tupleIJssEEENS0_10empty_typeEEEZNS1_10merge_implIS3_NS0_12zip_iteratorINS5_IJN6thrust23THRUST_200600_302600_NS6detail15normal_iteratorINSC_10device_ptrIKsEEEESI_EEEEESK_NSA_INS5_IJNSE_INSF_IsEEEESM_EEEEEPS7_SP_SP_NSC_11hip_rocprim7__merge17predicate_wrapperIssNSC_4lessIsEEEEEE10hipError_tPvRmT0_T1_T2_T3_T4_T5_mmT6_P12ihipStream_tbEUlT_E0_NS1_11comp_targetILNS1_3genE9ELNS1_11target_archE1100ELNS1_3gpuE3ELNS1_3repE0EEENS1_30default_config_static_selectorELNS0_4arch9wavefront6targetE0EEEvS10_
		.amdhsa_group_segment_fixed_size 0
		.amdhsa_private_segment_fixed_size 0
		.amdhsa_kernarg_size 112
		.amdhsa_user_sgpr_count 2
		.amdhsa_user_sgpr_dispatch_ptr 0
		.amdhsa_user_sgpr_queue_ptr 0
		.amdhsa_user_sgpr_kernarg_segment_ptr 1
		.amdhsa_user_sgpr_dispatch_id 0
		.amdhsa_user_sgpr_kernarg_preload_length 0
		.amdhsa_user_sgpr_kernarg_preload_offset 0
		.amdhsa_user_sgpr_private_segment_size 0
		.amdhsa_wavefront_size32 1
		.amdhsa_uses_dynamic_stack 0
		.amdhsa_enable_private_segment 0
		.amdhsa_system_sgpr_workgroup_id_x 1
		.amdhsa_system_sgpr_workgroup_id_y 0
		.amdhsa_system_sgpr_workgroup_id_z 0
		.amdhsa_system_sgpr_workgroup_info 0
		.amdhsa_system_vgpr_workitem_id 0
		.amdhsa_next_free_vgpr 1
		.amdhsa_next_free_sgpr 1
		.amdhsa_named_barrier_count 0
		.amdhsa_reserve_vcc 0
		.amdhsa_float_round_mode_32 0
		.amdhsa_float_round_mode_16_64 0
		.amdhsa_float_denorm_mode_32 3
		.amdhsa_float_denorm_mode_16_64 3
		.amdhsa_fp16_overflow 0
		.amdhsa_memory_ordered 1
		.amdhsa_forward_progress 1
		.amdhsa_inst_pref_size 0
		.amdhsa_round_robin_scheduling 0
		.amdhsa_exception_fp_ieee_invalid_op 0
		.amdhsa_exception_fp_denorm_src 0
		.amdhsa_exception_fp_ieee_div_zero 0
		.amdhsa_exception_fp_ieee_overflow 0
		.amdhsa_exception_fp_ieee_underflow 0
		.amdhsa_exception_fp_ieee_inexact 0
		.amdhsa_exception_int_div_zero 0
	.end_amdhsa_kernel
	.section	.text._ZN7rocprim17ROCPRIM_400000_NS6detail17trampoline_kernelINS0_14default_configENS1_21merge_config_selectorINS0_5tupleIJssEEENS0_10empty_typeEEEZNS1_10merge_implIS3_NS0_12zip_iteratorINS5_IJN6thrust23THRUST_200600_302600_NS6detail15normal_iteratorINSC_10device_ptrIKsEEEESI_EEEEESK_NSA_INS5_IJNSE_INSF_IsEEEESM_EEEEEPS7_SP_SP_NSC_11hip_rocprim7__merge17predicate_wrapperIssNSC_4lessIsEEEEEE10hipError_tPvRmT0_T1_T2_T3_T4_T5_mmT6_P12ihipStream_tbEUlT_E0_NS1_11comp_targetILNS1_3genE9ELNS1_11target_archE1100ELNS1_3gpuE3ELNS1_3repE0EEENS1_30default_config_static_selectorELNS0_4arch9wavefront6targetE0EEEvS10_,"axG",@progbits,_ZN7rocprim17ROCPRIM_400000_NS6detail17trampoline_kernelINS0_14default_configENS1_21merge_config_selectorINS0_5tupleIJssEEENS0_10empty_typeEEEZNS1_10merge_implIS3_NS0_12zip_iteratorINS5_IJN6thrust23THRUST_200600_302600_NS6detail15normal_iteratorINSC_10device_ptrIKsEEEESI_EEEEESK_NSA_INS5_IJNSE_INSF_IsEEEESM_EEEEEPS7_SP_SP_NSC_11hip_rocprim7__merge17predicate_wrapperIssNSC_4lessIsEEEEEE10hipError_tPvRmT0_T1_T2_T3_T4_T5_mmT6_P12ihipStream_tbEUlT_E0_NS1_11comp_targetILNS1_3genE9ELNS1_11target_archE1100ELNS1_3gpuE3ELNS1_3repE0EEENS1_30default_config_static_selectorELNS0_4arch9wavefront6targetE0EEEvS10_,comdat
.Lfunc_end296:
	.size	_ZN7rocprim17ROCPRIM_400000_NS6detail17trampoline_kernelINS0_14default_configENS1_21merge_config_selectorINS0_5tupleIJssEEENS0_10empty_typeEEEZNS1_10merge_implIS3_NS0_12zip_iteratorINS5_IJN6thrust23THRUST_200600_302600_NS6detail15normal_iteratorINSC_10device_ptrIKsEEEESI_EEEEESK_NSA_INS5_IJNSE_INSF_IsEEEESM_EEEEEPS7_SP_SP_NSC_11hip_rocprim7__merge17predicate_wrapperIssNSC_4lessIsEEEEEE10hipError_tPvRmT0_T1_T2_T3_T4_T5_mmT6_P12ihipStream_tbEUlT_E0_NS1_11comp_targetILNS1_3genE9ELNS1_11target_archE1100ELNS1_3gpuE3ELNS1_3repE0EEENS1_30default_config_static_selectorELNS0_4arch9wavefront6targetE0EEEvS10_, .Lfunc_end296-_ZN7rocprim17ROCPRIM_400000_NS6detail17trampoline_kernelINS0_14default_configENS1_21merge_config_selectorINS0_5tupleIJssEEENS0_10empty_typeEEEZNS1_10merge_implIS3_NS0_12zip_iteratorINS5_IJN6thrust23THRUST_200600_302600_NS6detail15normal_iteratorINSC_10device_ptrIKsEEEESI_EEEEESK_NSA_INS5_IJNSE_INSF_IsEEEESM_EEEEEPS7_SP_SP_NSC_11hip_rocprim7__merge17predicate_wrapperIssNSC_4lessIsEEEEEE10hipError_tPvRmT0_T1_T2_T3_T4_T5_mmT6_P12ihipStream_tbEUlT_E0_NS1_11comp_targetILNS1_3genE9ELNS1_11target_archE1100ELNS1_3gpuE3ELNS1_3repE0EEENS1_30default_config_static_selectorELNS0_4arch9wavefront6targetE0EEEvS10_
                                        ; -- End function
	.set _ZN7rocprim17ROCPRIM_400000_NS6detail17trampoline_kernelINS0_14default_configENS1_21merge_config_selectorINS0_5tupleIJssEEENS0_10empty_typeEEEZNS1_10merge_implIS3_NS0_12zip_iteratorINS5_IJN6thrust23THRUST_200600_302600_NS6detail15normal_iteratorINSC_10device_ptrIKsEEEESI_EEEEESK_NSA_INS5_IJNSE_INSF_IsEEEESM_EEEEEPS7_SP_SP_NSC_11hip_rocprim7__merge17predicate_wrapperIssNSC_4lessIsEEEEEE10hipError_tPvRmT0_T1_T2_T3_T4_T5_mmT6_P12ihipStream_tbEUlT_E0_NS1_11comp_targetILNS1_3genE9ELNS1_11target_archE1100ELNS1_3gpuE3ELNS1_3repE0EEENS1_30default_config_static_selectorELNS0_4arch9wavefront6targetE0EEEvS10_.num_vgpr, 0
	.set _ZN7rocprim17ROCPRIM_400000_NS6detail17trampoline_kernelINS0_14default_configENS1_21merge_config_selectorINS0_5tupleIJssEEENS0_10empty_typeEEEZNS1_10merge_implIS3_NS0_12zip_iteratorINS5_IJN6thrust23THRUST_200600_302600_NS6detail15normal_iteratorINSC_10device_ptrIKsEEEESI_EEEEESK_NSA_INS5_IJNSE_INSF_IsEEEESM_EEEEEPS7_SP_SP_NSC_11hip_rocprim7__merge17predicate_wrapperIssNSC_4lessIsEEEEEE10hipError_tPvRmT0_T1_T2_T3_T4_T5_mmT6_P12ihipStream_tbEUlT_E0_NS1_11comp_targetILNS1_3genE9ELNS1_11target_archE1100ELNS1_3gpuE3ELNS1_3repE0EEENS1_30default_config_static_selectorELNS0_4arch9wavefront6targetE0EEEvS10_.num_agpr, 0
	.set _ZN7rocprim17ROCPRIM_400000_NS6detail17trampoline_kernelINS0_14default_configENS1_21merge_config_selectorINS0_5tupleIJssEEENS0_10empty_typeEEEZNS1_10merge_implIS3_NS0_12zip_iteratorINS5_IJN6thrust23THRUST_200600_302600_NS6detail15normal_iteratorINSC_10device_ptrIKsEEEESI_EEEEESK_NSA_INS5_IJNSE_INSF_IsEEEESM_EEEEEPS7_SP_SP_NSC_11hip_rocprim7__merge17predicate_wrapperIssNSC_4lessIsEEEEEE10hipError_tPvRmT0_T1_T2_T3_T4_T5_mmT6_P12ihipStream_tbEUlT_E0_NS1_11comp_targetILNS1_3genE9ELNS1_11target_archE1100ELNS1_3gpuE3ELNS1_3repE0EEENS1_30default_config_static_selectorELNS0_4arch9wavefront6targetE0EEEvS10_.numbered_sgpr, 0
	.set _ZN7rocprim17ROCPRIM_400000_NS6detail17trampoline_kernelINS0_14default_configENS1_21merge_config_selectorINS0_5tupleIJssEEENS0_10empty_typeEEEZNS1_10merge_implIS3_NS0_12zip_iteratorINS5_IJN6thrust23THRUST_200600_302600_NS6detail15normal_iteratorINSC_10device_ptrIKsEEEESI_EEEEESK_NSA_INS5_IJNSE_INSF_IsEEEESM_EEEEEPS7_SP_SP_NSC_11hip_rocprim7__merge17predicate_wrapperIssNSC_4lessIsEEEEEE10hipError_tPvRmT0_T1_T2_T3_T4_T5_mmT6_P12ihipStream_tbEUlT_E0_NS1_11comp_targetILNS1_3genE9ELNS1_11target_archE1100ELNS1_3gpuE3ELNS1_3repE0EEENS1_30default_config_static_selectorELNS0_4arch9wavefront6targetE0EEEvS10_.num_named_barrier, 0
	.set _ZN7rocprim17ROCPRIM_400000_NS6detail17trampoline_kernelINS0_14default_configENS1_21merge_config_selectorINS0_5tupleIJssEEENS0_10empty_typeEEEZNS1_10merge_implIS3_NS0_12zip_iteratorINS5_IJN6thrust23THRUST_200600_302600_NS6detail15normal_iteratorINSC_10device_ptrIKsEEEESI_EEEEESK_NSA_INS5_IJNSE_INSF_IsEEEESM_EEEEEPS7_SP_SP_NSC_11hip_rocprim7__merge17predicate_wrapperIssNSC_4lessIsEEEEEE10hipError_tPvRmT0_T1_T2_T3_T4_T5_mmT6_P12ihipStream_tbEUlT_E0_NS1_11comp_targetILNS1_3genE9ELNS1_11target_archE1100ELNS1_3gpuE3ELNS1_3repE0EEENS1_30default_config_static_selectorELNS0_4arch9wavefront6targetE0EEEvS10_.private_seg_size, 0
	.set _ZN7rocprim17ROCPRIM_400000_NS6detail17trampoline_kernelINS0_14default_configENS1_21merge_config_selectorINS0_5tupleIJssEEENS0_10empty_typeEEEZNS1_10merge_implIS3_NS0_12zip_iteratorINS5_IJN6thrust23THRUST_200600_302600_NS6detail15normal_iteratorINSC_10device_ptrIKsEEEESI_EEEEESK_NSA_INS5_IJNSE_INSF_IsEEEESM_EEEEEPS7_SP_SP_NSC_11hip_rocprim7__merge17predicate_wrapperIssNSC_4lessIsEEEEEE10hipError_tPvRmT0_T1_T2_T3_T4_T5_mmT6_P12ihipStream_tbEUlT_E0_NS1_11comp_targetILNS1_3genE9ELNS1_11target_archE1100ELNS1_3gpuE3ELNS1_3repE0EEENS1_30default_config_static_selectorELNS0_4arch9wavefront6targetE0EEEvS10_.uses_vcc, 0
	.set _ZN7rocprim17ROCPRIM_400000_NS6detail17trampoline_kernelINS0_14default_configENS1_21merge_config_selectorINS0_5tupleIJssEEENS0_10empty_typeEEEZNS1_10merge_implIS3_NS0_12zip_iteratorINS5_IJN6thrust23THRUST_200600_302600_NS6detail15normal_iteratorINSC_10device_ptrIKsEEEESI_EEEEESK_NSA_INS5_IJNSE_INSF_IsEEEESM_EEEEEPS7_SP_SP_NSC_11hip_rocprim7__merge17predicate_wrapperIssNSC_4lessIsEEEEEE10hipError_tPvRmT0_T1_T2_T3_T4_T5_mmT6_P12ihipStream_tbEUlT_E0_NS1_11comp_targetILNS1_3genE9ELNS1_11target_archE1100ELNS1_3gpuE3ELNS1_3repE0EEENS1_30default_config_static_selectorELNS0_4arch9wavefront6targetE0EEEvS10_.uses_flat_scratch, 0
	.set _ZN7rocprim17ROCPRIM_400000_NS6detail17trampoline_kernelINS0_14default_configENS1_21merge_config_selectorINS0_5tupleIJssEEENS0_10empty_typeEEEZNS1_10merge_implIS3_NS0_12zip_iteratorINS5_IJN6thrust23THRUST_200600_302600_NS6detail15normal_iteratorINSC_10device_ptrIKsEEEESI_EEEEESK_NSA_INS5_IJNSE_INSF_IsEEEESM_EEEEEPS7_SP_SP_NSC_11hip_rocprim7__merge17predicate_wrapperIssNSC_4lessIsEEEEEE10hipError_tPvRmT0_T1_T2_T3_T4_T5_mmT6_P12ihipStream_tbEUlT_E0_NS1_11comp_targetILNS1_3genE9ELNS1_11target_archE1100ELNS1_3gpuE3ELNS1_3repE0EEENS1_30default_config_static_selectorELNS0_4arch9wavefront6targetE0EEEvS10_.has_dyn_sized_stack, 0
	.set _ZN7rocprim17ROCPRIM_400000_NS6detail17trampoline_kernelINS0_14default_configENS1_21merge_config_selectorINS0_5tupleIJssEEENS0_10empty_typeEEEZNS1_10merge_implIS3_NS0_12zip_iteratorINS5_IJN6thrust23THRUST_200600_302600_NS6detail15normal_iteratorINSC_10device_ptrIKsEEEESI_EEEEESK_NSA_INS5_IJNSE_INSF_IsEEEESM_EEEEEPS7_SP_SP_NSC_11hip_rocprim7__merge17predicate_wrapperIssNSC_4lessIsEEEEEE10hipError_tPvRmT0_T1_T2_T3_T4_T5_mmT6_P12ihipStream_tbEUlT_E0_NS1_11comp_targetILNS1_3genE9ELNS1_11target_archE1100ELNS1_3gpuE3ELNS1_3repE0EEENS1_30default_config_static_selectorELNS0_4arch9wavefront6targetE0EEEvS10_.has_recursion, 0
	.set _ZN7rocprim17ROCPRIM_400000_NS6detail17trampoline_kernelINS0_14default_configENS1_21merge_config_selectorINS0_5tupleIJssEEENS0_10empty_typeEEEZNS1_10merge_implIS3_NS0_12zip_iteratorINS5_IJN6thrust23THRUST_200600_302600_NS6detail15normal_iteratorINSC_10device_ptrIKsEEEESI_EEEEESK_NSA_INS5_IJNSE_INSF_IsEEEESM_EEEEEPS7_SP_SP_NSC_11hip_rocprim7__merge17predicate_wrapperIssNSC_4lessIsEEEEEE10hipError_tPvRmT0_T1_T2_T3_T4_T5_mmT6_P12ihipStream_tbEUlT_E0_NS1_11comp_targetILNS1_3genE9ELNS1_11target_archE1100ELNS1_3gpuE3ELNS1_3repE0EEENS1_30default_config_static_selectorELNS0_4arch9wavefront6targetE0EEEvS10_.has_indirect_call, 0
	.section	.AMDGPU.csdata,"",@progbits
; Kernel info:
; codeLenInByte = 0
; TotalNumSgprs: 0
; NumVgprs: 0
; ScratchSize: 0
; MemoryBound: 0
; FloatMode: 240
; IeeeMode: 1
; LDSByteSize: 0 bytes/workgroup (compile time only)
; SGPRBlocks: 0
; VGPRBlocks: 0
; NumSGPRsForWavesPerEU: 1
; NumVGPRsForWavesPerEU: 1
; NamedBarCnt: 0
; Occupancy: 16
; WaveLimiterHint : 0
; COMPUTE_PGM_RSRC2:SCRATCH_EN: 0
; COMPUTE_PGM_RSRC2:USER_SGPR: 2
; COMPUTE_PGM_RSRC2:TRAP_HANDLER: 0
; COMPUTE_PGM_RSRC2:TGID_X_EN: 1
; COMPUTE_PGM_RSRC2:TGID_Y_EN: 0
; COMPUTE_PGM_RSRC2:TGID_Z_EN: 0
; COMPUTE_PGM_RSRC2:TIDIG_COMP_CNT: 0
	.section	.text._ZN7rocprim17ROCPRIM_400000_NS6detail17trampoline_kernelINS0_14default_configENS1_21merge_config_selectorINS0_5tupleIJssEEENS0_10empty_typeEEEZNS1_10merge_implIS3_NS0_12zip_iteratorINS5_IJN6thrust23THRUST_200600_302600_NS6detail15normal_iteratorINSC_10device_ptrIKsEEEESI_EEEEESK_NSA_INS5_IJNSE_INSF_IsEEEESM_EEEEEPS7_SP_SP_NSC_11hip_rocprim7__merge17predicate_wrapperIssNSC_4lessIsEEEEEE10hipError_tPvRmT0_T1_T2_T3_T4_T5_mmT6_P12ihipStream_tbEUlT_E0_NS1_11comp_targetILNS1_3genE8ELNS1_11target_archE1030ELNS1_3gpuE2ELNS1_3repE0EEENS1_30default_config_static_selectorELNS0_4arch9wavefront6targetE0EEEvS10_,"axG",@progbits,_ZN7rocprim17ROCPRIM_400000_NS6detail17trampoline_kernelINS0_14default_configENS1_21merge_config_selectorINS0_5tupleIJssEEENS0_10empty_typeEEEZNS1_10merge_implIS3_NS0_12zip_iteratorINS5_IJN6thrust23THRUST_200600_302600_NS6detail15normal_iteratorINSC_10device_ptrIKsEEEESI_EEEEESK_NSA_INS5_IJNSE_INSF_IsEEEESM_EEEEEPS7_SP_SP_NSC_11hip_rocprim7__merge17predicate_wrapperIssNSC_4lessIsEEEEEE10hipError_tPvRmT0_T1_T2_T3_T4_T5_mmT6_P12ihipStream_tbEUlT_E0_NS1_11comp_targetILNS1_3genE8ELNS1_11target_archE1030ELNS1_3gpuE2ELNS1_3repE0EEENS1_30default_config_static_selectorELNS0_4arch9wavefront6targetE0EEEvS10_,comdat
	.protected	_ZN7rocprim17ROCPRIM_400000_NS6detail17trampoline_kernelINS0_14default_configENS1_21merge_config_selectorINS0_5tupleIJssEEENS0_10empty_typeEEEZNS1_10merge_implIS3_NS0_12zip_iteratorINS5_IJN6thrust23THRUST_200600_302600_NS6detail15normal_iteratorINSC_10device_ptrIKsEEEESI_EEEEESK_NSA_INS5_IJNSE_INSF_IsEEEESM_EEEEEPS7_SP_SP_NSC_11hip_rocprim7__merge17predicate_wrapperIssNSC_4lessIsEEEEEE10hipError_tPvRmT0_T1_T2_T3_T4_T5_mmT6_P12ihipStream_tbEUlT_E0_NS1_11comp_targetILNS1_3genE8ELNS1_11target_archE1030ELNS1_3gpuE2ELNS1_3repE0EEENS1_30default_config_static_selectorELNS0_4arch9wavefront6targetE0EEEvS10_ ; -- Begin function _ZN7rocprim17ROCPRIM_400000_NS6detail17trampoline_kernelINS0_14default_configENS1_21merge_config_selectorINS0_5tupleIJssEEENS0_10empty_typeEEEZNS1_10merge_implIS3_NS0_12zip_iteratorINS5_IJN6thrust23THRUST_200600_302600_NS6detail15normal_iteratorINSC_10device_ptrIKsEEEESI_EEEEESK_NSA_INS5_IJNSE_INSF_IsEEEESM_EEEEEPS7_SP_SP_NSC_11hip_rocprim7__merge17predicate_wrapperIssNSC_4lessIsEEEEEE10hipError_tPvRmT0_T1_T2_T3_T4_T5_mmT6_P12ihipStream_tbEUlT_E0_NS1_11comp_targetILNS1_3genE8ELNS1_11target_archE1030ELNS1_3gpuE2ELNS1_3repE0EEENS1_30default_config_static_selectorELNS0_4arch9wavefront6targetE0EEEvS10_
	.globl	_ZN7rocprim17ROCPRIM_400000_NS6detail17trampoline_kernelINS0_14default_configENS1_21merge_config_selectorINS0_5tupleIJssEEENS0_10empty_typeEEEZNS1_10merge_implIS3_NS0_12zip_iteratorINS5_IJN6thrust23THRUST_200600_302600_NS6detail15normal_iteratorINSC_10device_ptrIKsEEEESI_EEEEESK_NSA_INS5_IJNSE_INSF_IsEEEESM_EEEEEPS7_SP_SP_NSC_11hip_rocprim7__merge17predicate_wrapperIssNSC_4lessIsEEEEEE10hipError_tPvRmT0_T1_T2_T3_T4_T5_mmT6_P12ihipStream_tbEUlT_E0_NS1_11comp_targetILNS1_3genE8ELNS1_11target_archE1030ELNS1_3gpuE2ELNS1_3repE0EEENS1_30default_config_static_selectorELNS0_4arch9wavefront6targetE0EEEvS10_
	.p2align	8
	.type	_ZN7rocprim17ROCPRIM_400000_NS6detail17trampoline_kernelINS0_14default_configENS1_21merge_config_selectorINS0_5tupleIJssEEENS0_10empty_typeEEEZNS1_10merge_implIS3_NS0_12zip_iteratorINS5_IJN6thrust23THRUST_200600_302600_NS6detail15normal_iteratorINSC_10device_ptrIKsEEEESI_EEEEESK_NSA_INS5_IJNSE_INSF_IsEEEESM_EEEEEPS7_SP_SP_NSC_11hip_rocprim7__merge17predicate_wrapperIssNSC_4lessIsEEEEEE10hipError_tPvRmT0_T1_T2_T3_T4_T5_mmT6_P12ihipStream_tbEUlT_E0_NS1_11comp_targetILNS1_3genE8ELNS1_11target_archE1030ELNS1_3gpuE2ELNS1_3repE0EEENS1_30default_config_static_selectorELNS0_4arch9wavefront6targetE0EEEvS10_,@function
_ZN7rocprim17ROCPRIM_400000_NS6detail17trampoline_kernelINS0_14default_configENS1_21merge_config_selectorINS0_5tupleIJssEEENS0_10empty_typeEEEZNS1_10merge_implIS3_NS0_12zip_iteratorINS5_IJN6thrust23THRUST_200600_302600_NS6detail15normal_iteratorINSC_10device_ptrIKsEEEESI_EEEEESK_NSA_INS5_IJNSE_INSF_IsEEEESM_EEEEEPS7_SP_SP_NSC_11hip_rocprim7__merge17predicate_wrapperIssNSC_4lessIsEEEEEE10hipError_tPvRmT0_T1_T2_T3_T4_T5_mmT6_P12ihipStream_tbEUlT_E0_NS1_11comp_targetILNS1_3genE8ELNS1_11target_archE1030ELNS1_3gpuE2ELNS1_3repE0EEENS1_30default_config_static_selectorELNS0_4arch9wavefront6targetE0EEEvS10_: ; @_ZN7rocprim17ROCPRIM_400000_NS6detail17trampoline_kernelINS0_14default_configENS1_21merge_config_selectorINS0_5tupleIJssEEENS0_10empty_typeEEEZNS1_10merge_implIS3_NS0_12zip_iteratorINS5_IJN6thrust23THRUST_200600_302600_NS6detail15normal_iteratorINSC_10device_ptrIKsEEEESI_EEEEESK_NSA_INS5_IJNSE_INSF_IsEEEESM_EEEEEPS7_SP_SP_NSC_11hip_rocprim7__merge17predicate_wrapperIssNSC_4lessIsEEEEEE10hipError_tPvRmT0_T1_T2_T3_T4_T5_mmT6_P12ihipStream_tbEUlT_E0_NS1_11comp_targetILNS1_3genE8ELNS1_11target_archE1030ELNS1_3gpuE2ELNS1_3repE0EEENS1_30default_config_static_selectorELNS0_4arch9wavefront6targetE0EEEvS10_
; %bb.0:
	.section	.rodata,"a",@progbits
	.p2align	6, 0x0
	.amdhsa_kernel _ZN7rocprim17ROCPRIM_400000_NS6detail17trampoline_kernelINS0_14default_configENS1_21merge_config_selectorINS0_5tupleIJssEEENS0_10empty_typeEEEZNS1_10merge_implIS3_NS0_12zip_iteratorINS5_IJN6thrust23THRUST_200600_302600_NS6detail15normal_iteratorINSC_10device_ptrIKsEEEESI_EEEEESK_NSA_INS5_IJNSE_INSF_IsEEEESM_EEEEEPS7_SP_SP_NSC_11hip_rocprim7__merge17predicate_wrapperIssNSC_4lessIsEEEEEE10hipError_tPvRmT0_T1_T2_T3_T4_T5_mmT6_P12ihipStream_tbEUlT_E0_NS1_11comp_targetILNS1_3genE8ELNS1_11target_archE1030ELNS1_3gpuE2ELNS1_3repE0EEENS1_30default_config_static_selectorELNS0_4arch9wavefront6targetE0EEEvS10_
		.amdhsa_group_segment_fixed_size 0
		.amdhsa_private_segment_fixed_size 0
		.amdhsa_kernarg_size 112
		.amdhsa_user_sgpr_count 2
		.amdhsa_user_sgpr_dispatch_ptr 0
		.amdhsa_user_sgpr_queue_ptr 0
		.amdhsa_user_sgpr_kernarg_segment_ptr 1
		.amdhsa_user_sgpr_dispatch_id 0
		.amdhsa_user_sgpr_kernarg_preload_length 0
		.amdhsa_user_sgpr_kernarg_preload_offset 0
		.amdhsa_user_sgpr_private_segment_size 0
		.amdhsa_wavefront_size32 1
		.amdhsa_uses_dynamic_stack 0
		.amdhsa_enable_private_segment 0
		.amdhsa_system_sgpr_workgroup_id_x 1
		.amdhsa_system_sgpr_workgroup_id_y 0
		.amdhsa_system_sgpr_workgroup_id_z 0
		.amdhsa_system_sgpr_workgroup_info 0
		.amdhsa_system_vgpr_workitem_id 0
		.amdhsa_next_free_vgpr 1
		.amdhsa_next_free_sgpr 1
		.amdhsa_named_barrier_count 0
		.amdhsa_reserve_vcc 0
		.amdhsa_float_round_mode_32 0
		.amdhsa_float_round_mode_16_64 0
		.amdhsa_float_denorm_mode_32 3
		.amdhsa_float_denorm_mode_16_64 3
		.amdhsa_fp16_overflow 0
		.amdhsa_memory_ordered 1
		.amdhsa_forward_progress 1
		.amdhsa_inst_pref_size 0
		.amdhsa_round_robin_scheduling 0
		.amdhsa_exception_fp_ieee_invalid_op 0
		.amdhsa_exception_fp_denorm_src 0
		.amdhsa_exception_fp_ieee_div_zero 0
		.amdhsa_exception_fp_ieee_overflow 0
		.amdhsa_exception_fp_ieee_underflow 0
		.amdhsa_exception_fp_ieee_inexact 0
		.amdhsa_exception_int_div_zero 0
	.end_amdhsa_kernel
	.section	.text._ZN7rocprim17ROCPRIM_400000_NS6detail17trampoline_kernelINS0_14default_configENS1_21merge_config_selectorINS0_5tupleIJssEEENS0_10empty_typeEEEZNS1_10merge_implIS3_NS0_12zip_iteratorINS5_IJN6thrust23THRUST_200600_302600_NS6detail15normal_iteratorINSC_10device_ptrIKsEEEESI_EEEEESK_NSA_INS5_IJNSE_INSF_IsEEEESM_EEEEEPS7_SP_SP_NSC_11hip_rocprim7__merge17predicate_wrapperIssNSC_4lessIsEEEEEE10hipError_tPvRmT0_T1_T2_T3_T4_T5_mmT6_P12ihipStream_tbEUlT_E0_NS1_11comp_targetILNS1_3genE8ELNS1_11target_archE1030ELNS1_3gpuE2ELNS1_3repE0EEENS1_30default_config_static_selectorELNS0_4arch9wavefront6targetE0EEEvS10_,"axG",@progbits,_ZN7rocprim17ROCPRIM_400000_NS6detail17trampoline_kernelINS0_14default_configENS1_21merge_config_selectorINS0_5tupleIJssEEENS0_10empty_typeEEEZNS1_10merge_implIS3_NS0_12zip_iteratorINS5_IJN6thrust23THRUST_200600_302600_NS6detail15normal_iteratorINSC_10device_ptrIKsEEEESI_EEEEESK_NSA_INS5_IJNSE_INSF_IsEEEESM_EEEEEPS7_SP_SP_NSC_11hip_rocprim7__merge17predicate_wrapperIssNSC_4lessIsEEEEEE10hipError_tPvRmT0_T1_T2_T3_T4_T5_mmT6_P12ihipStream_tbEUlT_E0_NS1_11comp_targetILNS1_3genE8ELNS1_11target_archE1030ELNS1_3gpuE2ELNS1_3repE0EEENS1_30default_config_static_selectorELNS0_4arch9wavefront6targetE0EEEvS10_,comdat
.Lfunc_end297:
	.size	_ZN7rocprim17ROCPRIM_400000_NS6detail17trampoline_kernelINS0_14default_configENS1_21merge_config_selectorINS0_5tupleIJssEEENS0_10empty_typeEEEZNS1_10merge_implIS3_NS0_12zip_iteratorINS5_IJN6thrust23THRUST_200600_302600_NS6detail15normal_iteratorINSC_10device_ptrIKsEEEESI_EEEEESK_NSA_INS5_IJNSE_INSF_IsEEEESM_EEEEEPS7_SP_SP_NSC_11hip_rocprim7__merge17predicate_wrapperIssNSC_4lessIsEEEEEE10hipError_tPvRmT0_T1_T2_T3_T4_T5_mmT6_P12ihipStream_tbEUlT_E0_NS1_11comp_targetILNS1_3genE8ELNS1_11target_archE1030ELNS1_3gpuE2ELNS1_3repE0EEENS1_30default_config_static_selectorELNS0_4arch9wavefront6targetE0EEEvS10_, .Lfunc_end297-_ZN7rocprim17ROCPRIM_400000_NS6detail17trampoline_kernelINS0_14default_configENS1_21merge_config_selectorINS0_5tupleIJssEEENS0_10empty_typeEEEZNS1_10merge_implIS3_NS0_12zip_iteratorINS5_IJN6thrust23THRUST_200600_302600_NS6detail15normal_iteratorINSC_10device_ptrIKsEEEESI_EEEEESK_NSA_INS5_IJNSE_INSF_IsEEEESM_EEEEEPS7_SP_SP_NSC_11hip_rocprim7__merge17predicate_wrapperIssNSC_4lessIsEEEEEE10hipError_tPvRmT0_T1_T2_T3_T4_T5_mmT6_P12ihipStream_tbEUlT_E0_NS1_11comp_targetILNS1_3genE8ELNS1_11target_archE1030ELNS1_3gpuE2ELNS1_3repE0EEENS1_30default_config_static_selectorELNS0_4arch9wavefront6targetE0EEEvS10_
                                        ; -- End function
	.set _ZN7rocprim17ROCPRIM_400000_NS6detail17trampoline_kernelINS0_14default_configENS1_21merge_config_selectorINS0_5tupleIJssEEENS0_10empty_typeEEEZNS1_10merge_implIS3_NS0_12zip_iteratorINS5_IJN6thrust23THRUST_200600_302600_NS6detail15normal_iteratorINSC_10device_ptrIKsEEEESI_EEEEESK_NSA_INS5_IJNSE_INSF_IsEEEESM_EEEEEPS7_SP_SP_NSC_11hip_rocprim7__merge17predicate_wrapperIssNSC_4lessIsEEEEEE10hipError_tPvRmT0_T1_T2_T3_T4_T5_mmT6_P12ihipStream_tbEUlT_E0_NS1_11comp_targetILNS1_3genE8ELNS1_11target_archE1030ELNS1_3gpuE2ELNS1_3repE0EEENS1_30default_config_static_selectorELNS0_4arch9wavefront6targetE0EEEvS10_.num_vgpr, 0
	.set _ZN7rocprim17ROCPRIM_400000_NS6detail17trampoline_kernelINS0_14default_configENS1_21merge_config_selectorINS0_5tupleIJssEEENS0_10empty_typeEEEZNS1_10merge_implIS3_NS0_12zip_iteratorINS5_IJN6thrust23THRUST_200600_302600_NS6detail15normal_iteratorINSC_10device_ptrIKsEEEESI_EEEEESK_NSA_INS5_IJNSE_INSF_IsEEEESM_EEEEEPS7_SP_SP_NSC_11hip_rocprim7__merge17predicate_wrapperIssNSC_4lessIsEEEEEE10hipError_tPvRmT0_T1_T2_T3_T4_T5_mmT6_P12ihipStream_tbEUlT_E0_NS1_11comp_targetILNS1_3genE8ELNS1_11target_archE1030ELNS1_3gpuE2ELNS1_3repE0EEENS1_30default_config_static_selectorELNS0_4arch9wavefront6targetE0EEEvS10_.num_agpr, 0
	.set _ZN7rocprim17ROCPRIM_400000_NS6detail17trampoline_kernelINS0_14default_configENS1_21merge_config_selectorINS0_5tupleIJssEEENS0_10empty_typeEEEZNS1_10merge_implIS3_NS0_12zip_iteratorINS5_IJN6thrust23THRUST_200600_302600_NS6detail15normal_iteratorINSC_10device_ptrIKsEEEESI_EEEEESK_NSA_INS5_IJNSE_INSF_IsEEEESM_EEEEEPS7_SP_SP_NSC_11hip_rocprim7__merge17predicate_wrapperIssNSC_4lessIsEEEEEE10hipError_tPvRmT0_T1_T2_T3_T4_T5_mmT6_P12ihipStream_tbEUlT_E0_NS1_11comp_targetILNS1_3genE8ELNS1_11target_archE1030ELNS1_3gpuE2ELNS1_3repE0EEENS1_30default_config_static_selectorELNS0_4arch9wavefront6targetE0EEEvS10_.numbered_sgpr, 0
	.set _ZN7rocprim17ROCPRIM_400000_NS6detail17trampoline_kernelINS0_14default_configENS1_21merge_config_selectorINS0_5tupleIJssEEENS0_10empty_typeEEEZNS1_10merge_implIS3_NS0_12zip_iteratorINS5_IJN6thrust23THRUST_200600_302600_NS6detail15normal_iteratorINSC_10device_ptrIKsEEEESI_EEEEESK_NSA_INS5_IJNSE_INSF_IsEEEESM_EEEEEPS7_SP_SP_NSC_11hip_rocprim7__merge17predicate_wrapperIssNSC_4lessIsEEEEEE10hipError_tPvRmT0_T1_T2_T3_T4_T5_mmT6_P12ihipStream_tbEUlT_E0_NS1_11comp_targetILNS1_3genE8ELNS1_11target_archE1030ELNS1_3gpuE2ELNS1_3repE0EEENS1_30default_config_static_selectorELNS0_4arch9wavefront6targetE0EEEvS10_.num_named_barrier, 0
	.set _ZN7rocprim17ROCPRIM_400000_NS6detail17trampoline_kernelINS0_14default_configENS1_21merge_config_selectorINS0_5tupleIJssEEENS0_10empty_typeEEEZNS1_10merge_implIS3_NS0_12zip_iteratorINS5_IJN6thrust23THRUST_200600_302600_NS6detail15normal_iteratorINSC_10device_ptrIKsEEEESI_EEEEESK_NSA_INS5_IJNSE_INSF_IsEEEESM_EEEEEPS7_SP_SP_NSC_11hip_rocprim7__merge17predicate_wrapperIssNSC_4lessIsEEEEEE10hipError_tPvRmT0_T1_T2_T3_T4_T5_mmT6_P12ihipStream_tbEUlT_E0_NS1_11comp_targetILNS1_3genE8ELNS1_11target_archE1030ELNS1_3gpuE2ELNS1_3repE0EEENS1_30default_config_static_selectorELNS0_4arch9wavefront6targetE0EEEvS10_.private_seg_size, 0
	.set _ZN7rocprim17ROCPRIM_400000_NS6detail17trampoline_kernelINS0_14default_configENS1_21merge_config_selectorINS0_5tupleIJssEEENS0_10empty_typeEEEZNS1_10merge_implIS3_NS0_12zip_iteratorINS5_IJN6thrust23THRUST_200600_302600_NS6detail15normal_iteratorINSC_10device_ptrIKsEEEESI_EEEEESK_NSA_INS5_IJNSE_INSF_IsEEEESM_EEEEEPS7_SP_SP_NSC_11hip_rocprim7__merge17predicate_wrapperIssNSC_4lessIsEEEEEE10hipError_tPvRmT0_T1_T2_T3_T4_T5_mmT6_P12ihipStream_tbEUlT_E0_NS1_11comp_targetILNS1_3genE8ELNS1_11target_archE1030ELNS1_3gpuE2ELNS1_3repE0EEENS1_30default_config_static_selectorELNS0_4arch9wavefront6targetE0EEEvS10_.uses_vcc, 0
	.set _ZN7rocprim17ROCPRIM_400000_NS6detail17trampoline_kernelINS0_14default_configENS1_21merge_config_selectorINS0_5tupleIJssEEENS0_10empty_typeEEEZNS1_10merge_implIS3_NS0_12zip_iteratorINS5_IJN6thrust23THRUST_200600_302600_NS6detail15normal_iteratorINSC_10device_ptrIKsEEEESI_EEEEESK_NSA_INS5_IJNSE_INSF_IsEEEESM_EEEEEPS7_SP_SP_NSC_11hip_rocprim7__merge17predicate_wrapperIssNSC_4lessIsEEEEEE10hipError_tPvRmT0_T1_T2_T3_T4_T5_mmT6_P12ihipStream_tbEUlT_E0_NS1_11comp_targetILNS1_3genE8ELNS1_11target_archE1030ELNS1_3gpuE2ELNS1_3repE0EEENS1_30default_config_static_selectorELNS0_4arch9wavefront6targetE0EEEvS10_.uses_flat_scratch, 0
	.set _ZN7rocprim17ROCPRIM_400000_NS6detail17trampoline_kernelINS0_14default_configENS1_21merge_config_selectorINS0_5tupleIJssEEENS0_10empty_typeEEEZNS1_10merge_implIS3_NS0_12zip_iteratorINS5_IJN6thrust23THRUST_200600_302600_NS6detail15normal_iteratorINSC_10device_ptrIKsEEEESI_EEEEESK_NSA_INS5_IJNSE_INSF_IsEEEESM_EEEEEPS7_SP_SP_NSC_11hip_rocprim7__merge17predicate_wrapperIssNSC_4lessIsEEEEEE10hipError_tPvRmT0_T1_T2_T3_T4_T5_mmT6_P12ihipStream_tbEUlT_E0_NS1_11comp_targetILNS1_3genE8ELNS1_11target_archE1030ELNS1_3gpuE2ELNS1_3repE0EEENS1_30default_config_static_selectorELNS0_4arch9wavefront6targetE0EEEvS10_.has_dyn_sized_stack, 0
	.set _ZN7rocprim17ROCPRIM_400000_NS6detail17trampoline_kernelINS0_14default_configENS1_21merge_config_selectorINS0_5tupleIJssEEENS0_10empty_typeEEEZNS1_10merge_implIS3_NS0_12zip_iteratorINS5_IJN6thrust23THRUST_200600_302600_NS6detail15normal_iteratorINSC_10device_ptrIKsEEEESI_EEEEESK_NSA_INS5_IJNSE_INSF_IsEEEESM_EEEEEPS7_SP_SP_NSC_11hip_rocprim7__merge17predicate_wrapperIssNSC_4lessIsEEEEEE10hipError_tPvRmT0_T1_T2_T3_T4_T5_mmT6_P12ihipStream_tbEUlT_E0_NS1_11comp_targetILNS1_3genE8ELNS1_11target_archE1030ELNS1_3gpuE2ELNS1_3repE0EEENS1_30default_config_static_selectorELNS0_4arch9wavefront6targetE0EEEvS10_.has_recursion, 0
	.set _ZN7rocprim17ROCPRIM_400000_NS6detail17trampoline_kernelINS0_14default_configENS1_21merge_config_selectorINS0_5tupleIJssEEENS0_10empty_typeEEEZNS1_10merge_implIS3_NS0_12zip_iteratorINS5_IJN6thrust23THRUST_200600_302600_NS6detail15normal_iteratorINSC_10device_ptrIKsEEEESI_EEEEESK_NSA_INS5_IJNSE_INSF_IsEEEESM_EEEEEPS7_SP_SP_NSC_11hip_rocprim7__merge17predicate_wrapperIssNSC_4lessIsEEEEEE10hipError_tPvRmT0_T1_T2_T3_T4_T5_mmT6_P12ihipStream_tbEUlT_E0_NS1_11comp_targetILNS1_3genE8ELNS1_11target_archE1030ELNS1_3gpuE2ELNS1_3repE0EEENS1_30default_config_static_selectorELNS0_4arch9wavefront6targetE0EEEvS10_.has_indirect_call, 0
	.section	.AMDGPU.csdata,"",@progbits
; Kernel info:
; codeLenInByte = 0
; TotalNumSgprs: 0
; NumVgprs: 0
; ScratchSize: 0
; MemoryBound: 0
; FloatMode: 240
; IeeeMode: 1
; LDSByteSize: 0 bytes/workgroup (compile time only)
; SGPRBlocks: 0
; VGPRBlocks: 0
; NumSGPRsForWavesPerEU: 1
; NumVGPRsForWavesPerEU: 1
; NamedBarCnt: 0
; Occupancy: 16
; WaveLimiterHint : 0
; COMPUTE_PGM_RSRC2:SCRATCH_EN: 0
; COMPUTE_PGM_RSRC2:USER_SGPR: 2
; COMPUTE_PGM_RSRC2:TRAP_HANDLER: 0
; COMPUTE_PGM_RSRC2:TGID_X_EN: 1
; COMPUTE_PGM_RSRC2:TGID_Y_EN: 0
; COMPUTE_PGM_RSRC2:TGID_Z_EN: 0
; COMPUTE_PGM_RSRC2:TIDIG_COMP_CNT: 0
	.section	.text._ZN7rocprim17ROCPRIM_400000_NS6detail17trampoline_kernelINS0_14default_configENS1_22reduce_config_selectorIN6thrust23THRUST_200600_302600_NS5tupleIblNS6_9null_typeES8_S8_S8_S8_S8_S8_S8_EEEEZNS1_11reduce_implILb1ES3_NS6_12zip_iteratorINS7_INS6_11hip_rocprim26transform_input_iterator_tIbNSD_35transform_pair_of_input_iterators_tIbNS6_6detail15normal_iteratorINS6_10device_ptrIKsEEEESL_NS6_8equal_toIsEEEENSG_9not_fun_tINSD_8identityEEEEENSD_19counting_iterator_tIlEES8_S8_S8_S8_S8_S8_S8_S8_EEEEPS9_S9_NSD_9__find_if7functorIS9_EEEE10hipError_tPvRmT1_T2_T3_mT4_P12ihipStream_tbEUlT_E0_NS1_11comp_targetILNS1_3genE0ELNS1_11target_archE4294967295ELNS1_3gpuE0ELNS1_3repE0EEENS1_30default_config_static_selectorELNS0_4arch9wavefront6targetE0EEEvS14_,"axG",@progbits,_ZN7rocprim17ROCPRIM_400000_NS6detail17trampoline_kernelINS0_14default_configENS1_22reduce_config_selectorIN6thrust23THRUST_200600_302600_NS5tupleIblNS6_9null_typeES8_S8_S8_S8_S8_S8_S8_EEEEZNS1_11reduce_implILb1ES3_NS6_12zip_iteratorINS7_INS6_11hip_rocprim26transform_input_iterator_tIbNSD_35transform_pair_of_input_iterators_tIbNS6_6detail15normal_iteratorINS6_10device_ptrIKsEEEESL_NS6_8equal_toIsEEEENSG_9not_fun_tINSD_8identityEEEEENSD_19counting_iterator_tIlEES8_S8_S8_S8_S8_S8_S8_S8_EEEEPS9_S9_NSD_9__find_if7functorIS9_EEEE10hipError_tPvRmT1_T2_T3_mT4_P12ihipStream_tbEUlT_E0_NS1_11comp_targetILNS1_3genE0ELNS1_11target_archE4294967295ELNS1_3gpuE0ELNS1_3repE0EEENS1_30default_config_static_selectorELNS0_4arch9wavefront6targetE0EEEvS14_,comdat
	.protected	_ZN7rocprim17ROCPRIM_400000_NS6detail17trampoline_kernelINS0_14default_configENS1_22reduce_config_selectorIN6thrust23THRUST_200600_302600_NS5tupleIblNS6_9null_typeES8_S8_S8_S8_S8_S8_S8_EEEEZNS1_11reduce_implILb1ES3_NS6_12zip_iteratorINS7_INS6_11hip_rocprim26transform_input_iterator_tIbNSD_35transform_pair_of_input_iterators_tIbNS6_6detail15normal_iteratorINS6_10device_ptrIKsEEEESL_NS6_8equal_toIsEEEENSG_9not_fun_tINSD_8identityEEEEENSD_19counting_iterator_tIlEES8_S8_S8_S8_S8_S8_S8_S8_EEEEPS9_S9_NSD_9__find_if7functorIS9_EEEE10hipError_tPvRmT1_T2_T3_mT4_P12ihipStream_tbEUlT_E0_NS1_11comp_targetILNS1_3genE0ELNS1_11target_archE4294967295ELNS1_3gpuE0ELNS1_3repE0EEENS1_30default_config_static_selectorELNS0_4arch9wavefront6targetE0EEEvS14_ ; -- Begin function _ZN7rocprim17ROCPRIM_400000_NS6detail17trampoline_kernelINS0_14default_configENS1_22reduce_config_selectorIN6thrust23THRUST_200600_302600_NS5tupleIblNS6_9null_typeES8_S8_S8_S8_S8_S8_S8_EEEEZNS1_11reduce_implILb1ES3_NS6_12zip_iteratorINS7_INS6_11hip_rocprim26transform_input_iterator_tIbNSD_35transform_pair_of_input_iterators_tIbNS6_6detail15normal_iteratorINS6_10device_ptrIKsEEEESL_NS6_8equal_toIsEEEENSG_9not_fun_tINSD_8identityEEEEENSD_19counting_iterator_tIlEES8_S8_S8_S8_S8_S8_S8_S8_EEEEPS9_S9_NSD_9__find_if7functorIS9_EEEE10hipError_tPvRmT1_T2_T3_mT4_P12ihipStream_tbEUlT_E0_NS1_11comp_targetILNS1_3genE0ELNS1_11target_archE4294967295ELNS1_3gpuE0ELNS1_3repE0EEENS1_30default_config_static_selectorELNS0_4arch9wavefront6targetE0EEEvS14_
	.globl	_ZN7rocprim17ROCPRIM_400000_NS6detail17trampoline_kernelINS0_14default_configENS1_22reduce_config_selectorIN6thrust23THRUST_200600_302600_NS5tupleIblNS6_9null_typeES8_S8_S8_S8_S8_S8_S8_EEEEZNS1_11reduce_implILb1ES3_NS6_12zip_iteratorINS7_INS6_11hip_rocprim26transform_input_iterator_tIbNSD_35transform_pair_of_input_iterators_tIbNS6_6detail15normal_iteratorINS6_10device_ptrIKsEEEESL_NS6_8equal_toIsEEEENSG_9not_fun_tINSD_8identityEEEEENSD_19counting_iterator_tIlEES8_S8_S8_S8_S8_S8_S8_S8_EEEEPS9_S9_NSD_9__find_if7functorIS9_EEEE10hipError_tPvRmT1_T2_T3_mT4_P12ihipStream_tbEUlT_E0_NS1_11comp_targetILNS1_3genE0ELNS1_11target_archE4294967295ELNS1_3gpuE0ELNS1_3repE0EEENS1_30default_config_static_selectorELNS0_4arch9wavefront6targetE0EEEvS14_
	.p2align	8
	.type	_ZN7rocprim17ROCPRIM_400000_NS6detail17trampoline_kernelINS0_14default_configENS1_22reduce_config_selectorIN6thrust23THRUST_200600_302600_NS5tupleIblNS6_9null_typeES8_S8_S8_S8_S8_S8_S8_EEEEZNS1_11reduce_implILb1ES3_NS6_12zip_iteratorINS7_INS6_11hip_rocprim26transform_input_iterator_tIbNSD_35transform_pair_of_input_iterators_tIbNS6_6detail15normal_iteratorINS6_10device_ptrIKsEEEESL_NS6_8equal_toIsEEEENSG_9not_fun_tINSD_8identityEEEEENSD_19counting_iterator_tIlEES8_S8_S8_S8_S8_S8_S8_S8_EEEEPS9_S9_NSD_9__find_if7functorIS9_EEEE10hipError_tPvRmT1_T2_T3_mT4_P12ihipStream_tbEUlT_E0_NS1_11comp_targetILNS1_3genE0ELNS1_11target_archE4294967295ELNS1_3gpuE0ELNS1_3repE0EEENS1_30default_config_static_selectorELNS0_4arch9wavefront6targetE0EEEvS14_,@function
_ZN7rocprim17ROCPRIM_400000_NS6detail17trampoline_kernelINS0_14default_configENS1_22reduce_config_selectorIN6thrust23THRUST_200600_302600_NS5tupleIblNS6_9null_typeES8_S8_S8_S8_S8_S8_S8_EEEEZNS1_11reduce_implILb1ES3_NS6_12zip_iteratorINS7_INS6_11hip_rocprim26transform_input_iterator_tIbNSD_35transform_pair_of_input_iterators_tIbNS6_6detail15normal_iteratorINS6_10device_ptrIKsEEEESL_NS6_8equal_toIsEEEENSG_9not_fun_tINSD_8identityEEEEENSD_19counting_iterator_tIlEES8_S8_S8_S8_S8_S8_S8_S8_EEEEPS9_S9_NSD_9__find_if7functorIS9_EEEE10hipError_tPvRmT1_T2_T3_mT4_P12ihipStream_tbEUlT_E0_NS1_11comp_targetILNS1_3genE0ELNS1_11target_archE4294967295ELNS1_3gpuE0ELNS1_3repE0EEENS1_30default_config_static_selectorELNS0_4arch9wavefront6targetE0EEEvS14_: ; @_ZN7rocprim17ROCPRIM_400000_NS6detail17trampoline_kernelINS0_14default_configENS1_22reduce_config_selectorIN6thrust23THRUST_200600_302600_NS5tupleIblNS6_9null_typeES8_S8_S8_S8_S8_S8_S8_EEEEZNS1_11reduce_implILb1ES3_NS6_12zip_iteratorINS7_INS6_11hip_rocprim26transform_input_iterator_tIbNSD_35transform_pair_of_input_iterators_tIbNS6_6detail15normal_iteratorINS6_10device_ptrIKsEEEESL_NS6_8equal_toIsEEEENSG_9not_fun_tINSD_8identityEEEEENSD_19counting_iterator_tIlEES8_S8_S8_S8_S8_S8_S8_S8_EEEEPS9_S9_NSD_9__find_if7functorIS9_EEEE10hipError_tPvRmT1_T2_T3_mT4_P12ihipStream_tbEUlT_E0_NS1_11comp_targetILNS1_3genE0ELNS1_11target_archE4294967295ELNS1_3gpuE0ELNS1_3repE0EEENS1_30default_config_static_selectorELNS0_4arch9wavefront6targetE0EEEvS14_
; %bb.0:
	s_clause 0x2
	s_load_b256 s[4:11], s[0:1], 0x20
	s_load_b128 s[24:27], s[0:1], 0x0
	s_load_b128 s[12:15], s[0:1], 0x40
	s_bfe_u32 s3, ttmp6, 0x4000c
	s_and_b32 s2, ttmp6, 15
	s_add_co_i32 s3, s3, 1
	s_getreg_b32 s16, hwreg(HW_REG_IB_STS2, 6, 4)
	s_mul_i32 s3, ttmp9, s3
	s_mov_b32 s23, 0
	s_add_co_i32 s20, s2, s3
	v_mbcnt_lo_u32_b32 v8, -1, 0
	s_mov_b32 s17, s23
	s_wait_kmcnt 0x0
	s_lshl_b64 s[2:3], s[6:7], 1
	s_cmp_eq_u32 s16, 0
	s_add_nc_u64 s[18:19], s[24:25], s[2:3]
	s_cselect_b32 s16, ttmp9, s20
	s_add_nc_u64 s[2:3], s[26:27], s[2:3]
	s_lshl_b32 s22, s16, 8
	s_lshr_b64 s[20:21], s[8:9], 8
	s_lshl_b64 s[24:25], s[22:23], 1
	s_add_nc_u64 s[4:5], s[4:5], s[22:23]
	s_cmp_lg_u64 s[20:21], s[16:17]
	s_add_nc_u64 s[18:19], s[18:19], s[24:25]
	s_add_nc_u64 s[20:21], s[2:3], s[24:25]
	;; [unrolled: 1-line block ×3, first 2 shown]
	s_cbranch_scc0 .LBB298_10
; %bb.1:
	s_clause 0x3
	global_load_u16 v6, v0, s[18:19] scale_offset
	global_load_u16 v7, v0, s[20:21] scale_offset
	global_load_u16 v9, v0, s[20:21] offset:256 scale_offset
	global_load_u16 v10, v0, s[18:19] offset:256 scale_offset
	s_wait_loadcnt 0x2
	v_cmp_ne_u16_e32 vcc_lo, v6, v7
	v_mov_b32_e32 v1, 0
	s_wait_loadcnt 0x0
	v_cmp_ne_u16_e64 s2, v10, v9
	s_delay_alu instid0(VALU_DEP_2) | instskip(NEXT) | instid1(VALU_DEP_1)
	v_add_nc_u64_e32 v[2:3], s[6:7], v[0:1]
	v_add_nc_u64_e32 v[4:5], 0x80, v[2:3]
	s_delay_alu instid0(VALU_DEP_1) | instskip(NEXT) | instid1(VALU_DEP_1)
	v_cndmask_b32_e32 v3, v5, v3, vcc_lo
	v_mov_b32_dpp v5, v3 quad_perm:[1,0,3,2] row_mask:0xf bank_mask:0xf
	s_delay_alu instid0(VALU_DEP_3) | instskip(SKIP_3) | instid1(VALU_DEP_2)
	v_cndmask_b32_e32 v2, v4, v2, vcc_lo
	s_or_b32 vcc_lo, vcc_lo, s2
	s_mov_b32 s2, exec_lo
	v_cndmask_b32_e64 v9, 0, 1, vcc_lo
	v_mov_b32_dpp v4, v2 quad_perm:[1,0,3,2] row_mask:0xf bank_mask:0xf
	s_delay_alu instid0(VALU_DEP_2) | instskip(NEXT) | instid1(VALU_DEP_2)
	v_mov_b32_dpp v10, v9 quad_perm:[1,0,3,2] row_mask:0xf bank_mask:0xf
	v_min_i64 v[6:7], v[2:3], v[4:5]
	s_delay_alu instid0(VALU_DEP_1) | instskip(NEXT) | instid1(VALU_DEP_2)
	v_dual_cndmask_b32 v5, v5, v7, vcc_lo :: v_dual_bitop2_b32 v10, 1, v10 bitop3:0x40
	v_cndmask_b32_e32 v4, v4, v6, vcc_lo
	s_delay_alu instid0(VALU_DEP_2) | instskip(SKIP_1) | instid1(VALU_DEP_4)
	v_cmp_eq_u32_e32 vcc_lo, 1, v10
	v_cndmask_b32_e64 v9, v9, 1, vcc_lo
	v_cndmask_b32_e32 v3, v3, v5, vcc_lo
	s_delay_alu instid0(VALU_DEP_2) | instskip(SKIP_2) | instid1(VALU_DEP_4)
	v_and_b32_e32 v10, 1, v9
	v_mov_b32_dpp v11, v9 quad_perm:[2,3,0,1] row_mask:0xf bank_mask:0xf
	v_cndmask_b32_e32 v2, v2, v4, vcc_lo
	v_mov_b32_dpp v5, v3 quad_perm:[2,3,0,1] row_mask:0xf bank_mask:0xf
	s_delay_alu instid0(VALU_DEP_4) | instskip(NEXT) | instid1(VALU_DEP_4)
	v_cmp_eq_u32_e32 vcc_lo, 1, v10
	v_and_b32_e32 v10, 1, v11
	s_delay_alu instid0(VALU_DEP_4) | instskip(NEXT) | instid1(VALU_DEP_1)
	v_mov_b32_dpp v4, v2 quad_perm:[2,3,0,1] row_mask:0xf bank_mask:0xf
	v_min_i64 v[6:7], v[2:3], v[4:5]
	s_delay_alu instid0(VALU_DEP_1) | instskip(NEXT) | instid1(VALU_DEP_4)
	v_dual_cndmask_b32 v4, v4, v6 :: v_dual_cndmask_b32 v5, v5, v7
	v_cmp_eq_u32_e32 vcc_lo, 1, v10
	s_delay_alu instid0(VALU_DEP_2) | instskip(SKIP_1) | instid1(VALU_DEP_2)
	v_dual_cndmask_b32 v3, v3, v5 :: v_dual_cndmask_b32 v2, v2, v4
	v_cndmask_b32_e64 v9, v9, 1, vcc_lo
	v_mov_b32_dpp v5, v3 row_ror:4 row_mask:0xf bank_mask:0xf
	s_delay_alu instid0(VALU_DEP_3) | instskip(NEXT) | instid1(VALU_DEP_3)
	v_mov_b32_dpp v4, v2 row_ror:4 row_mask:0xf bank_mask:0xf
	v_mov_b32_dpp v11, v9 row_ror:4 row_mask:0xf bank_mask:0xf
	s_delay_alu instid0(VALU_DEP_2) | instskip(SKIP_1) | instid1(VALU_DEP_1)
	v_min_i64 v[6:7], v[2:3], v[4:5]
	v_and_b32_e32 v10, 1, v9
	v_cmp_eq_u32_e32 vcc_lo, 1, v10
	s_delay_alu instid0(VALU_DEP_3) | instskip(SKIP_1) | instid1(VALU_DEP_1)
	v_dual_cndmask_b32 v4, v4, v6 :: v_dual_cndmask_b32 v5, v5, v7
	v_and_b32_e32 v10, 1, v11
	v_cmp_eq_u32_e32 vcc_lo, 1, v10
	s_delay_alu instid0(VALU_DEP_3) | instskip(SKIP_1) | instid1(VALU_DEP_2)
	v_dual_cndmask_b32 v2, v2, v4 :: v_dual_cndmask_b32 v3, v3, v5
	v_cndmask_b32_e64 v9, v9, 1, vcc_lo
	v_mov_b32_dpp v4, v2 row_ror:8 row_mask:0xf bank_mask:0xf
	s_delay_alu instid0(VALU_DEP_3) | instskip(NEXT) | instid1(VALU_DEP_3)
	v_mov_b32_dpp v5, v3 row_ror:8 row_mask:0xf bank_mask:0xf
	v_mov_b32_dpp v11, v9 row_ror:8 row_mask:0xf bank_mask:0xf
	s_delay_alu instid0(VALU_DEP_2) | instskip(SKIP_1) | instid1(VALU_DEP_1)
	v_min_i64 v[6:7], v[2:3], v[4:5]
	v_and_b32_e32 v10, 1, v9
	v_cmp_eq_u32_e32 vcc_lo, 1, v10
	s_delay_alu instid0(VALU_DEP_3) | instskip(SKIP_1) | instid1(VALU_DEP_1)
	v_dual_cndmask_b32 v4, v4, v6 :: v_dual_cndmask_b32 v5, v5, v7
	v_and_b32_e32 v10, 1, v11
	v_cmp_eq_u32_e32 vcc_lo, 1, v10
	s_delay_alu instid0(VALU_DEP_3)
	v_dual_cndmask_b32 v2, v2, v4 :: v_dual_cndmask_b32 v3, v3, v5
	v_cndmask_b32_e64 v9, v9, 1, vcc_lo
	ds_swizzle_b32 v4, v2 offset:swizzle(BROADCAST,32,15)
	ds_swizzle_b32 v5, v3 offset:swizzle(BROADCAST,32,15)
	;; [unrolled: 1-line block ×3, first 2 shown]
	s_wait_dscnt 0x1
	v_min_i64 v[6:7], v[2:3], v[4:5]
	v_and_b32_e32 v11, 1, v9
	s_delay_alu instid0(VALU_DEP_1) | instskip(SKIP_1) | instid1(VALU_DEP_3)
	v_cmp_eq_u32_e32 vcc_lo, 1, v11
	s_wait_dscnt 0x0
	v_dual_cndmask_b32 v5, v5, v7, vcc_lo :: v_dual_bitop2_b32 v10, 1, v10 bitop3:0x40
	s_delay_alu instid0(VALU_DEP_4) | instskip(NEXT) | instid1(VALU_DEP_2)
	v_cndmask_b32_e32 v4, v4, v6, vcc_lo
	v_cmp_eq_u32_e32 vcc_lo, 1, v10
	s_delay_alu instid0(VALU_DEP_2)
	v_dual_cndmask_b32 v3, v3, v5 :: v_dual_cndmask_b32 v2, v2, v4
	v_cndmask_b32_e64 v5, v9, 1, vcc_lo
	ds_bpermute_b32 v3, v1, v3 offset:124
	ds_bpermute_b32 v2, v1, v2 offset:124
	;; [unrolled: 1-line block ×3, first 2 shown]
	v_cmpx_eq_u32_e32 0, v8
	s_cbranch_execz .LBB298_3
; %bb.2:
	v_lshrrev_b32_e32 v1, 1, v0
	s_delay_alu instid0(VALU_DEP_1)
	v_and_b32_e32 v1, 48, v1
	s_wait_dscnt 0x0
	ds_store_b8 v1, v6
	ds_store_b64 v1, v[2:3] offset:8
.LBB298_3:
	s_or_b32 exec_lo, exec_lo, s2
	s_delay_alu instid0(SALU_CYCLE_1)
	s_mov_b32 s2, exec_lo
	s_wait_dscnt 0x0
	s_barrier_signal -1
	s_barrier_wait -1
	v_cmpx_gt_u32_e32 32, v0
	s_cbranch_execz .LBB298_9
; %bb.4:
	v_and_b32_e32 v2, 3, v8
	s_delay_alu instid0(VALU_DEP_1) | instskip(SKIP_2) | instid1(VALU_DEP_1)
	v_cmp_ne_u32_e32 vcc_lo, 3, v2
	v_lshlrev_b32_e32 v3, 4, v2
	v_add_co_ci_u32_e64 v2, null, 0, v8, vcc_lo
	v_lshlrev_b32_e32 v2, 2, v2
	ds_load_u8 v1, v3
	ds_load_b64 v[4:5], v3 offset:8
	s_wait_dscnt 0x1
	v_and_b32_e32 v3, 0xff, v1
	s_wait_dscnt 0x0
	ds_bpermute_b32 v6, v2, v4
	ds_bpermute_b32 v7, v2, v5
	ds_bpermute_b32 v9, v2, v3
	s_wait_dscnt 0x0
	v_and_b32_e32 v2, v1, v9
	s_delay_alu instid0(VALU_DEP_1) | instskip(NEXT) | instid1(VALU_DEP_1)
	v_and_b32_e32 v2, 1, v2
	v_cmp_eq_u32_e32 vcc_lo, 1, v2
                                        ; implicit-def: $vgpr2_vgpr3
	s_and_saveexec_b32 s3, vcc_lo
	s_delay_alu instid0(SALU_CYCLE_1)
	s_xor_b32 s3, exec_lo, s3
; %bb.5:
	v_min_i64 v[2:3], v[6:7], v[4:5]
                                        ; implicit-def: $vgpr1
                                        ; implicit-def: $vgpr6_vgpr7
                                        ; implicit-def: $vgpr4_vgpr5
                                        ; implicit-def: $vgpr9
; %bb.6:
	s_or_saveexec_b32 s3, s3
	v_dual_mov_b32 v11, 1 :: v_dual_lshlrev_b32 v10, 2, v8
	s_xor_b32 exec_lo, exec_lo, s3
; %bb.7:
	v_and_b32_e32 v1, 1, v1
	s_delay_alu instid0(VALU_DEP_1) | instskip(SKIP_2) | instid1(VALU_DEP_2)
	v_cmp_eq_u32_e32 vcc_lo, 1, v1
	v_and_b32_e32 v1, 0xff, v9
	v_dual_cndmask_b32 v3, v7, v5 :: v_dual_cndmask_b32 v2, v6, v4
	v_cndmask_b32_e64 v11, v1, 1, vcc_lo
; %bb.8:
	s_or_b32 exec_lo, exec_lo, s3
	s_delay_alu instid0(VALU_DEP_1) | instskip(NEXT) | instid1(VALU_DEP_1)
	v_and_b32_e32 v6, 1, v11
	v_cmp_eq_u32_e32 vcc_lo, 1, v6
	v_or_b32_e32 v1, 8, v10
	ds_bpermute_b32 v4, v1, v2
	ds_bpermute_b32 v5, v1, v3
	s_wait_dscnt 0x0
	v_min_i64 v[12:13], v[4:5], v[2:3]
	v_cndmask_b32_e32 v3, v5, v3, vcc_lo
	ds_bpermute_b32 v1, v1, v11
	v_cndmask_b32_e32 v2, v4, v2, vcc_lo
	s_wait_dscnt 0x0
	v_bitop3_b32 v6, v11, 1, v1 bitop3:0x80
	v_cndmask_b32_e64 v1, v1, 1, vcc_lo
	s_delay_alu instid0(VALU_DEP_2) | instskip(NEXT) | instid1(VALU_DEP_2)
	v_cmp_eq_u32_e32 vcc_lo, 0, v6
	v_dual_cndmask_b32 v6, 1, v1 :: v_dual_cndmask_b32 v3, v13, v3
	v_cndmask_b32_e32 v2, v12, v2, vcc_lo
.LBB298_9:
	s_or_b32 exec_lo, exec_lo, s2
	s_load_b64 s[4:5], s[0:1], 0x58
	s_branch .LBB298_34
.LBB298_10:
                                        ; implicit-def: $vgpr2_vgpr3
                                        ; implicit-def: $vgpr6
	s_load_b64 s[4:5], s[0:1], 0x58
	s_cbranch_execz .LBB298_34
; %bb.11:
	v_mov_b64_e32 v[4:5], 0
	v_mov_b64_e32 v[2:3], 0
	v_dual_mov_b32 v7, 0 :: v_dual_mov_b32 v1, 0
	s_sub_co_i32 s22, s8, s22
	s_mov_b32 s2, exec_lo
	v_cmpx_gt_u32_e64 s22, v0
	s_cbranch_execz .LBB298_13
; %bb.12:
	s_clause 0x1
	global_load_u16 v6, v0, s[18:19] scale_offset
	global_load_u16 v9, v0, s[20:21] scale_offset
	v_mov_b32_e32 v1, 0
	s_delay_alu instid0(VALU_DEP_1)
	v_add_nc_u64_e32 v[2:3], s[6:7], v[0:1]
	s_wait_loadcnt 0x0
	v_cmp_ne_u16_e32 vcc_lo, v6, v9
	v_cndmask_b32_e64 v1, 0, 1, vcc_lo
.LBB298_13:
	s_or_b32 exec_lo, exec_lo, s2
	v_or_b32_e32 v6, 0x80, v0
	s_delay_alu instid0(VALU_DEP_1)
	v_cmp_gt_u32_e32 vcc_lo, s22, v6
	s_and_saveexec_b32 s3, vcc_lo
	s_cbranch_execz .LBB298_15
; %bb.14:
	s_clause 0x1
	global_load_u16 v9, v0, s[18:19] offset:256 scale_offset
	global_load_u16 v10, v0, s[20:21] offset:256 scale_offset
	v_mov_b32_e32 v7, 0
	s_delay_alu instid0(VALU_DEP_1) | instskip(SKIP_2) | instid1(VALU_DEP_1)
	v_add_nc_u64_e32 v[4:5], s[6:7], v[6:7]
	s_wait_loadcnt 0x0
	v_cmp_ne_u16_e64 s2, v9, v10
	v_cndmask_b32_e64 v7, 0, 1, s2
.LBB298_15:
	s_or_b32 exec_lo, exec_lo, s3
	s_delay_alu instid0(VALU_DEP_3) | instskip(NEXT) | instid1(VALU_DEP_2)
	v_min_i64 v[10:11], v[4:5], v[2:3]
	v_and_b32_e32 v6, 1, v7
	s_mov_b32 s6, exec_lo
	s_delay_alu instid0(VALU_DEP_1) | instskip(SKIP_3) | instid1(VALU_DEP_4)
	v_cmp_eq_u32_e64 s2, 1, v6
	v_and_b32_e32 v9, 1, v1
	v_and_b32_e32 v6, 0xffff, v7
	;; [unrolled: 1-line block ×3, first 2 shown]
	v_cndmask_b32_e64 v7, v3, v11, s2
	s_delay_alu instid0(VALU_DEP_4) | instskip(SKIP_2) | instid1(VALU_DEP_3)
	v_cmp_eq_u32_e64 s3, 1, v9
	v_cndmask_b32_e64 v9, v2, v10, s2
	v_cmp_ne_u32_e64 s2, 31, v8
	v_cndmask_b32_e64 v6, v6, 1, s3
	s_delay_alu instid0(VALU_DEP_3) | instskip(NEXT) | instid1(VALU_DEP_3)
	v_dual_cndmask_b32 v4, v4, v9, s3 :: v_dual_cndmask_b32 v5, v5, v7, s3
	v_add_co_ci_u32_e64 v10, null, 0, v8, s2
	s_delay_alu instid0(VALU_DEP_2) | instskip(NEXT) | instid1(VALU_DEP_2)
	v_dual_cndmask_b32 v6, v1, v6, vcc_lo :: v_dual_cndmask_b32 v2, v2, v4, vcc_lo
	v_dual_cndmask_b32 v3, v3, v5, vcc_lo :: v_dual_lshlrev_b32 v9, 2, v10
	v_and_b32_e32 v1, 0x60, v0
	s_min_u32 s3, s22, 0x80
	ds_bpermute_b32 v7, v9, v6
	ds_bpermute_b32 v4, v9, v2
	;; [unrolled: 1-line block ×3, first 2 shown]
	v_sub_nc_u32_e64 v1, s3, v1 clamp
	v_add_nc_u32_e32 v9, 1, v8
	s_delay_alu instid0(VALU_DEP_1)
	v_cmpx_lt_u32_e64 v9, v1
	s_cbranch_execz .LBB298_17
; %bb.16:
	s_wait_dscnt 0x0
	v_min_i64 v[10:11], v[4:5], v[2:3]
	v_and_b32_e32 v9, 1, v6
	s_delay_alu instid0(VALU_DEP_1) | instskip(SKIP_3) | instid1(VALU_DEP_3)
	v_cmp_eq_u32_e32 vcc_lo, 1, v9
	v_and_b32_e32 v6, v6, v7
	v_and_b32_e32 v7, 0xff, v7
	v_dual_cndmask_b32 v2, v4, v2 :: v_dual_cndmask_b32 v3, v5, v3
	v_cmp_eq_u32_e64 s2, 0, v6
	s_delay_alu instid0(VALU_DEP_3) | instskip(NEXT) | instid1(VALU_DEP_1)
	v_cndmask_b32_e64 v4, v7, 1, vcc_lo
	v_dual_cndmask_b32 v6, 1, v4, s2 :: v_dual_cndmask_b32 v3, v11, v3, s2
	s_delay_alu instid0(VALU_DEP_4)
	v_cndmask_b32_e64 v2, v10, v2, s2
.LBB298_17:
	s_or_b32 exec_lo, exec_lo, s6
	v_cmp_gt_u32_e32 vcc_lo, 30, v8
	v_add_nc_u32_e32 v9, 2, v8
	s_mov_b32 s6, exec_lo
	s_wait_dscnt 0x1
	v_cndmask_b32_e64 v4, 0, 2, vcc_lo
	s_wait_dscnt 0x0
	s_delay_alu instid0(VALU_DEP_1)
	v_add_lshl_u32 v5, v4, v8, 2
	ds_bpermute_b32 v7, v5, v6
	ds_bpermute_b32 v4, v5, v2
	ds_bpermute_b32 v5, v5, v3
	v_cmpx_lt_u32_e64 v9, v1
	s_cbranch_execz .LBB298_19
; %bb.18:
	s_wait_dscnt 0x0
	v_min_i64 v[10:11], v[4:5], v[2:3]
	v_and_b32_e32 v9, 1, v6
	v_bitop3_b32 v6, v6, 1, v7 bitop3:0x80
	v_and_b32_e32 v7, 0xff, v7
	s_delay_alu instid0(VALU_DEP_3) | instskip(NEXT) | instid1(VALU_DEP_3)
	v_cmp_eq_u32_e32 vcc_lo, 1, v9
	v_cmp_eq_u32_e64 s2, 0, v6
	v_dual_cndmask_b32 v3, v5, v3 :: v_dual_cndmask_b32 v2, v4, v2
	s_delay_alu instid0(VALU_DEP_4) | instskip(NEXT) | instid1(VALU_DEP_1)
	v_cndmask_b32_e64 v4, v7, 1, vcc_lo
	v_dual_cndmask_b32 v6, 1, v4, s2 :: v_dual_cndmask_b32 v3, v11, v3, s2
	s_delay_alu instid0(VALU_DEP_3)
	v_cndmask_b32_e64 v2, v10, v2, s2
.LBB298_19:
	s_or_b32 exec_lo, exec_lo, s6
	v_cmp_gt_u32_e32 vcc_lo, 28, v8
	v_add_nc_u32_e32 v9, 4, v8
	s_mov_b32 s6, exec_lo
	s_wait_dscnt 0x1
	v_cndmask_b32_e64 v4, 0, 4, vcc_lo
	s_wait_dscnt 0x0
	s_delay_alu instid0(VALU_DEP_1)
	v_add_lshl_u32 v5, v4, v8, 2
	ds_bpermute_b32 v7, v5, v6
	ds_bpermute_b32 v4, v5, v2
	ds_bpermute_b32 v5, v5, v3
	v_cmpx_lt_u32_e64 v9, v1
	s_cbranch_execz .LBB298_21
; %bb.20:
	s_wait_dscnt 0x0
	v_min_i64 v[10:11], v[4:5], v[2:3]
	v_and_b32_e32 v9, 1, v6
	v_bitop3_b32 v6, v6, 1, v7 bitop3:0x80
	v_and_b32_e32 v7, 0xff, v7
	s_delay_alu instid0(VALU_DEP_3) | instskip(NEXT) | instid1(VALU_DEP_3)
	v_cmp_eq_u32_e32 vcc_lo, 1, v9
	v_cmp_eq_u32_e64 s2, 0, v6
	v_dual_cndmask_b32 v3, v5, v3 :: v_dual_cndmask_b32 v2, v4, v2
	s_delay_alu instid0(VALU_DEP_4) | instskip(NEXT) | instid1(VALU_DEP_1)
	v_cndmask_b32_e64 v4, v7, 1, vcc_lo
	v_dual_cndmask_b32 v6, 1, v4, s2 :: v_dual_cndmask_b32 v3, v11, v3, s2
	s_delay_alu instid0(VALU_DEP_3)
	v_cndmask_b32_e64 v2, v10, v2, s2
.LBB298_21:
	;; [unrolled: 30-line block ×3, first 2 shown]
	s_or_b32 exec_lo, exec_lo, s6
	s_wait_dscnt 0x2
	v_dual_lshlrev_b32 v7, 2, v8 :: v_dual_add_nc_u32 v10, 16, v8
	s_wait_dscnt 0x0
	s_delay_alu instid0(VALU_DEP_1) | instskip(NEXT) | instid1(VALU_DEP_2)
	v_or_b32_e32 v5, 64, v7
	v_cmp_lt_u32_e32 vcc_lo, v10, v1
	v_mov_b32_e32 v1, v6
	ds_bpermute_b32 v9, v5, v6
	ds_bpermute_b32 v4, v5, v2
	;; [unrolled: 1-line block ×3, first 2 shown]
	s_and_saveexec_b32 s6, vcc_lo
	s_cbranch_execz .LBB298_25
; %bb.24:
	s_wait_dscnt 0x0
	v_min_i64 v[10:11], v[4:5], v[2:3]
	v_and_b32_e32 v1, 1, v6
	v_bitop3_b32 v6, v6, 1, v9 bitop3:0x80
	s_delay_alu instid0(VALU_DEP_2) | instskip(NEXT) | instid1(VALU_DEP_2)
	v_cmp_eq_u32_e32 vcc_lo, 1, v1
	v_cmp_eq_u32_e64 s2, 0, v6
	v_cndmask_b32_e64 v1, v9, 1, vcc_lo
	v_dual_cndmask_b32 v3, v5, v3 :: v_dual_cndmask_b32 v2, v4, v2
	s_delay_alu instid0(VALU_DEP_2) | instskip(NEXT) | instid1(VALU_DEP_1)
	v_cndmask_b32_e64 v1, 1, v1, s2
	v_and_b32_e32 v6, 0xff, v1
	s_delay_alu instid0(VALU_DEP_3)
	v_dual_cndmask_b32 v3, v11, v3, s2 :: v_dual_cndmask_b32 v2, v10, v2, s2
.LBB298_25:
	s_or_b32 exec_lo, exec_lo, s6
	s_delay_alu instid0(SALU_CYCLE_1)
	s_mov_b32 s2, exec_lo
	v_cmpx_eq_u32_e32 0, v8
	s_cbranch_execz .LBB298_27
; %bb.26:
	s_wait_dscnt 0x1
	v_lshrrev_b32_e32 v4, 1, v0
	s_delay_alu instid0(VALU_DEP_1)
	v_and_b32_e32 v4, 48, v4
	ds_store_b8 v4, v1 offset:64
	ds_store_b64 v4, v[2:3] offset:72
.LBB298_27:
	s_or_b32 exec_lo, exec_lo, s2
	s_delay_alu instid0(SALU_CYCLE_1)
	s_mov_b32 s6, exec_lo
	s_wait_dscnt 0x0
	s_barrier_signal -1
	s_barrier_wait -1
	v_cmpx_gt_u32_e32 4, v0
	s_cbranch_execz .LBB298_33
; %bb.28:
	v_lshlrev_b32_e32 v1, 4, v8
	s_add_co_i32 s3, s3, 31
	s_mov_b32 s7, exec_lo
	s_lshr_b32 s3, s3, 5
	ds_load_u8 v9, v1 offset:64
	ds_load_b64 v[2:3], v1 offset:72
	v_and_b32_e32 v1, 3, v8
	s_delay_alu instid0(VALU_DEP_1) | instskip(SKIP_2) | instid1(VALU_DEP_1)
	v_cmp_ne_u32_e32 vcc_lo, 3, v1
	v_add_nc_u32_e32 v10, 1, v1
	v_add_co_ci_u32_e64 v4, null, 0, v8, vcc_lo
	v_lshlrev_b32_e32 v5, 2, v4
	s_wait_dscnt 0x1
	v_and_b32_e32 v6, 0xff, v9
	s_wait_dscnt 0x0
	ds_bpermute_b32 v4, v5, v2
	ds_bpermute_b32 v8, v5, v6
	;; [unrolled: 1-line block ×3, first 2 shown]
	v_cmpx_gt_u32_e64 s3, v10
	s_cbranch_execz .LBB298_30
; %bb.29:
	s_wait_dscnt 0x0
	v_min_i64 v[10:11], v[4:5], v[2:3]
	v_and_b32_e32 v9, 1, v9
	v_bitop3_b32 v6, v6, 1, v8 bitop3:0x80
	v_and_b32_e32 v8, 0xff, v8
	s_delay_alu instid0(VALU_DEP_3) | instskip(NEXT) | instid1(VALU_DEP_3)
	v_cmp_eq_u32_e32 vcc_lo, 1, v9
	v_cmp_eq_u32_e64 s2, 0, v6
	v_dual_cndmask_b32 v2, v4, v2 :: v_dual_cndmask_b32 v3, v5, v3
	s_delay_alu instid0(VALU_DEP_4) | instskip(NEXT) | instid1(VALU_DEP_1)
	v_cndmask_b32_e64 v4, v8, 1, vcc_lo
	v_dual_cndmask_b32 v6, 1, v4, s2 :: v_dual_cndmask_b32 v2, v10, v2, s2
	s_delay_alu instid0(VALU_DEP_3)
	v_cndmask_b32_e64 v3, v11, v3, s2
.LBB298_30:
	s_or_b32 exec_lo, exec_lo, s7
	s_wait_dscnt 0x0
	v_dual_add_nc_u32 v1, 2, v1 :: v_dual_bitop2_b32 v5, 8, v7 bitop3:0x54
	ds_bpermute_b32 v7, v5, v6
	ds_bpermute_b32 v4, v5, v2
	;; [unrolled: 1-line block ×3, first 2 shown]
	v_cmp_gt_u32_e32 vcc_lo, s3, v1
	s_and_saveexec_b32 s3, vcc_lo
	s_cbranch_execz .LBB298_32
; %bb.31:
	s_wait_dscnt 0x0
	v_min_i64 v[8:9], v[4:5], v[2:3]
	v_and_b32_e32 v1, 1, v6
	s_delay_alu instid0(VALU_DEP_1) | instskip(SKIP_2) | instid1(VALU_DEP_2)
	v_cmp_eq_u32_e32 vcc_lo, 1, v1
	v_bitop3_b32 v1, v6, 1, v7 bitop3:0x80
	v_cndmask_b32_e32 v3, v5, v3, vcc_lo
	v_cmp_eq_u32_e64 s2, 0, v1
	v_cndmask_b32_e32 v2, v4, v2, vcc_lo
	v_cndmask_b32_e64 v1, v7, 1, vcc_lo
	s_delay_alu instid0(VALU_DEP_1) | instskip(NEXT) | instid1(VALU_DEP_3)
	v_dual_cndmask_b32 v6, 1, v1, s2 :: v_dual_cndmask_b32 v3, v9, v3, s2
	v_cndmask_b32_e64 v2, v8, v2, s2
.LBB298_32:
	s_or_b32 exec_lo, exec_lo, s3
.LBB298_33:
	s_delay_alu instid0(SALU_CYCLE_1)
	s_or_b32 exec_lo, exec_lo, s6
.LBB298_34:
	s_wait_xcnt 0x0
	s_load_b32 s0, s[0:1], 0x50
	s_wait_xcnt 0x0
	s_mov_b32 s1, exec_lo
	v_cmpx_eq_u32_e32 0, v0
	s_cbranch_execz .LBB298_36
; %bb.35:
	s_mul_u64 s[2:3], s[14:15], s[12:13]
	s_delay_alu instid0(SALU_CYCLE_1)
	s_lshl_b64 s[2:3], s[2:3], 4
	s_cmp_eq_u64 s[8:9], 0
	s_add_nc_u64 s[2:3], s[10:11], s[2:3]
	s_cselect_b32 s1, -1, 0
	s_wait_kmcnt 0x0
	v_cndmask_b32_e64 v1, v3, s5, s1
	v_cndmask_b32_e64 v0, v2, s4, s1
	;; [unrolled: 1-line block ×3, first 2 shown]
	v_mov_b32_e32 v3, 0
	s_lshl_b64 s[0:1], s[16:17], 4
	s_delay_alu instid0(SALU_CYCLE_1)
	s_add_nc_u64 s[0:1], s[2:3], s[0:1]
	s_clause 0x1
	global_store_b8 v3, v2, s[0:1]
	global_store_b64 v3, v[0:1], s[0:1] offset:8
.LBB298_36:
	s_endpgm
	.section	.rodata,"a",@progbits
	.p2align	6, 0x0
	.amdhsa_kernel _ZN7rocprim17ROCPRIM_400000_NS6detail17trampoline_kernelINS0_14default_configENS1_22reduce_config_selectorIN6thrust23THRUST_200600_302600_NS5tupleIblNS6_9null_typeES8_S8_S8_S8_S8_S8_S8_EEEEZNS1_11reduce_implILb1ES3_NS6_12zip_iteratorINS7_INS6_11hip_rocprim26transform_input_iterator_tIbNSD_35transform_pair_of_input_iterators_tIbNS6_6detail15normal_iteratorINS6_10device_ptrIKsEEEESL_NS6_8equal_toIsEEEENSG_9not_fun_tINSD_8identityEEEEENSD_19counting_iterator_tIlEES8_S8_S8_S8_S8_S8_S8_S8_EEEEPS9_S9_NSD_9__find_if7functorIS9_EEEE10hipError_tPvRmT1_T2_T3_mT4_P12ihipStream_tbEUlT_E0_NS1_11comp_targetILNS1_3genE0ELNS1_11target_archE4294967295ELNS1_3gpuE0ELNS1_3repE0EEENS1_30default_config_static_selectorELNS0_4arch9wavefront6targetE0EEEvS14_
		.amdhsa_group_segment_fixed_size 128
		.amdhsa_private_segment_fixed_size 0
		.amdhsa_kernarg_size 104
		.amdhsa_user_sgpr_count 2
		.amdhsa_user_sgpr_dispatch_ptr 0
		.amdhsa_user_sgpr_queue_ptr 0
		.amdhsa_user_sgpr_kernarg_segment_ptr 1
		.amdhsa_user_sgpr_dispatch_id 0
		.amdhsa_user_sgpr_kernarg_preload_length 0
		.amdhsa_user_sgpr_kernarg_preload_offset 0
		.amdhsa_user_sgpr_private_segment_size 0
		.amdhsa_wavefront_size32 1
		.amdhsa_uses_dynamic_stack 0
		.amdhsa_enable_private_segment 0
		.amdhsa_system_sgpr_workgroup_id_x 1
		.amdhsa_system_sgpr_workgroup_id_y 0
		.amdhsa_system_sgpr_workgroup_id_z 0
		.amdhsa_system_sgpr_workgroup_info 0
		.amdhsa_system_vgpr_workitem_id 0
		.amdhsa_next_free_vgpr 14
		.amdhsa_next_free_sgpr 28
		.amdhsa_named_barrier_count 0
		.amdhsa_reserve_vcc 1
		.amdhsa_float_round_mode_32 0
		.amdhsa_float_round_mode_16_64 0
		.amdhsa_float_denorm_mode_32 3
		.amdhsa_float_denorm_mode_16_64 3
		.amdhsa_fp16_overflow 0
		.amdhsa_memory_ordered 1
		.amdhsa_forward_progress 1
		.amdhsa_inst_pref_size 23
		.amdhsa_round_robin_scheduling 0
		.amdhsa_exception_fp_ieee_invalid_op 0
		.amdhsa_exception_fp_denorm_src 0
		.amdhsa_exception_fp_ieee_div_zero 0
		.amdhsa_exception_fp_ieee_overflow 0
		.amdhsa_exception_fp_ieee_underflow 0
		.amdhsa_exception_fp_ieee_inexact 0
		.amdhsa_exception_int_div_zero 0
	.end_amdhsa_kernel
	.section	.text._ZN7rocprim17ROCPRIM_400000_NS6detail17trampoline_kernelINS0_14default_configENS1_22reduce_config_selectorIN6thrust23THRUST_200600_302600_NS5tupleIblNS6_9null_typeES8_S8_S8_S8_S8_S8_S8_EEEEZNS1_11reduce_implILb1ES3_NS6_12zip_iteratorINS7_INS6_11hip_rocprim26transform_input_iterator_tIbNSD_35transform_pair_of_input_iterators_tIbNS6_6detail15normal_iteratorINS6_10device_ptrIKsEEEESL_NS6_8equal_toIsEEEENSG_9not_fun_tINSD_8identityEEEEENSD_19counting_iterator_tIlEES8_S8_S8_S8_S8_S8_S8_S8_EEEEPS9_S9_NSD_9__find_if7functorIS9_EEEE10hipError_tPvRmT1_T2_T3_mT4_P12ihipStream_tbEUlT_E0_NS1_11comp_targetILNS1_3genE0ELNS1_11target_archE4294967295ELNS1_3gpuE0ELNS1_3repE0EEENS1_30default_config_static_selectorELNS0_4arch9wavefront6targetE0EEEvS14_,"axG",@progbits,_ZN7rocprim17ROCPRIM_400000_NS6detail17trampoline_kernelINS0_14default_configENS1_22reduce_config_selectorIN6thrust23THRUST_200600_302600_NS5tupleIblNS6_9null_typeES8_S8_S8_S8_S8_S8_S8_EEEEZNS1_11reduce_implILb1ES3_NS6_12zip_iteratorINS7_INS6_11hip_rocprim26transform_input_iterator_tIbNSD_35transform_pair_of_input_iterators_tIbNS6_6detail15normal_iteratorINS6_10device_ptrIKsEEEESL_NS6_8equal_toIsEEEENSG_9not_fun_tINSD_8identityEEEEENSD_19counting_iterator_tIlEES8_S8_S8_S8_S8_S8_S8_S8_EEEEPS9_S9_NSD_9__find_if7functorIS9_EEEE10hipError_tPvRmT1_T2_T3_mT4_P12ihipStream_tbEUlT_E0_NS1_11comp_targetILNS1_3genE0ELNS1_11target_archE4294967295ELNS1_3gpuE0ELNS1_3repE0EEENS1_30default_config_static_selectorELNS0_4arch9wavefront6targetE0EEEvS14_,comdat
.Lfunc_end298:
	.size	_ZN7rocprim17ROCPRIM_400000_NS6detail17trampoline_kernelINS0_14default_configENS1_22reduce_config_selectorIN6thrust23THRUST_200600_302600_NS5tupleIblNS6_9null_typeES8_S8_S8_S8_S8_S8_S8_EEEEZNS1_11reduce_implILb1ES3_NS6_12zip_iteratorINS7_INS6_11hip_rocprim26transform_input_iterator_tIbNSD_35transform_pair_of_input_iterators_tIbNS6_6detail15normal_iteratorINS6_10device_ptrIKsEEEESL_NS6_8equal_toIsEEEENSG_9not_fun_tINSD_8identityEEEEENSD_19counting_iterator_tIlEES8_S8_S8_S8_S8_S8_S8_S8_EEEEPS9_S9_NSD_9__find_if7functorIS9_EEEE10hipError_tPvRmT1_T2_T3_mT4_P12ihipStream_tbEUlT_E0_NS1_11comp_targetILNS1_3genE0ELNS1_11target_archE4294967295ELNS1_3gpuE0ELNS1_3repE0EEENS1_30default_config_static_selectorELNS0_4arch9wavefront6targetE0EEEvS14_, .Lfunc_end298-_ZN7rocprim17ROCPRIM_400000_NS6detail17trampoline_kernelINS0_14default_configENS1_22reduce_config_selectorIN6thrust23THRUST_200600_302600_NS5tupleIblNS6_9null_typeES8_S8_S8_S8_S8_S8_S8_EEEEZNS1_11reduce_implILb1ES3_NS6_12zip_iteratorINS7_INS6_11hip_rocprim26transform_input_iterator_tIbNSD_35transform_pair_of_input_iterators_tIbNS6_6detail15normal_iteratorINS6_10device_ptrIKsEEEESL_NS6_8equal_toIsEEEENSG_9not_fun_tINSD_8identityEEEEENSD_19counting_iterator_tIlEES8_S8_S8_S8_S8_S8_S8_S8_EEEEPS9_S9_NSD_9__find_if7functorIS9_EEEE10hipError_tPvRmT1_T2_T3_mT4_P12ihipStream_tbEUlT_E0_NS1_11comp_targetILNS1_3genE0ELNS1_11target_archE4294967295ELNS1_3gpuE0ELNS1_3repE0EEENS1_30default_config_static_selectorELNS0_4arch9wavefront6targetE0EEEvS14_
                                        ; -- End function
	.set _ZN7rocprim17ROCPRIM_400000_NS6detail17trampoline_kernelINS0_14default_configENS1_22reduce_config_selectorIN6thrust23THRUST_200600_302600_NS5tupleIblNS6_9null_typeES8_S8_S8_S8_S8_S8_S8_EEEEZNS1_11reduce_implILb1ES3_NS6_12zip_iteratorINS7_INS6_11hip_rocprim26transform_input_iterator_tIbNSD_35transform_pair_of_input_iterators_tIbNS6_6detail15normal_iteratorINS6_10device_ptrIKsEEEESL_NS6_8equal_toIsEEEENSG_9not_fun_tINSD_8identityEEEEENSD_19counting_iterator_tIlEES8_S8_S8_S8_S8_S8_S8_S8_EEEEPS9_S9_NSD_9__find_if7functorIS9_EEEE10hipError_tPvRmT1_T2_T3_mT4_P12ihipStream_tbEUlT_E0_NS1_11comp_targetILNS1_3genE0ELNS1_11target_archE4294967295ELNS1_3gpuE0ELNS1_3repE0EEENS1_30default_config_static_selectorELNS0_4arch9wavefront6targetE0EEEvS14_.num_vgpr, 14
	.set _ZN7rocprim17ROCPRIM_400000_NS6detail17trampoline_kernelINS0_14default_configENS1_22reduce_config_selectorIN6thrust23THRUST_200600_302600_NS5tupleIblNS6_9null_typeES8_S8_S8_S8_S8_S8_S8_EEEEZNS1_11reduce_implILb1ES3_NS6_12zip_iteratorINS7_INS6_11hip_rocprim26transform_input_iterator_tIbNSD_35transform_pair_of_input_iterators_tIbNS6_6detail15normal_iteratorINS6_10device_ptrIKsEEEESL_NS6_8equal_toIsEEEENSG_9not_fun_tINSD_8identityEEEEENSD_19counting_iterator_tIlEES8_S8_S8_S8_S8_S8_S8_S8_EEEEPS9_S9_NSD_9__find_if7functorIS9_EEEE10hipError_tPvRmT1_T2_T3_mT4_P12ihipStream_tbEUlT_E0_NS1_11comp_targetILNS1_3genE0ELNS1_11target_archE4294967295ELNS1_3gpuE0ELNS1_3repE0EEENS1_30default_config_static_selectorELNS0_4arch9wavefront6targetE0EEEvS14_.num_agpr, 0
	.set _ZN7rocprim17ROCPRIM_400000_NS6detail17trampoline_kernelINS0_14default_configENS1_22reduce_config_selectorIN6thrust23THRUST_200600_302600_NS5tupleIblNS6_9null_typeES8_S8_S8_S8_S8_S8_S8_EEEEZNS1_11reduce_implILb1ES3_NS6_12zip_iteratorINS7_INS6_11hip_rocprim26transform_input_iterator_tIbNSD_35transform_pair_of_input_iterators_tIbNS6_6detail15normal_iteratorINS6_10device_ptrIKsEEEESL_NS6_8equal_toIsEEEENSG_9not_fun_tINSD_8identityEEEEENSD_19counting_iterator_tIlEES8_S8_S8_S8_S8_S8_S8_S8_EEEEPS9_S9_NSD_9__find_if7functorIS9_EEEE10hipError_tPvRmT1_T2_T3_mT4_P12ihipStream_tbEUlT_E0_NS1_11comp_targetILNS1_3genE0ELNS1_11target_archE4294967295ELNS1_3gpuE0ELNS1_3repE0EEENS1_30default_config_static_selectorELNS0_4arch9wavefront6targetE0EEEvS14_.numbered_sgpr, 28
	.set _ZN7rocprim17ROCPRIM_400000_NS6detail17trampoline_kernelINS0_14default_configENS1_22reduce_config_selectorIN6thrust23THRUST_200600_302600_NS5tupleIblNS6_9null_typeES8_S8_S8_S8_S8_S8_S8_EEEEZNS1_11reduce_implILb1ES3_NS6_12zip_iteratorINS7_INS6_11hip_rocprim26transform_input_iterator_tIbNSD_35transform_pair_of_input_iterators_tIbNS6_6detail15normal_iteratorINS6_10device_ptrIKsEEEESL_NS6_8equal_toIsEEEENSG_9not_fun_tINSD_8identityEEEEENSD_19counting_iterator_tIlEES8_S8_S8_S8_S8_S8_S8_S8_EEEEPS9_S9_NSD_9__find_if7functorIS9_EEEE10hipError_tPvRmT1_T2_T3_mT4_P12ihipStream_tbEUlT_E0_NS1_11comp_targetILNS1_3genE0ELNS1_11target_archE4294967295ELNS1_3gpuE0ELNS1_3repE0EEENS1_30default_config_static_selectorELNS0_4arch9wavefront6targetE0EEEvS14_.num_named_barrier, 0
	.set _ZN7rocprim17ROCPRIM_400000_NS6detail17trampoline_kernelINS0_14default_configENS1_22reduce_config_selectorIN6thrust23THRUST_200600_302600_NS5tupleIblNS6_9null_typeES8_S8_S8_S8_S8_S8_S8_EEEEZNS1_11reduce_implILb1ES3_NS6_12zip_iteratorINS7_INS6_11hip_rocprim26transform_input_iterator_tIbNSD_35transform_pair_of_input_iterators_tIbNS6_6detail15normal_iteratorINS6_10device_ptrIKsEEEESL_NS6_8equal_toIsEEEENSG_9not_fun_tINSD_8identityEEEEENSD_19counting_iterator_tIlEES8_S8_S8_S8_S8_S8_S8_S8_EEEEPS9_S9_NSD_9__find_if7functorIS9_EEEE10hipError_tPvRmT1_T2_T3_mT4_P12ihipStream_tbEUlT_E0_NS1_11comp_targetILNS1_3genE0ELNS1_11target_archE4294967295ELNS1_3gpuE0ELNS1_3repE0EEENS1_30default_config_static_selectorELNS0_4arch9wavefront6targetE0EEEvS14_.private_seg_size, 0
	.set _ZN7rocprim17ROCPRIM_400000_NS6detail17trampoline_kernelINS0_14default_configENS1_22reduce_config_selectorIN6thrust23THRUST_200600_302600_NS5tupleIblNS6_9null_typeES8_S8_S8_S8_S8_S8_S8_EEEEZNS1_11reduce_implILb1ES3_NS6_12zip_iteratorINS7_INS6_11hip_rocprim26transform_input_iterator_tIbNSD_35transform_pair_of_input_iterators_tIbNS6_6detail15normal_iteratorINS6_10device_ptrIKsEEEESL_NS6_8equal_toIsEEEENSG_9not_fun_tINSD_8identityEEEEENSD_19counting_iterator_tIlEES8_S8_S8_S8_S8_S8_S8_S8_EEEEPS9_S9_NSD_9__find_if7functorIS9_EEEE10hipError_tPvRmT1_T2_T3_mT4_P12ihipStream_tbEUlT_E0_NS1_11comp_targetILNS1_3genE0ELNS1_11target_archE4294967295ELNS1_3gpuE0ELNS1_3repE0EEENS1_30default_config_static_selectorELNS0_4arch9wavefront6targetE0EEEvS14_.uses_vcc, 1
	.set _ZN7rocprim17ROCPRIM_400000_NS6detail17trampoline_kernelINS0_14default_configENS1_22reduce_config_selectorIN6thrust23THRUST_200600_302600_NS5tupleIblNS6_9null_typeES8_S8_S8_S8_S8_S8_S8_EEEEZNS1_11reduce_implILb1ES3_NS6_12zip_iteratorINS7_INS6_11hip_rocprim26transform_input_iterator_tIbNSD_35transform_pair_of_input_iterators_tIbNS6_6detail15normal_iteratorINS6_10device_ptrIKsEEEESL_NS6_8equal_toIsEEEENSG_9not_fun_tINSD_8identityEEEEENSD_19counting_iterator_tIlEES8_S8_S8_S8_S8_S8_S8_S8_EEEEPS9_S9_NSD_9__find_if7functorIS9_EEEE10hipError_tPvRmT1_T2_T3_mT4_P12ihipStream_tbEUlT_E0_NS1_11comp_targetILNS1_3genE0ELNS1_11target_archE4294967295ELNS1_3gpuE0ELNS1_3repE0EEENS1_30default_config_static_selectorELNS0_4arch9wavefront6targetE0EEEvS14_.uses_flat_scratch, 0
	.set _ZN7rocprim17ROCPRIM_400000_NS6detail17trampoline_kernelINS0_14default_configENS1_22reduce_config_selectorIN6thrust23THRUST_200600_302600_NS5tupleIblNS6_9null_typeES8_S8_S8_S8_S8_S8_S8_EEEEZNS1_11reduce_implILb1ES3_NS6_12zip_iteratorINS7_INS6_11hip_rocprim26transform_input_iterator_tIbNSD_35transform_pair_of_input_iterators_tIbNS6_6detail15normal_iteratorINS6_10device_ptrIKsEEEESL_NS6_8equal_toIsEEEENSG_9not_fun_tINSD_8identityEEEEENSD_19counting_iterator_tIlEES8_S8_S8_S8_S8_S8_S8_S8_EEEEPS9_S9_NSD_9__find_if7functorIS9_EEEE10hipError_tPvRmT1_T2_T3_mT4_P12ihipStream_tbEUlT_E0_NS1_11comp_targetILNS1_3genE0ELNS1_11target_archE4294967295ELNS1_3gpuE0ELNS1_3repE0EEENS1_30default_config_static_selectorELNS0_4arch9wavefront6targetE0EEEvS14_.has_dyn_sized_stack, 0
	.set _ZN7rocprim17ROCPRIM_400000_NS6detail17trampoline_kernelINS0_14default_configENS1_22reduce_config_selectorIN6thrust23THRUST_200600_302600_NS5tupleIblNS6_9null_typeES8_S8_S8_S8_S8_S8_S8_EEEEZNS1_11reduce_implILb1ES3_NS6_12zip_iteratorINS7_INS6_11hip_rocprim26transform_input_iterator_tIbNSD_35transform_pair_of_input_iterators_tIbNS6_6detail15normal_iteratorINS6_10device_ptrIKsEEEESL_NS6_8equal_toIsEEEENSG_9not_fun_tINSD_8identityEEEEENSD_19counting_iterator_tIlEES8_S8_S8_S8_S8_S8_S8_S8_EEEEPS9_S9_NSD_9__find_if7functorIS9_EEEE10hipError_tPvRmT1_T2_T3_mT4_P12ihipStream_tbEUlT_E0_NS1_11comp_targetILNS1_3genE0ELNS1_11target_archE4294967295ELNS1_3gpuE0ELNS1_3repE0EEENS1_30default_config_static_selectorELNS0_4arch9wavefront6targetE0EEEvS14_.has_recursion, 0
	.set _ZN7rocprim17ROCPRIM_400000_NS6detail17trampoline_kernelINS0_14default_configENS1_22reduce_config_selectorIN6thrust23THRUST_200600_302600_NS5tupleIblNS6_9null_typeES8_S8_S8_S8_S8_S8_S8_EEEEZNS1_11reduce_implILb1ES3_NS6_12zip_iteratorINS7_INS6_11hip_rocprim26transform_input_iterator_tIbNSD_35transform_pair_of_input_iterators_tIbNS6_6detail15normal_iteratorINS6_10device_ptrIKsEEEESL_NS6_8equal_toIsEEEENSG_9not_fun_tINSD_8identityEEEEENSD_19counting_iterator_tIlEES8_S8_S8_S8_S8_S8_S8_S8_EEEEPS9_S9_NSD_9__find_if7functorIS9_EEEE10hipError_tPvRmT1_T2_T3_mT4_P12ihipStream_tbEUlT_E0_NS1_11comp_targetILNS1_3genE0ELNS1_11target_archE4294967295ELNS1_3gpuE0ELNS1_3repE0EEENS1_30default_config_static_selectorELNS0_4arch9wavefront6targetE0EEEvS14_.has_indirect_call, 0
	.section	.AMDGPU.csdata,"",@progbits
; Kernel info:
; codeLenInByte = 2840
; TotalNumSgprs: 30
; NumVgprs: 14
; ScratchSize: 0
; MemoryBound: 0
; FloatMode: 240
; IeeeMode: 1
; LDSByteSize: 128 bytes/workgroup (compile time only)
; SGPRBlocks: 0
; VGPRBlocks: 0
; NumSGPRsForWavesPerEU: 30
; NumVGPRsForWavesPerEU: 14
; NamedBarCnt: 0
; Occupancy: 16
; WaveLimiterHint : 0
; COMPUTE_PGM_RSRC2:SCRATCH_EN: 0
; COMPUTE_PGM_RSRC2:USER_SGPR: 2
; COMPUTE_PGM_RSRC2:TRAP_HANDLER: 0
; COMPUTE_PGM_RSRC2:TGID_X_EN: 1
; COMPUTE_PGM_RSRC2:TGID_Y_EN: 0
; COMPUTE_PGM_RSRC2:TGID_Z_EN: 0
; COMPUTE_PGM_RSRC2:TIDIG_COMP_CNT: 0
	.section	.text._ZN7rocprim17ROCPRIM_400000_NS6detail17trampoline_kernelINS0_14default_configENS1_22reduce_config_selectorIN6thrust23THRUST_200600_302600_NS5tupleIblNS6_9null_typeES8_S8_S8_S8_S8_S8_S8_EEEEZNS1_11reduce_implILb1ES3_NS6_12zip_iteratorINS7_INS6_11hip_rocprim26transform_input_iterator_tIbNSD_35transform_pair_of_input_iterators_tIbNS6_6detail15normal_iteratorINS6_10device_ptrIKsEEEESL_NS6_8equal_toIsEEEENSG_9not_fun_tINSD_8identityEEEEENSD_19counting_iterator_tIlEES8_S8_S8_S8_S8_S8_S8_S8_EEEEPS9_S9_NSD_9__find_if7functorIS9_EEEE10hipError_tPvRmT1_T2_T3_mT4_P12ihipStream_tbEUlT_E0_NS1_11comp_targetILNS1_3genE5ELNS1_11target_archE942ELNS1_3gpuE9ELNS1_3repE0EEENS1_30default_config_static_selectorELNS0_4arch9wavefront6targetE0EEEvS14_,"axG",@progbits,_ZN7rocprim17ROCPRIM_400000_NS6detail17trampoline_kernelINS0_14default_configENS1_22reduce_config_selectorIN6thrust23THRUST_200600_302600_NS5tupleIblNS6_9null_typeES8_S8_S8_S8_S8_S8_S8_EEEEZNS1_11reduce_implILb1ES3_NS6_12zip_iteratorINS7_INS6_11hip_rocprim26transform_input_iterator_tIbNSD_35transform_pair_of_input_iterators_tIbNS6_6detail15normal_iteratorINS6_10device_ptrIKsEEEESL_NS6_8equal_toIsEEEENSG_9not_fun_tINSD_8identityEEEEENSD_19counting_iterator_tIlEES8_S8_S8_S8_S8_S8_S8_S8_EEEEPS9_S9_NSD_9__find_if7functorIS9_EEEE10hipError_tPvRmT1_T2_T3_mT4_P12ihipStream_tbEUlT_E0_NS1_11comp_targetILNS1_3genE5ELNS1_11target_archE942ELNS1_3gpuE9ELNS1_3repE0EEENS1_30default_config_static_selectorELNS0_4arch9wavefront6targetE0EEEvS14_,comdat
	.protected	_ZN7rocprim17ROCPRIM_400000_NS6detail17trampoline_kernelINS0_14default_configENS1_22reduce_config_selectorIN6thrust23THRUST_200600_302600_NS5tupleIblNS6_9null_typeES8_S8_S8_S8_S8_S8_S8_EEEEZNS1_11reduce_implILb1ES3_NS6_12zip_iteratorINS7_INS6_11hip_rocprim26transform_input_iterator_tIbNSD_35transform_pair_of_input_iterators_tIbNS6_6detail15normal_iteratorINS6_10device_ptrIKsEEEESL_NS6_8equal_toIsEEEENSG_9not_fun_tINSD_8identityEEEEENSD_19counting_iterator_tIlEES8_S8_S8_S8_S8_S8_S8_S8_EEEEPS9_S9_NSD_9__find_if7functorIS9_EEEE10hipError_tPvRmT1_T2_T3_mT4_P12ihipStream_tbEUlT_E0_NS1_11comp_targetILNS1_3genE5ELNS1_11target_archE942ELNS1_3gpuE9ELNS1_3repE0EEENS1_30default_config_static_selectorELNS0_4arch9wavefront6targetE0EEEvS14_ ; -- Begin function _ZN7rocprim17ROCPRIM_400000_NS6detail17trampoline_kernelINS0_14default_configENS1_22reduce_config_selectorIN6thrust23THRUST_200600_302600_NS5tupleIblNS6_9null_typeES8_S8_S8_S8_S8_S8_S8_EEEEZNS1_11reduce_implILb1ES3_NS6_12zip_iteratorINS7_INS6_11hip_rocprim26transform_input_iterator_tIbNSD_35transform_pair_of_input_iterators_tIbNS6_6detail15normal_iteratorINS6_10device_ptrIKsEEEESL_NS6_8equal_toIsEEEENSG_9not_fun_tINSD_8identityEEEEENSD_19counting_iterator_tIlEES8_S8_S8_S8_S8_S8_S8_S8_EEEEPS9_S9_NSD_9__find_if7functorIS9_EEEE10hipError_tPvRmT1_T2_T3_mT4_P12ihipStream_tbEUlT_E0_NS1_11comp_targetILNS1_3genE5ELNS1_11target_archE942ELNS1_3gpuE9ELNS1_3repE0EEENS1_30default_config_static_selectorELNS0_4arch9wavefront6targetE0EEEvS14_
	.globl	_ZN7rocprim17ROCPRIM_400000_NS6detail17trampoline_kernelINS0_14default_configENS1_22reduce_config_selectorIN6thrust23THRUST_200600_302600_NS5tupleIblNS6_9null_typeES8_S8_S8_S8_S8_S8_S8_EEEEZNS1_11reduce_implILb1ES3_NS6_12zip_iteratorINS7_INS6_11hip_rocprim26transform_input_iterator_tIbNSD_35transform_pair_of_input_iterators_tIbNS6_6detail15normal_iteratorINS6_10device_ptrIKsEEEESL_NS6_8equal_toIsEEEENSG_9not_fun_tINSD_8identityEEEEENSD_19counting_iterator_tIlEES8_S8_S8_S8_S8_S8_S8_S8_EEEEPS9_S9_NSD_9__find_if7functorIS9_EEEE10hipError_tPvRmT1_T2_T3_mT4_P12ihipStream_tbEUlT_E0_NS1_11comp_targetILNS1_3genE5ELNS1_11target_archE942ELNS1_3gpuE9ELNS1_3repE0EEENS1_30default_config_static_selectorELNS0_4arch9wavefront6targetE0EEEvS14_
	.p2align	8
	.type	_ZN7rocprim17ROCPRIM_400000_NS6detail17trampoline_kernelINS0_14default_configENS1_22reduce_config_selectorIN6thrust23THRUST_200600_302600_NS5tupleIblNS6_9null_typeES8_S8_S8_S8_S8_S8_S8_EEEEZNS1_11reduce_implILb1ES3_NS6_12zip_iteratorINS7_INS6_11hip_rocprim26transform_input_iterator_tIbNSD_35transform_pair_of_input_iterators_tIbNS6_6detail15normal_iteratorINS6_10device_ptrIKsEEEESL_NS6_8equal_toIsEEEENSG_9not_fun_tINSD_8identityEEEEENSD_19counting_iterator_tIlEES8_S8_S8_S8_S8_S8_S8_S8_EEEEPS9_S9_NSD_9__find_if7functorIS9_EEEE10hipError_tPvRmT1_T2_T3_mT4_P12ihipStream_tbEUlT_E0_NS1_11comp_targetILNS1_3genE5ELNS1_11target_archE942ELNS1_3gpuE9ELNS1_3repE0EEENS1_30default_config_static_selectorELNS0_4arch9wavefront6targetE0EEEvS14_,@function
_ZN7rocprim17ROCPRIM_400000_NS6detail17trampoline_kernelINS0_14default_configENS1_22reduce_config_selectorIN6thrust23THRUST_200600_302600_NS5tupleIblNS6_9null_typeES8_S8_S8_S8_S8_S8_S8_EEEEZNS1_11reduce_implILb1ES3_NS6_12zip_iteratorINS7_INS6_11hip_rocprim26transform_input_iterator_tIbNSD_35transform_pair_of_input_iterators_tIbNS6_6detail15normal_iteratorINS6_10device_ptrIKsEEEESL_NS6_8equal_toIsEEEENSG_9not_fun_tINSD_8identityEEEEENSD_19counting_iterator_tIlEES8_S8_S8_S8_S8_S8_S8_S8_EEEEPS9_S9_NSD_9__find_if7functorIS9_EEEE10hipError_tPvRmT1_T2_T3_mT4_P12ihipStream_tbEUlT_E0_NS1_11comp_targetILNS1_3genE5ELNS1_11target_archE942ELNS1_3gpuE9ELNS1_3repE0EEENS1_30default_config_static_selectorELNS0_4arch9wavefront6targetE0EEEvS14_: ; @_ZN7rocprim17ROCPRIM_400000_NS6detail17trampoline_kernelINS0_14default_configENS1_22reduce_config_selectorIN6thrust23THRUST_200600_302600_NS5tupleIblNS6_9null_typeES8_S8_S8_S8_S8_S8_S8_EEEEZNS1_11reduce_implILb1ES3_NS6_12zip_iteratorINS7_INS6_11hip_rocprim26transform_input_iterator_tIbNSD_35transform_pair_of_input_iterators_tIbNS6_6detail15normal_iteratorINS6_10device_ptrIKsEEEESL_NS6_8equal_toIsEEEENSG_9not_fun_tINSD_8identityEEEEENSD_19counting_iterator_tIlEES8_S8_S8_S8_S8_S8_S8_S8_EEEEPS9_S9_NSD_9__find_if7functorIS9_EEEE10hipError_tPvRmT1_T2_T3_mT4_P12ihipStream_tbEUlT_E0_NS1_11comp_targetILNS1_3genE5ELNS1_11target_archE942ELNS1_3gpuE9ELNS1_3repE0EEENS1_30default_config_static_selectorELNS0_4arch9wavefront6targetE0EEEvS14_
; %bb.0:
	.section	.rodata,"a",@progbits
	.p2align	6, 0x0
	.amdhsa_kernel _ZN7rocprim17ROCPRIM_400000_NS6detail17trampoline_kernelINS0_14default_configENS1_22reduce_config_selectorIN6thrust23THRUST_200600_302600_NS5tupleIblNS6_9null_typeES8_S8_S8_S8_S8_S8_S8_EEEEZNS1_11reduce_implILb1ES3_NS6_12zip_iteratorINS7_INS6_11hip_rocprim26transform_input_iterator_tIbNSD_35transform_pair_of_input_iterators_tIbNS6_6detail15normal_iteratorINS6_10device_ptrIKsEEEESL_NS6_8equal_toIsEEEENSG_9not_fun_tINSD_8identityEEEEENSD_19counting_iterator_tIlEES8_S8_S8_S8_S8_S8_S8_S8_EEEEPS9_S9_NSD_9__find_if7functorIS9_EEEE10hipError_tPvRmT1_T2_T3_mT4_P12ihipStream_tbEUlT_E0_NS1_11comp_targetILNS1_3genE5ELNS1_11target_archE942ELNS1_3gpuE9ELNS1_3repE0EEENS1_30default_config_static_selectorELNS0_4arch9wavefront6targetE0EEEvS14_
		.amdhsa_group_segment_fixed_size 0
		.amdhsa_private_segment_fixed_size 0
		.amdhsa_kernarg_size 104
		.amdhsa_user_sgpr_count 2
		.amdhsa_user_sgpr_dispatch_ptr 0
		.amdhsa_user_sgpr_queue_ptr 0
		.amdhsa_user_sgpr_kernarg_segment_ptr 1
		.amdhsa_user_sgpr_dispatch_id 0
		.amdhsa_user_sgpr_kernarg_preload_length 0
		.amdhsa_user_sgpr_kernarg_preload_offset 0
		.amdhsa_user_sgpr_private_segment_size 0
		.amdhsa_wavefront_size32 1
		.amdhsa_uses_dynamic_stack 0
		.amdhsa_enable_private_segment 0
		.amdhsa_system_sgpr_workgroup_id_x 1
		.amdhsa_system_sgpr_workgroup_id_y 0
		.amdhsa_system_sgpr_workgroup_id_z 0
		.amdhsa_system_sgpr_workgroup_info 0
		.amdhsa_system_vgpr_workitem_id 0
		.amdhsa_next_free_vgpr 1
		.amdhsa_next_free_sgpr 1
		.amdhsa_named_barrier_count 0
		.amdhsa_reserve_vcc 0
		.amdhsa_float_round_mode_32 0
		.amdhsa_float_round_mode_16_64 0
		.amdhsa_float_denorm_mode_32 3
		.amdhsa_float_denorm_mode_16_64 3
		.amdhsa_fp16_overflow 0
		.amdhsa_memory_ordered 1
		.amdhsa_forward_progress 1
		.amdhsa_inst_pref_size 0
		.amdhsa_round_robin_scheduling 0
		.amdhsa_exception_fp_ieee_invalid_op 0
		.amdhsa_exception_fp_denorm_src 0
		.amdhsa_exception_fp_ieee_div_zero 0
		.amdhsa_exception_fp_ieee_overflow 0
		.amdhsa_exception_fp_ieee_underflow 0
		.amdhsa_exception_fp_ieee_inexact 0
		.amdhsa_exception_int_div_zero 0
	.end_amdhsa_kernel
	.section	.text._ZN7rocprim17ROCPRIM_400000_NS6detail17trampoline_kernelINS0_14default_configENS1_22reduce_config_selectorIN6thrust23THRUST_200600_302600_NS5tupleIblNS6_9null_typeES8_S8_S8_S8_S8_S8_S8_EEEEZNS1_11reduce_implILb1ES3_NS6_12zip_iteratorINS7_INS6_11hip_rocprim26transform_input_iterator_tIbNSD_35transform_pair_of_input_iterators_tIbNS6_6detail15normal_iteratorINS6_10device_ptrIKsEEEESL_NS6_8equal_toIsEEEENSG_9not_fun_tINSD_8identityEEEEENSD_19counting_iterator_tIlEES8_S8_S8_S8_S8_S8_S8_S8_EEEEPS9_S9_NSD_9__find_if7functorIS9_EEEE10hipError_tPvRmT1_T2_T3_mT4_P12ihipStream_tbEUlT_E0_NS1_11comp_targetILNS1_3genE5ELNS1_11target_archE942ELNS1_3gpuE9ELNS1_3repE0EEENS1_30default_config_static_selectorELNS0_4arch9wavefront6targetE0EEEvS14_,"axG",@progbits,_ZN7rocprim17ROCPRIM_400000_NS6detail17trampoline_kernelINS0_14default_configENS1_22reduce_config_selectorIN6thrust23THRUST_200600_302600_NS5tupleIblNS6_9null_typeES8_S8_S8_S8_S8_S8_S8_EEEEZNS1_11reduce_implILb1ES3_NS6_12zip_iteratorINS7_INS6_11hip_rocprim26transform_input_iterator_tIbNSD_35transform_pair_of_input_iterators_tIbNS6_6detail15normal_iteratorINS6_10device_ptrIKsEEEESL_NS6_8equal_toIsEEEENSG_9not_fun_tINSD_8identityEEEEENSD_19counting_iterator_tIlEES8_S8_S8_S8_S8_S8_S8_S8_EEEEPS9_S9_NSD_9__find_if7functorIS9_EEEE10hipError_tPvRmT1_T2_T3_mT4_P12ihipStream_tbEUlT_E0_NS1_11comp_targetILNS1_3genE5ELNS1_11target_archE942ELNS1_3gpuE9ELNS1_3repE0EEENS1_30default_config_static_selectorELNS0_4arch9wavefront6targetE0EEEvS14_,comdat
.Lfunc_end299:
	.size	_ZN7rocprim17ROCPRIM_400000_NS6detail17trampoline_kernelINS0_14default_configENS1_22reduce_config_selectorIN6thrust23THRUST_200600_302600_NS5tupleIblNS6_9null_typeES8_S8_S8_S8_S8_S8_S8_EEEEZNS1_11reduce_implILb1ES3_NS6_12zip_iteratorINS7_INS6_11hip_rocprim26transform_input_iterator_tIbNSD_35transform_pair_of_input_iterators_tIbNS6_6detail15normal_iteratorINS6_10device_ptrIKsEEEESL_NS6_8equal_toIsEEEENSG_9not_fun_tINSD_8identityEEEEENSD_19counting_iterator_tIlEES8_S8_S8_S8_S8_S8_S8_S8_EEEEPS9_S9_NSD_9__find_if7functorIS9_EEEE10hipError_tPvRmT1_T2_T3_mT4_P12ihipStream_tbEUlT_E0_NS1_11comp_targetILNS1_3genE5ELNS1_11target_archE942ELNS1_3gpuE9ELNS1_3repE0EEENS1_30default_config_static_selectorELNS0_4arch9wavefront6targetE0EEEvS14_, .Lfunc_end299-_ZN7rocprim17ROCPRIM_400000_NS6detail17trampoline_kernelINS0_14default_configENS1_22reduce_config_selectorIN6thrust23THRUST_200600_302600_NS5tupleIblNS6_9null_typeES8_S8_S8_S8_S8_S8_S8_EEEEZNS1_11reduce_implILb1ES3_NS6_12zip_iteratorINS7_INS6_11hip_rocprim26transform_input_iterator_tIbNSD_35transform_pair_of_input_iterators_tIbNS6_6detail15normal_iteratorINS6_10device_ptrIKsEEEESL_NS6_8equal_toIsEEEENSG_9not_fun_tINSD_8identityEEEEENSD_19counting_iterator_tIlEES8_S8_S8_S8_S8_S8_S8_S8_EEEEPS9_S9_NSD_9__find_if7functorIS9_EEEE10hipError_tPvRmT1_T2_T3_mT4_P12ihipStream_tbEUlT_E0_NS1_11comp_targetILNS1_3genE5ELNS1_11target_archE942ELNS1_3gpuE9ELNS1_3repE0EEENS1_30default_config_static_selectorELNS0_4arch9wavefront6targetE0EEEvS14_
                                        ; -- End function
	.set _ZN7rocprim17ROCPRIM_400000_NS6detail17trampoline_kernelINS0_14default_configENS1_22reduce_config_selectorIN6thrust23THRUST_200600_302600_NS5tupleIblNS6_9null_typeES8_S8_S8_S8_S8_S8_S8_EEEEZNS1_11reduce_implILb1ES3_NS6_12zip_iteratorINS7_INS6_11hip_rocprim26transform_input_iterator_tIbNSD_35transform_pair_of_input_iterators_tIbNS6_6detail15normal_iteratorINS6_10device_ptrIKsEEEESL_NS6_8equal_toIsEEEENSG_9not_fun_tINSD_8identityEEEEENSD_19counting_iterator_tIlEES8_S8_S8_S8_S8_S8_S8_S8_EEEEPS9_S9_NSD_9__find_if7functorIS9_EEEE10hipError_tPvRmT1_T2_T3_mT4_P12ihipStream_tbEUlT_E0_NS1_11comp_targetILNS1_3genE5ELNS1_11target_archE942ELNS1_3gpuE9ELNS1_3repE0EEENS1_30default_config_static_selectorELNS0_4arch9wavefront6targetE0EEEvS14_.num_vgpr, 0
	.set _ZN7rocprim17ROCPRIM_400000_NS6detail17trampoline_kernelINS0_14default_configENS1_22reduce_config_selectorIN6thrust23THRUST_200600_302600_NS5tupleIblNS6_9null_typeES8_S8_S8_S8_S8_S8_S8_EEEEZNS1_11reduce_implILb1ES3_NS6_12zip_iteratorINS7_INS6_11hip_rocprim26transform_input_iterator_tIbNSD_35transform_pair_of_input_iterators_tIbNS6_6detail15normal_iteratorINS6_10device_ptrIKsEEEESL_NS6_8equal_toIsEEEENSG_9not_fun_tINSD_8identityEEEEENSD_19counting_iterator_tIlEES8_S8_S8_S8_S8_S8_S8_S8_EEEEPS9_S9_NSD_9__find_if7functorIS9_EEEE10hipError_tPvRmT1_T2_T3_mT4_P12ihipStream_tbEUlT_E0_NS1_11comp_targetILNS1_3genE5ELNS1_11target_archE942ELNS1_3gpuE9ELNS1_3repE0EEENS1_30default_config_static_selectorELNS0_4arch9wavefront6targetE0EEEvS14_.num_agpr, 0
	.set _ZN7rocprim17ROCPRIM_400000_NS6detail17trampoline_kernelINS0_14default_configENS1_22reduce_config_selectorIN6thrust23THRUST_200600_302600_NS5tupleIblNS6_9null_typeES8_S8_S8_S8_S8_S8_S8_EEEEZNS1_11reduce_implILb1ES3_NS6_12zip_iteratorINS7_INS6_11hip_rocprim26transform_input_iterator_tIbNSD_35transform_pair_of_input_iterators_tIbNS6_6detail15normal_iteratorINS6_10device_ptrIKsEEEESL_NS6_8equal_toIsEEEENSG_9not_fun_tINSD_8identityEEEEENSD_19counting_iterator_tIlEES8_S8_S8_S8_S8_S8_S8_S8_EEEEPS9_S9_NSD_9__find_if7functorIS9_EEEE10hipError_tPvRmT1_T2_T3_mT4_P12ihipStream_tbEUlT_E0_NS1_11comp_targetILNS1_3genE5ELNS1_11target_archE942ELNS1_3gpuE9ELNS1_3repE0EEENS1_30default_config_static_selectorELNS0_4arch9wavefront6targetE0EEEvS14_.numbered_sgpr, 0
	.set _ZN7rocprim17ROCPRIM_400000_NS6detail17trampoline_kernelINS0_14default_configENS1_22reduce_config_selectorIN6thrust23THRUST_200600_302600_NS5tupleIblNS6_9null_typeES8_S8_S8_S8_S8_S8_S8_EEEEZNS1_11reduce_implILb1ES3_NS6_12zip_iteratorINS7_INS6_11hip_rocprim26transform_input_iterator_tIbNSD_35transform_pair_of_input_iterators_tIbNS6_6detail15normal_iteratorINS6_10device_ptrIKsEEEESL_NS6_8equal_toIsEEEENSG_9not_fun_tINSD_8identityEEEEENSD_19counting_iterator_tIlEES8_S8_S8_S8_S8_S8_S8_S8_EEEEPS9_S9_NSD_9__find_if7functorIS9_EEEE10hipError_tPvRmT1_T2_T3_mT4_P12ihipStream_tbEUlT_E0_NS1_11comp_targetILNS1_3genE5ELNS1_11target_archE942ELNS1_3gpuE9ELNS1_3repE0EEENS1_30default_config_static_selectorELNS0_4arch9wavefront6targetE0EEEvS14_.num_named_barrier, 0
	.set _ZN7rocprim17ROCPRIM_400000_NS6detail17trampoline_kernelINS0_14default_configENS1_22reduce_config_selectorIN6thrust23THRUST_200600_302600_NS5tupleIblNS6_9null_typeES8_S8_S8_S8_S8_S8_S8_EEEEZNS1_11reduce_implILb1ES3_NS6_12zip_iteratorINS7_INS6_11hip_rocprim26transform_input_iterator_tIbNSD_35transform_pair_of_input_iterators_tIbNS6_6detail15normal_iteratorINS6_10device_ptrIKsEEEESL_NS6_8equal_toIsEEEENSG_9not_fun_tINSD_8identityEEEEENSD_19counting_iterator_tIlEES8_S8_S8_S8_S8_S8_S8_S8_EEEEPS9_S9_NSD_9__find_if7functorIS9_EEEE10hipError_tPvRmT1_T2_T3_mT4_P12ihipStream_tbEUlT_E0_NS1_11comp_targetILNS1_3genE5ELNS1_11target_archE942ELNS1_3gpuE9ELNS1_3repE0EEENS1_30default_config_static_selectorELNS0_4arch9wavefront6targetE0EEEvS14_.private_seg_size, 0
	.set _ZN7rocprim17ROCPRIM_400000_NS6detail17trampoline_kernelINS0_14default_configENS1_22reduce_config_selectorIN6thrust23THRUST_200600_302600_NS5tupleIblNS6_9null_typeES8_S8_S8_S8_S8_S8_S8_EEEEZNS1_11reduce_implILb1ES3_NS6_12zip_iteratorINS7_INS6_11hip_rocprim26transform_input_iterator_tIbNSD_35transform_pair_of_input_iterators_tIbNS6_6detail15normal_iteratorINS6_10device_ptrIKsEEEESL_NS6_8equal_toIsEEEENSG_9not_fun_tINSD_8identityEEEEENSD_19counting_iterator_tIlEES8_S8_S8_S8_S8_S8_S8_S8_EEEEPS9_S9_NSD_9__find_if7functorIS9_EEEE10hipError_tPvRmT1_T2_T3_mT4_P12ihipStream_tbEUlT_E0_NS1_11comp_targetILNS1_3genE5ELNS1_11target_archE942ELNS1_3gpuE9ELNS1_3repE0EEENS1_30default_config_static_selectorELNS0_4arch9wavefront6targetE0EEEvS14_.uses_vcc, 0
	.set _ZN7rocprim17ROCPRIM_400000_NS6detail17trampoline_kernelINS0_14default_configENS1_22reduce_config_selectorIN6thrust23THRUST_200600_302600_NS5tupleIblNS6_9null_typeES8_S8_S8_S8_S8_S8_S8_EEEEZNS1_11reduce_implILb1ES3_NS6_12zip_iteratorINS7_INS6_11hip_rocprim26transform_input_iterator_tIbNSD_35transform_pair_of_input_iterators_tIbNS6_6detail15normal_iteratorINS6_10device_ptrIKsEEEESL_NS6_8equal_toIsEEEENSG_9not_fun_tINSD_8identityEEEEENSD_19counting_iterator_tIlEES8_S8_S8_S8_S8_S8_S8_S8_EEEEPS9_S9_NSD_9__find_if7functorIS9_EEEE10hipError_tPvRmT1_T2_T3_mT4_P12ihipStream_tbEUlT_E0_NS1_11comp_targetILNS1_3genE5ELNS1_11target_archE942ELNS1_3gpuE9ELNS1_3repE0EEENS1_30default_config_static_selectorELNS0_4arch9wavefront6targetE0EEEvS14_.uses_flat_scratch, 0
	.set _ZN7rocprim17ROCPRIM_400000_NS6detail17trampoline_kernelINS0_14default_configENS1_22reduce_config_selectorIN6thrust23THRUST_200600_302600_NS5tupleIblNS6_9null_typeES8_S8_S8_S8_S8_S8_S8_EEEEZNS1_11reduce_implILb1ES3_NS6_12zip_iteratorINS7_INS6_11hip_rocprim26transform_input_iterator_tIbNSD_35transform_pair_of_input_iterators_tIbNS6_6detail15normal_iteratorINS6_10device_ptrIKsEEEESL_NS6_8equal_toIsEEEENSG_9not_fun_tINSD_8identityEEEEENSD_19counting_iterator_tIlEES8_S8_S8_S8_S8_S8_S8_S8_EEEEPS9_S9_NSD_9__find_if7functorIS9_EEEE10hipError_tPvRmT1_T2_T3_mT4_P12ihipStream_tbEUlT_E0_NS1_11comp_targetILNS1_3genE5ELNS1_11target_archE942ELNS1_3gpuE9ELNS1_3repE0EEENS1_30default_config_static_selectorELNS0_4arch9wavefront6targetE0EEEvS14_.has_dyn_sized_stack, 0
	.set _ZN7rocprim17ROCPRIM_400000_NS6detail17trampoline_kernelINS0_14default_configENS1_22reduce_config_selectorIN6thrust23THRUST_200600_302600_NS5tupleIblNS6_9null_typeES8_S8_S8_S8_S8_S8_S8_EEEEZNS1_11reduce_implILb1ES3_NS6_12zip_iteratorINS7_INS6_11hip_rocprim26transform_input_iterator_tIbNSD_35transform_pair_of_input_iterators_tIbNS6_6detail15normal_iteratorINS6_10device_ptrIKsEEEESL_NS6_8equal_toIsEEEENSG_9not_fun_tINSD_8identityEEEEENSD_19counting_iterator_tIlEES8_S8_S8_S8_S8_S8_S8_S8_EEEEPS9_S9_NSD_9__find_if7functorIS9_EEEE10hipError_tPvRmT1_T2_T3_mT4_P12ihipStream_tbEUlT_E0_NS1_11comp_targetILNS1_3genE5ELNS1_11target_archE942ELNS1_3gpuE9ELNS1_3repE0EEENS1_30default_config_static_selectorELNS0_4arch9wavefront6targetE0EEEvS14_.has_recursion, 0
	.set _ZN7rocprim17ROCPRIM_400000_NS6detail17trampoline_kernelINS0_14default_configENS1_22reduce_config_selectorIN6thrust23THRUST_200600_302600_NS5tupleIblNS6_9null_typeES8_S8_S8_S8_S8_S8_S8_EEEEZNS1_11reduce_implILb1ES3_NS6_12zip_iteratorINS7_INS6_11hip_rocprim26transform_input_iterator_tIbNSD_35transform_pair_of_input_iterators_tIbNS6_6detail15normal_iteratorINS6_10device_ptrIKsEEEESL_NS6_8equal_toIsEEEENSG_9not_fun_tINSD_8identityEEEEENSD_19counting_iterator_tIlEES8_S8_S8_S8_S8_S8_S8_S8_EEEEPS9_S9_NSD_9__find_if7functorIS9_EEEE10hipError_tPvRmT1_T2_T3_mT4_P12ihipStream_tbEUlT_E0_NS1_11comp_targetILNS1_3genE5ELNS1_11target_archE942ELNS1_3gpuE9ELNS1_3repE0EEENS1_30default_config_static_selectorELNS0_4arch9wavefront6targetE0EEEvS14_.has_indirect_call, 0
	.section	.AMDGPU.csdata,"",@progbits
; Kernel info:
; codeLenInByte = 0
; TotalNumSgprs: 0
; NumVgprs: 0
; ScratchSize: 0
; MemoryBound: 0
; FloatMode: 240
; IeeeMode: 1
; LDSByteSize: 0 bytes/workgroup (compile time only)
; SGPRBlocks: 0
; VGPRBlocks: 0
; NumSGPRsForWavesPerEU: 1
; NumVGPRsForWavesPerEU: 1
; NamedBarCnt: 0
; Occupancy: 16
; WaveLimiterHint : 0
; COMPUTE_PGM_RSRC2:SCRATCH_EN: 0
; COMPUTE_PGM_RSRC2:USER_SGPR: 2
; COMPUTE_PGM_RSRC2:TRAP_HANDLER: 0
; COMPUTE_PGM_RSRC2:TGID_X_EN: 1
; COMPUTE_PGM_RSRC2:TGID_Y_EN: 0
; COMPUTE_PGM_RSRC2:TGID_Z_EN: 0
; COMPUTE_PGM_RSRC2:TIDIG_COMP_CNT: 0
	.section	.text._ZN7rocprim17ROCPRIM_400000_NS6detail17trampoline_kernelINS0_14default_configENS1_22reduce_config_selectorIN6thrust23THRUST_200600_302600_NS5tupleIblNS6_9null_typeES8_S8_S8_S8_S8_S8_S8_EEEEZNS1_11reduce_implILb1ES3_NS6_12zip_iteratorINS7_INS6_11hip_rocprim26transform_input_iterator_tIbNSD_35transform_pair_of_input_iterators_tIbNS6_6detail15normal_iteratorINS6_10device_ptrIKsEEEESL_NS6_8equal_toIsEEEENSG_9not_fun_tINSD_8identityEEEEENSD_19counting_iterator_tIlEES8_S8_S8_S8_S8_S8_S8_S8_EEEEPS9_S9_NSD_9__find_if7functorIS9_EEEE10hipError_tPvRmT1_T2_T3_mT4_P12ihipStream_tbEUlT_E0_NS1_11comp_targetILNS1_3genE4ELNS1_11target_archE910ELNS1_3gpuE8ELNS1_3repE0EEENS1_30default_config_static_selectorELNS0_4arch9wavefront6targetE0EEEvS14_,"axG",@progbits,_ZN7rocprim17ROCPRIM_400000_NS6detail17trampoline_kernelINS0_14default_configENS1_22reduce_config_selectorIN6thrust23THRUST_200600_302600_NS5tupleIblNS6_9null_typeES8_S8_S8_S8_S8_S8_S8_EEEEZNS1_11reduce_implILb1ES3_NS6_12zip_iteratorINS7_INS6_11hip_rocprim26transform_input_iterator_tIbNSD_35transform_pair_of_input_iterators_tIbNS6_6detail15normal_iteratorINS6_10device_ptrIKsEEEESL_NS6_8equal_toIsEEEENSG_9not_fun_tINSD_8identityEEEEENSD_19counting_iterator_tIlEES8_S8_S8_S8_S8_S8_S8_S8_EEEEPS9_S9_NSD_9__find_if7functorIS9_EEEE10hipError_tPvRmT1_T2_T3_mT4_P12ihipStream_tbEUlT_E0_NS1_11comp_targetILNS1_3genE4ELNS1_11target_archE910ELNS1_3gpuE8ELNS1_3repE0EEENS1_30default_config_static_selectorELNS0_4arch9wavefront6targetE0EEEvS14_,comdat
	.protected	_ZN7rocprim17ROCPRIM_400000_NS6detail17trampoline_kernelINS0_14default_configENS1_22reduce_config_selectorIN6thrust23THRUST_200600_302600_NS5tupleIblNS6_9null_typeES8_S8_S8_S8_S8_S8_S8_EEEEZNS1_11reduce_implILb1ES3_NS6_12zip_iteratorINS7_INS6_11hip_rocprim26transform_input_iterator_tIbNSD_35transform_pair_of_input_iterators_tIbNS6_6detail15normal_iteratorINS6_10device_ptrIKsEEEESL_NS6_8equal_toIsEEEENSG_9not_fun_tINSD_8identityEEEEENSD_19counting_iterator_tIlEES8_S8_S8_S8_S8_S8_S8_S8_EEEEPS9_S9_NSD_9__find_if7functorIS9_EEEE10hipError_tPvRmT1_T2_T3_mT4_P12ihipStream_tbEUlT_E0_NS1_11comp_targetILNS1_3genE4ELNS1_11target_archE910ELNS1_3gpuE8ELNS1_3repE0EEENS1_30default_config_static_selectorELNS0_4arch9wavefront6targetE0EEEvS14_ ; -- Begin function _ZN7rocprim17ROCPRIM_400000_NS6detail17trampoline_kernelINS0_14default_configENS1_22reduce_config_selectorIN6thrust23THRUST_200600_302600_NS5tupleIblNS6_9null_typeES8_S8_S8_S8_S8_S8_S8_EEEEZNS1_11reduce_implILb1ES3_NS6_12zip_iteratorINS7_INS6_11hip_rocprim26transform_input_iterator_tIbNSD_35transform_pair_of_input_iterators_tIbNS6_6detail15normal_iteratorINS6_10device_ptrIKsEEEESL_NS6_8equal_toIsEEEENSG_9not_fun_tINSD_8identityEEEEENSD_19counting_iterator_tIlEES8_S8_S8_S8_S8_S8_S8_S8_EEEEPS9_S9_NSD_9__find_if7functorIS9_EEEE10hipError_tPvRmT1_T2_T3_mT4_P12ihipStream_tbEUlT_E0_NS1_11comp_targetILNS1_3genE4ELNS1_11target_archE910ELNS1_3gpuE8ELNS1_3repE0EEENS1_30default_config_static_selectorELNS0_4arch9wavefront6targetE0EEEvS14_
	.globl	_ZN7rocprim17ROCPRIM_400000_NS6detail17trampoline_kernelINS0_14default_configENS1_22reduce_config_selectorIN6thrust23THRUST_200600_302600_NS5tupleIblNS6_9null_typeES8_S8_S8_S8_S8_S8_S8_EEEEZNS1_11reduce_implILb1ES3_NS6_12zip_iteratorINS7_INS6_11hip_rocprim26transform_input_iterator_tIbNSD_35transform_pair_of_input_iterators_tIbNS6_6detail15normal_iteratorINS6_10device_ptrIKsEEEESL_NS6_8equal_toIsEEEENSG_9not_fun_tINSD_8identityEEEEENSD_19counting_iterator_tIlEES8_S8_S8_S8_S8_S8_S8_S8_EEEEPS9_S9_NSD_9__find_if7functorIS9_EEEE10hipError_tPvRmT1_T2_T3_mT4_P12ihipStream_tbEUlT_E0_NS1_11comp_targetILNS1_3genE4ELNS1_11target_archE910ELNS1_3gpuE8ELNS1_3repE0EEENS1_30default_config_static_selectorELNS0_4arch9wavefront6targetE0EEEvS14_
	.p2align	8
	.type	_ZN7rocprim17ROCPRIM_400000_NS6detail17trampoline_kernelINS0_14default_configENS1_22reduce_config_selectorIN6thrust23THRUST_200600_302600_NS5tupleIblNS6_9null_typeES8_S8_S8_S8_S8_S8_S8_EEEEZNS1_11reduce_implILb1ES3_NS6_12zip_iteratorINS7_INS6_11hip_rocprim26transform_input_iterator_tIbNSD_35transform_pair_of_input_iterators_tIbNS6_6detail15normal_iteratorINS6_10device_ptrIKsEEEESL_NS6_8equal_toIsEEEENSG_9not_fun_tINSD_8identityEEEEENSD_19counting_iterator_tIlEES8_S8_S8_S8_S8_S8_S8_S8_EEEEPS9_S9_NSD_9__find_if7functorIS9_EEEE10hipError_tPvRmT1_T2_T3_mT4_P12ihipStream_tbEUlT_E0_NS1_11comp_targetILNS1_3genE4ELNS1_11target_archE910ELNS1_3gpuE8ELNS1_3repE0EEENS1_30default_config_static_selectorELNS0_4arch9wavefront6targetE0EEEvS14_,@function
_ZN7rocprim17ROCPRIM_400000_NS6detail17trampoline_kernelINS0_14default_configENS1_22reduce_config_selectorIN6thrust23THRUST_200600_302600_NS5tupleIblNS6_9null_typeES8_S8_S8_S8_S8_S8_S8_EEEEZNS1_11reduce_implILb1ES3_NS6_12zip_iteratorINS7_INS6_11hip_rocprim26transform_input_iterator_tIbNSD_35transform_pair_of_input_iterators_tIbNS6_6detail15normal_iteratorINS6_10device_ptrIKsEEEESL_NS6_8equal_toIsEEEENSG_9not_fun_tINSD_8identityEEEEENSD_19counting_iterator_tIlEES8_S8_S8_S8_S8_S8_S8_S8_EEEEPS9_S9_NSD_9__find_if7functorIS9_EEEE10hipError_tPvRmT1_T2_T3_mT4_P12ihipStream_tbEUlT_E0_NS1_11comp_targetILNS1_3genE4ELNS1_11target_archE910ELNS1_3gpuE8ELNS1_3repE0EEENS1_30default_config_static_selectorELNS0_4arch9wavefront6targetE0EEEvS14_: ; @_ZN7rocprim17ROCPRIM_400000_NS6detail17trampoline_kernelINS0_14default_configENS1_22reduce_config_selectorIN6thrust23THRUST_200600_302600_NS5tupleIblNS6_9null_typeES8_S8_S8_S8_S8_S8_S8_EEEEZNS1_11reduce_implILb1ES3_NS6_12zip_iteratorINS7_INS6_11hip_rocprim26transform_input_iterator_tIbNSD_35transform_pair_of_input_iterators_tIbNS6_6detail15normal_iteratorINS6_10device_ptrIKsEEEESL_NS6_8equal_toIsEEEENSG_9not_fun_tINSD_8identityEEEEENSD_19counting_iterator_tIlEES8_S8_S8_S8_S8_S8_S8_S8_EEEEPS9_S9_NSD_9__find_if7functorIS9_EEEE10hipError_tPvRmT1_T2_T3_mT4_P12ihipStream_tbEUlT_E0_NS1_11comp_targetILNS1_3genE4ELNS1_11target_archE910ELNS1_3gpuE8ELNS1_3repE0EEENS1_30default_config_static_selectorELNS0_4arch9wavefront6targetE0EEEvS14_
; %bb.0:
	.section	.rodata,"a",@progbits
	.p2align	6, 0x0
	.amdhsa_kernel _ZN7rocprim17ROCPRIM_400000_NS6detail17trampoline_kernelINS0_14default_configENS1_22reduce_config_selectorIN6thrust23THRUST_200600_302600_NS5tupleIblNS6_9null_typeES8_S8_S8_S8_S8_S8_S8_EEEEZNS1_11reduce_implILb1ES3_NS6_12zip_iteratorINS7_INS6_11hip_rocprim26transform_input_iterator_tIbNSD_35transform_pair_of_input_iterators_tIbNS6_6detail15normal_iteratorINS6_10device_ptrIKsEEEESL_NS6_8equal_toIsEEEENSG_9not_fun_tINSD_8identityEEEEENSD_19counting_iterator_tIlEES8_S8_S8_S8_S8_S8_S8_S8_EEEEPS9_S9_NSD_9__find_if7functorIS9_EEEE10hipError_tPvRmT1_T2_T3_mT4_P12ihipStream_tbEUlT_E0_NS1_11comp_targetILNS1_3genE4ELNS1_11target_archE910ELNS1_3gpuE8ELNS1_3repE0EEENS1_30default_config_static_selectorELNS0_4arch9wavefront6targetE0EEEvS14_
		.amdhsa_group_segment_fixed_size 0
		.amdhsa_private_segment_fixed_size 0
		.amdhsa_kernarg_size 104
		.amdhsa_user_sgpr_count 2
		.amdhsa_user_sgpr_dispatch_ptr 0
		.amdhsa_user_sgpr_queue_ptr 0
		.amdhsa_user_sgpr_kernarg_segment_ptr 1
		.amdhsa_user_sgpr_dispatch_id 0
		.amdhsa_user_sgpr_kernarg_preload_length 0
		.amdhsa_user_sgpr_kernarg_preload_offset 0
		.amdhsa_user_sgpr_private_segment_size 0
		.amdhsa_wavefront_size32 1
		.amdhsa_uses_dynamic_stack 0
		.amdhsa_enable_private_segment 0
		.amdhsa_system_sgpr_workgroup_id_x 1
		.amdhsa_system_sgpr_workgroup_id_y 0
		.amdhsa_system_sgpr_workgroup_id_z 0
		.amdhsa_system_sgpr_workgroup_info 0
		.amdhsa_system_vgpr_workitem_id 0
		.amdhsa_next_free_vgpr 1
		.amdhsa_next_free_sgpr 1
		.amdhsa_named_barrier_count 0
		.amdhsa_reserve_vcc 0
		.amdhsa_float_round_mode_32 0
		.amdhsa_float_round_mode_16_64 0
		.amdhsa_float_denorm_mode_32 3
		.amdhsa_float_denorm_mode_16_64 3
		.amdhsa_fp16_overflow 0
		.amdhsa_memory_ordered 1
		.amdhsa_forward_progress 1
		.amdhsa_inst_pref_size 0
		.amdhsa_round_robin_scheduling 0
		.amdhsa_exception_fp_ieee_invalid_op 0
		.amdhsa_exception_fp_denorm_src 0
		.amdhsa_exception_fp_ieee_div_zero 0
		.amdhsa_exception_fp_ieee_overflow 0
		.amdhsa_exception_fp_ieee_underflow 0
		.amdhsa_exception_fp_ieee_inexact 0
		.amdhsa_exception_int_div_zero 0
	.end_amdhsa_kernel
	.section	.text._ZN7rocprim17ROCPRIM_400000_NS6detail17trampoline_kernelINS0_14default_configENS1_22reduce_config_selectorIN6thrust23THRUST_200600_302600_NS5tupleIblNS6_9null_typeES8_S8_S8_S8_S8_S8_S8_EEEEZNS1_11reduce_implILb1ES3_NS6_12zip_iteratorINS7_INS6_11hip_rocprim26transform_input_iterator_tIbNSD_35transform_pair_of_input_iterators_tIbNS6_6detail15normal_iteratorINS6_10device_ptrIKsEEEESL_NS6_8equal_toIsEEEENSG_9not_fun_tINSD_8identityEEEEENSD_19counting_iterator_tIlEES8_S8_S8_S8_S8_S8_S8_S8_EEEEPS9_S9_NSD_9__find_if7functorIS9_EEEE10hipError_tPvRmT1_T2_T3_mT4_P12ihipStream_tbEUlT_E0_NS1_11comp_targetILNS1_3genE4ELNS1_11target_archE910ELNS1_3gpuE8ELNS1_3repE0EEENS1_30default_config_static_selectorELNS0_4arch9wavefront6targetE0EEEvS14_,"axG",@progbits,_ZN7rocprim17ROCPRIM_400000_NS6detail17trampoline_kernelINS0_14default_configENS1_22reduce_config_selectorIN6thrust23THRUST_200600_302600_NS5tupleIblNS6_9null_typeES8_S8_S8_S8_S8_S8_S8_EEEEZNS1_11reduce_implILb1ES3_NS6_12zip_iteratorINS7_INS6_11hip_rocprim26transform_input_iterator_tIbNSD_35transform_pair_of_input_iterators_tIbNS6_6detail15normal_iteratorINS6_10device_ptrIKsEEEESL_NS6_8equal_toIsEEEENSG_9not_fun_tINSD_8identityEEEEENSD_19counting_iterator_tIlEES8_S8_S8_S8_S8_S8_S8_S8_EEEEPS9_S9_NSD_9__find_if7functorIS9_EEEE10hipError_tPvRmT1_T2_T3_mT4_P12ihipStream_tbEUlT_E0_NS1_11comp_targetILNS1_3genE4ELNS1_11target_archE910ELNS1_3gpuE8ELNS1_3repE0EEENS1_30default_config_static_selectorELNS0_4arch9wavefront6targetE0EEEvS14_,comdat
.Lfunc_end300:
	.size	_ZN7rocprim17ROCPRIM_400000_NS6detail17trampoline_kernelINS0_14default_configENS1_22reduce_config_selectorIN6thrust23THRUST_200600_302600_NS5tupleIblNS6_9null_typeES8_S8_S8_S8_S8_S8_S8_EEEEZNS1_11reduce_implILb1ES3_NS6_12zip_iteratorINS7_INS6_11hip_rocprim26transform_input_iterator_tIbNSD_35transform_pair_of_input_iterators_tIbNS6_6detail15normal_iteratorINS6_10device_ptrIKsEEEESL_NS6_8equal_toIsEEEENSG_9not_fun_tINSD_8identityEEEEENSD_19counting_iterator_tIlEES8_S8_S8_S8_S8_S8_S8_S8_EEEEPS9_S9_NSD_9__find_if7functorIS9_EEEE10hipError_tPvRmT1_T2_T3_mT4_P12ihipStream_tbEUlT_E0_NS1_11comp_targetILNS1_3genE4ELNS1_11target_archE910ELNS1_3gpuE8ELNS1_3repE0EEENS1_30default_config_static_selectorELNS0_4arch9wavefront6targetE0EEEvS14_, .Lfunc_end300-_ZN7rocprim17ROCPRIM_400000_NS6detail17trampoline_kernelINS0_14default_configENS1_22reduce_config_selectorIN6thrust23THRUST_200600_302600_NS5tupleIblNS6_9null_typeES8_S8_S8_S8_S8_S8_S8_EEEEZNS1_11reduce_implILb1ES3_NS6_12zip_iteratorINS7_INS6_11hip_rocprim26transform_input_iterator_tIbNSD_35transform_pair_of_input_iterators_tIbNS6_6detail15normal_iteratorINS6_10device_ptrIKsEEEESL_NS6_8equal_toIsEEEENSG_9not_fun_tINSD_8identityEEEEENSD_19counting_iterator_tIlEES8_S8_S8_S8_S8_S8_S8_S8_EEEEPS9_S9_NSD_9__find_if7functorIS9_EEEE10hipError_tPvRmT1_T2_T3_mT4_P12ihipStream_tbEUlT_E0_NS1_11comp_targetILNS1_3genE4ELNS1_11target_archE910ELNS1_3gpuE8ELNS1_3repE0EEENS1_30default_config_static_selectorELNS0_4arch9wavefront6targetE0EEEvS14_
                                        ; -- End function
	.set _ZN7rocprim17ROCPRIM_400000_NS6detail17trampoline_kernelINS0_14default_configENS1_22reduce_config_selectorIN6thrust23THRUST_200600_302600_NS5tupleIblNS6_9null_typeES8_S8_S8_S8_S8_S8_S8_EEEEZNS1_11reduce_implILb1ES3_NS6_12zip_iteratorINS7_INS6_11hip_rocprim26transform_input_iterator_tIbNSD_35transform_pair_of_input_iterators_tIbNS6_6detail15normal_iteratorINS6_10device_ptrIKsEEEESL_NS6_8equal_toIsEEEENSG_9not_fun_tINSD_8identityEEEEENSD_19counting_iterator_tIlEES8_S8_S8_S8_S8_S8_S8_S8_EEEEPS9_S9_NSD_9__find_if7functorIS9_EEEE10hipError_tPvRmT1_T2_T3_mT4_P12ihipStream_tbEUlT_E0_NS1_11comp_targetILNS1_3genE4ELNS1_11target_archE910ELNS1_3gpuE8ELNS1_3repE0EEENS1_30default_config_static_selectorELNS0_4arch9wavefront6targetE0EEEvS14_.num_vgpr, 0
	.set _ZN7rocprim17ROCPRIM_400000_NS6detail17trampoline_kernelINS0_14default_configENS1_22reduce_config_selectorIN6thrust23THRUST_200600_302600_NS5tupleIblNS6_9null_typeES8_S8_S8_S8_S8_S8_S8_EEEEZNS1_11reduce_implILb1ES3_NS6_12zip_iteratorINS7_INS6_11hip_rocprim26transform_input_iterator_tIbNSD_35transform_pair_of_input_iterators_tIbNS6_6detail15normal_iteratorINS6_10device_ptrIKsEEEESL_NS6_8equal_toIsEEEENSG_9not_fun_tINSD_8identityEEEEENSD_19counting_iterator_tIlEES8_S8_S8_S8_S8_S8_S8_S8_EEEEPS9_S9_NSD_9__find_if7functorIS9_EEEE10hipError_tPvRmT1_T2_T3_mT4_P12ihipStream_tbEUlT_E0_NS1_11comp_targetILNS1_3genE4ELNS1_11target_archE910ELNS1_3gpuE8ELNS1_3repE0EEENS1_30default_config_static_selectorELNS0_4arch9wavefront6targetE0EEEvS14_.num_agpr, 0
	.set _ZN7rocprim17ROCPRIM_400000_NS6detail17trampoline_kernelINS0_14default_configENS1_22reduce_config_selectorIN6thrust23THRUST_200600_302600_NS5tupleIblNS6_9null_typeES8_S8_S8_S8_S8_S8_S8_EEEEZNS1_11reduce_implILb1ES3_NS6_12zip_iteratorINS7_INS6_11hip_rocprim26transform_input_iterator_tIbNSD_35transform_pair_of_input_iterators_tIbNS6_6detail15normal_iteratorINS6_10device_ptrIKsEEEESL_NS6_8equal_toIsEEEENSG_9not_fun_tINSD_8identityEEEEENSD_19counting_iterator_tIlEES8_S8_S8_S8_S8_S8_S8_S8_EEEEPS9_S9_NSD_9__find_if7functorIS9_EEEE10hipError_tPvRmT1_T2_T3_mT4_P12ihipStream_tbEUlT_E0_NS1_11comp_targetILNS1_3genE4ELNS1_11target_archE910ELNS1_3gpuE8ELNS1_3repE0EEENS1_30default_config_static_selectorELNS0_4arch9wavefront6targetE0EEEvS14_.numbered_sgpr, 0
	.set _ZN7rocprim17ROCPRIM_400000_NS6detail17trampoline_kernelINS0_14default_configENS1_22reduce_config_selectorIN6thrust23THRUST_200600_302600_NS5tupleIblNS6_9null_typeES8_S8_S8_S8_S8_S8_S8_EEEEZNS1_11reduce_implILb1ES3_NS6_12zip_iteratorINS7_INS6_11hip_rocprim26transform_input_iterator_tIbNSD_35transform_pair_of_input_iterators_tIbNS6_6detail15normal_iteratorINS6_10device_ptrIKsEEEESL_NS6_8equal_toIsEEEENSG_9not_fun_tINSD_8identityEEEEENSD_19counting_iterator_tIlEES8_S8_S8_S8_S8_S8_S8_S8_EEEEPS9_S9_NSD_9__find_if7functorIS9_EEEE10hipError_tPvRmT1_T2_T3_mT4_P12ihipStream_tbEUlT_E0_NS1_11comp_targetILNS1_3genE4ELNS1_11target_archE910ELNS1_3gpuE8ELNS1_3repE0EEENS1_30default_config_static_selectorELNS0_4arch9wavefront6targetE0EEEvS14_.num_named_barrier, 0
	.set _ZN7rocprim17ROCPRIM_400000_NS6detail17trampoline_kernelINS0_14default_configENS1_22reduce_config_selectorIN6thrust23THRUST_200600_302600_NS5tupleIblNS6_9null_typeES8_S8_S8_S8_S8_S8_S8_EEEEZNS1_11reduce_implILb1ES3_NS6_12zip_iteratorINS7_INS6_11hip_rocprim26transform_input_iterator_tIbNSD_35transform_pair_of_input_iterators_tIbNS6_6detail15normal_iteratorINS6_10device_ptrIKsEEEESL_NS6_8equal_toIsEEEENSG_9not_fun_tINSD_8identityEEEEENSD_19counting_iterator_tIlEES8_S8_S8_S8_S8_S8_S8_S8_EEEEPS9_S9_NSD_9__find_if7functorIS9_EEEE10hipError_tPvRmT1_T2_T3_mT4_P12ihipStream_tbEUlT_E0_NS1_11comp_targetILNS1_3genE4ELNS1_11target_archE910ELNS1_3gpuE8ELNS1_3repE0EEENS1_30default_config_static_selectorELNS0_4arch9wavefront6targetE0EEEvS14_.private_seg_size, 0
	.set _ZN7rocprim17ROCPRIM_400000_NS6detail17trampoline_kernelINS0_14default_configENS1_22reduce_config_selectorIN6thrust23THRUST_200600_302600_NS5tupleIblNS6_9null_typeES8_S8_S8_S8_S8_S8_S8_EEEEZNS1_11reduce_implILb1ES3_NS6_12zip_iteratorINS7_INS6_11hip_rocprim26transform_input_iterator_tIbNSD_35transform_pair_of_input_iterators_tIbNS6_6detail15normal_iteratorINS6_10device_ptrIKsEEEESL_NS6_8equal_toIsEEEENSG_9not_fun_tINSD_8identityEEEEENSD_19counting_iterator_tIlEES8_S8_S8_S8_S8_S8_S8_S8_EEEEPS9_S9_NSD_9__find_if7functorIS9_EEEE10hipError_tPvRmT1_T2_T3_mT4_P12ihipStream_tbEUlT_E0_NS1_11comp_targetILNS1_3genE4ELNS1_11target_archE910ELNS1_3gpuE8ELNS1_3repE0EEENS1_30default_config_static_selectorELNS0_4arch9wavefront6targetE0EEEvS14_.uses_vcc, 0
	.set _ZN7rocprim17ROCPRIM_400000_NS6detail17trampoline_kernelINS0_14default_configENS1_22reduce_config_selectorIN6thrust23THRUST_200600_302600_NS5tupleIblNS6_9null_typeES8_S8_S8_S8_S8_S8_S8_EEEEZNS1_11reduce_implILb1ES3_NS6_12zip_iteratorINS7_INS6_11hip_rocprim26transform_input_iterator_tIbNSD_35transform_pair_of_input_iterators_tIbNS6_6detail15normal_iteratorINS6_10device_ptrIKsEEEESL_NS6_8equal_toIsEEEENSG_9not_fun_tINSD_8identityEEEEENSD_19counting_iterator_tIlEES8_S8_S8_S8_S8_S8_S8_S8_EEEEPS9_S9_NSD_9__find_if7functorIS9_EEEE10hipError_tPvRmT1_T2_T3_mT4_P12ihipStream_tbEUlT_E0_NS1_11comp_targetILNS1_3genE4ELNS1_11target_archE910ELNS1_3gpuE8ELNS1_3repE0EEENS1_30default_config_static_selectorELNS0_4arch9wavefront6targetE0EEEvS14_.uses_flat_scratch, 0
	.set _ZN7rocprim17ROCPRIM_400000_NS6detail17trampoline_kernelINS0_14default_configENS1_22reduce_config_selectorIN6thrust23THRUST_200600_302600_NS5tupleIblNS6_9null_typeES8_S8_S8_S8_S8_S8_S8_EEEEZNS1_11reduce_implILb1ES3_NS6_12zip_iteratorINS7_INS6_11hip_rocprim26transform_input_iterator_tIbNSD_35transform_pair_of_input_iterators_tIbNS6_6detail15normal_iteratorINS6_10device_ptrIKsEEEESL_NS6_8equal_toIsEEEENSG_9not_fun_tINSD_8identityEEEEENSD_19counting_iterator_tIlEES8_S8_S8_S8_S8_S8_S8_S8_EEEEPS9_S9_NSD_9__find_if7functorIS9_EEEE10hipError_tPvRmT1_T2_T3_mT4_P12ihipStream_tbEUlT_E0_NS1_11comp_targetILNS1_3genE4ELNS1_11target_archE910ELNS1_3gpuE8ELNS1_3repE0EEENS1_30default_config_static_selectorELNS0_4arch9wavefront6targetE0EEEvS14_.has_dyn_sized_stack, 0
	.set _ZN7rocprim17ROCPRIM_400000_NS6detail17trampoline_kernelINS0_14default_configENS1_22reduce_config_selectorIN6thrust23THRUST_200600_302600_NS5tupleIblNS6_9null_typeES8_S8_S8_S8_S8_S8_S8_EEEEZNS1_11reduce_implILb1ES3_NS6_12zip_iteratorINS7_INS6_11hip_rocprim26transform_input_iterator_tIbNSD_35transform_pair_of_input_iterators_tIbNS6_6detail15normal_iteratorINS6_10device_ptrIKsEEEESL_NS6_8equal_toIsEEEENSG_9not_fun_tINSD_8identityEEEEENSD_19counting_iterator_tIlEES8_S8_S8_S8_S8_S8_S8_S8_EEEEPS9_S9_NSD_9__find_if7functorIS9_EEEE10hipError_tPvRmT1_T2_T3_mT4_P12ihipStream_tbEUlT_E0_NS1_11comp_targetILNS1_3genE4ELNS1_11target_archE910ELNS1_3gpuE8ELNS1_3repE0EEENS1_30default_config_static_selectorELNS0_4arch9wavefront6targetE0EEEvS14_.has_recursion, 0
	.set _ZN7rocprim17ROCPRIM_400000_NS6detail17trampoline_kernelINS0_14default_configENS1_22reduce_config_selectorIN6thrust23THRUST_200600_302600_NS5tupleIblNS6_9null_typeES8_S8_S8_S8_S8_S8_S8_EEEEZNS1_11reduce_implILb1ES3_NS6_12zip_iteratorINS7_INS6_11hip_rocprim26transform_input_iterator_tIbNSD_35transform_pair_of_input_iterators_tIbNS6_6detail15normal_iteratorINS6_10device_ptrIKsEEEESL_NS6_8equal_toIsEEEENSG_9not_fun_tINSD_8identityEEEEENSD_19counting_iterator_tIlEES8_S8_S8_S8_S8_S8_S8_S8_EEEEPS9_S9_NSD_9__find_if7functorIS9_EEEE10hipError_tPvRmT1_T2_T3_mT4_P12ihipStream_tbEUlT_E0_NS1_11comp_targetILNS1_3genE4ELNS1_11target_archE910ELNS1_3gpuE8ELNS1_3repE0EEENS1_30default_config_static_selectorELNS0_4arch9wavefront6targetE0EEEvS14_.has_indirect_call, 0
	.section	.AMDGPU.csdata,"",@progbits
; Kernel info:
; codeLenInByte = 0
; TotalNumSgprs: 0
; NumVgprs: 0
; ScratchSize: 0
; MemoryBound: 0
; FloatMode: 240
; IeeeMode: 1
; LDSByteSize: 0 bytes/workgroup (compile time only)
; SGPRBlocks: 0
; VGPRBlocks: 0
; NumSGPRsForWavesPerEU: 1
; NumVGPRsForWavesPerEU: 1
; NamedBarCnt: 0
; Occupancy: 16
; WaveLimiterHint : 0
; COMPUTE_PGM_RSRC2:SCRATCH_EN: 0
; COMPUTE_PGM_RSRC2:USER_SGPR: 2
; COMPUTE_PGM_RSRC2:TRAP_HANDLER: 0
; COMPUTE_PGM_RSRC2:TGID_X_EN: 1
; COMPUTE_PGM_RSRC2:TGID_Y_EN: 0
; COMPUTE_PGM_RSRC2:TGID_Z_EN: 0
; COMPUTE_PGM_RSRC2:TIDIG_COMP_CNT: 0
	.section	.text._ZN7rocprim17ROCPRIM_400000_NS6detail17trampoline_kernelINS0_14default_configENS1_22reduce_config_selectorIN6thrust23THRUST_200600_302600_NS5tupleIblNS6_9null_typeES8_S8_S8_S8_S8_S8_S8_EEEEZNS1_11reduce_implILb1ES3_NS6_12zip_iteratorINS7_INS6_11hip_rocprim26transform_input_iterator_tIbNSD_35transform_pair_of_input_iterators_tIbNS6_6detail15normal_iteratorINS6_10device_ptrIKsEEEESL_NS6_8equal_toIsEEEENSG_9not_fun_tINSD_8identityEEEEENSD_19counting_iterator_tIlEES8_S8_S8_S8_S8_S8_S8_S8_EEEEPS9_S9_NSD_9__find_if7functorIS9_EEEE10hipError_tPvRmT1_T2_T3_mT4_P12ihipStream_tbEUlT_E0_NS1_11comp_targetILNS1_3genE3ELNS1_11target_archE908ELNS1_3gpuE7ELNS1_3repE0EEENS1_30default_config_static_selectorELNS0_4arch9wavefront6targetE0EEEvS14_,"axG",@progbits,_ZN7rocprim17ROCPRIM_400000_NS6detail17trampoline_kernelINS0_14default_configENS1_22reduce_config_selectorIN6thrust23THRUST_200600_302600_NS5tupleIblNS6_9null_typeES8_S8_S8_S8_S8_S8_S8_EEEEZNS1_11reduce_implILb1ES3_NS6_12zip_iteratorINS7_INS6_11hip_rocprim26transform_input_iterator_tIbNSD_35transform_pair_of_input_iterators_tIbNS6_6detail15normal_iteratorINS6_10device_ptrIKsEEEESL_NS6_8equal_toIsEEEENSG_9not_fun_tINSD_8identityEEEEENSD_19counting_iterator_tIlEES8_S8_S8_S8_S8_S8_S8_S8_EEEEPS9_S9_NSD_9__find_if7functorIS9_EEEE10hipError_tPvRmT1_T2_T3_mT4_P12ihipStream_tbEUlT_E0_NS1_11comp_targetILNS1_3genE3ELNS1_11target_archE908ELNS1_3gpuE7ELNS1_3repE0EEENS1_30default_config_static_selectorELNS0_4arch9wavefront6targetE0EEEvS14_,comdat
	.protected	_ZN7rocprim17ROCPRIM_400000_NS6detail17trampoline_kernelINS0_14default_configENS1_22reduce_config_selectorIN6thrust23THRUST_200600_302600_NS5tupleIblNS6_9null_typeES8_S8_S8_S8_S8_S8_S8_EEEEZNS1_11reduce_implILb1ES3_NS6_12zip_iteratorINS7_INS6_11hip_rocprim26transform_input_iterator_tIbNSD_35transform_pair_of_input_iterators_tIbNS6_6detail15normal_iteratorINS6_10device_ptrIKsEEEESL_NS6_8equal_toIsEEEENSG_9not_fun_tINSD_8identityEEEEENSD_19counting_iterator_tIlEES8_S8_S8_S8_S8_S8_S8_S8_EEEEPS9_S9_NSD_9__find_if7functorIS9_EEEE10hipError_tPvRmT1_T2_T3_mT4_P12ihipStream_tbEUlT_E0_NS1_11comp_targetILNS1_3genE3ELNS1_11target_archE908ELNS1_3gpuE7ELNS1_3repE0EEENS1_30default_config_static_selectorELNS0_4arch9wavefront6targetE0EEEvS14_ ; -- Begin function _ZN7rocprim17ROCPRIM_400000_NS6detail17trampoline_kernelINS0_14default_configENS1_22reduce_config_selectorIN6thrust23THRUST_200600_302600_NS5tupleIblNS6_9null_typeES8_S8_S8_S8_S8_S8_S8_EEEEZNS1_11reduce_implILb1ES3_NS6_12zip_iteratorINS7_INS6_11hip_rocprim26transform_input_iterator_tIbNSD_35transform_pair_of_input_iterators_tIbNS6_6detail15normal_iteratorINS6_10device_ptrIKsEEEESL_NS6_8equal_toIsEEEENSG_9not_fun_tINSD_8identityEEEEENSD_19counting_iterator_tIlEES8_S8_S8_S8_S8_S8_S8_S8_EEEEPS9_S9_NSD_9__find_if7functorIS9_EEEE10hipError_tPvRmT1_T2_T3_mT4_P12ihipStream_tbEUlT_E0_NS1_11comp_targetILNS1_3genE3ELNS1_11target_archE908ELNS1_3gpuE7ELNS1_3repE0EEENS1_30default_config_static_selectorELNS0_4arch9wavefront6targetE0EEEvS14_
	.globl	_ZN7rocprim17ROCPRIM_400000_NS6detail17trampoline_kernelINS0_14default_configENS1_22reduce_config_selectorIN6thrust23THRUST_200600_302600_NS5tupleIblNS6_9null_typeES8_S8_S8_S8_S8_S8_S8_EEEEZNS1_11reduce_implILb1ES3_NS6_12zip_iteratorINS7_INS6_11hip_rocprim26transform_input_iterator_tIbNSD_35transform_pair_of_input_iterators_tIbNS6_6detail15normal_iteratorINS6_10device_ptrIKsEEEESL_NS6_8equal_toIsEEEENSG_9not_fun_tINSD_8identityEEEEENSD_19counting_iterator_tIlEES8_S8_S8_S8_S8_S8_S8_S8_EEEEPS9_S9_NSD_9__find_if7functorIS9_EEEE10hipError_tPvRmT1_T2_T3_mT4_P12ihipStream_tbEUlT_E0_NS1_11comp_targetILNS1_3genE3ELNS1_11target_archE908ELNS1_3gpuE7ELNS1_3repE0EEENS1_30default_config_static_selectorELNS0_4arch9wavefront6targetE0EEEvS14_
	.p2align	8
	.type	_ZN7rocprim17ROCPRIM_400000_NS6detail17trampoline_kernelINS0_14default_configENS1_22reduce_config_selectorIN6thrust23THRUST_200600_302600_NS5tupleIblNS6_9null_typeES8_S8_S8_S8_S8_S8_S8_EEEEZNS1_11reduce_implILb1ES3_NS6_12zip_iteratorINS7_INS6_11hip_rocprim26transform_input_iterator_tIbNSD_35transform_pair_of_input_iterators_tIbNS6_6detail15normal_iteratorINS6_10device_ptrIKsEEEESL_NS6_8equal_toIsEEEENSG_9not_fun_tINSD_8identityEEEEENSD_19counting_iterator_tIlEES8_S8_S8_S8_S8_S8_S8_S8_EEEEPS9_S9_NSD_9__find_if7functorIS9_EEEE10hipError_tPvRmT1_T2_T3_mT4_P12ihipStream_tbEUlT_E0_NS1_11comp_targetILNS1_3genE3ELNS1_11target_archE908ELNS1_3gpuE7ELNS1_3repE0EEENS1_30default_config_static_selectorELNS0_4arch9wavefront6targetE0EEEvS14_,@function
_ZN7rocprim17ROCPRIM_400000_NS6detail17trampoline_kernelINS0_14default_configENS1_22reduce_config_selectorIN6thrust23THRUST_200600_302600_NS5tupleIblNS6_9null_typeES8_S8_S8_S8_S8_S8_S8_EEEEZNS1_11reduce_implILb1ES3_NS6_12zip_iteratorINS7_INS6_11hip_rocprim26transform_input_iterator_tIbNSD_35transform_pair_of_input_iterators_tIbNS6_6detail15normal_iteratorINS6_10device_ptrIKsEEEESL_NS6_8equal_toIsEEEENSG_9not_fun_tINSD_8identityEEEEENSD_19counting_iterator_tIlEES8_S8_S8_S8_S8_S8_S8_S8_EEEEPS9_S9_NSD_9__find_if7functorIS9_EEEE10hipError_tPvRmT1_T2_T3_mT4_P12ihipStream_tbEUlT_E0_NS1_11comp_targetILNS1_3genE3ELNS1_11target_archE908ELNS1_3gpuE7ELNS1_3repE0EEENS1_30default_config_static_selectorELNS0_4arch9wavefront6targetE0EEEvS14_: ; @_ZN7rocprim17ROCPRIM_400000_NS6detail17trampoline_kernelINS0_14default_configENS1_22reduce_config_selectorIN6thrust23THRUST_200600_302600_NS5tupleIblNS6_9null_typeES8_S8_S8_S8_S8_S8_S8_EEEEZNS1_11reduce_implILb1ES3_NS6_12zip_iteratorINS7_INS6_11hip_rocprim26transform_input_iterator_tIbNSD_35transform_pair_of_input_iterators_tIbNS6_6detail15normal_iteratorINS6_10device_ptrIKsEEEESL_NS6_8equal_toIsEEEENSG_9not_fun_tINSD_8identityEEEEENSD_19counting_iterator_tIlEES8_S8_S8_S8_S8_S8_S8_S8_EEEEPS9_S9_NSD_9__find_if7functorIS9_EEEE10hipError_tPvRmT1_T2_T3_mT4_P12ihipStream_tbEUlT_E0_NS1_11comp_targetILNS1_3genE3ELNS1_11target_archE908ELNS1_3gpuE7ELNS1_3repE0EEENS1_30default_config_static_selectorELNS0_4arch9wavefront6targetE0EEEvS14_
; %bb.0:
	.section	.rodata,"a",@progbits
	.p2align	6, 0x0
	.amdhsa_kernel _ZN7rocprim17ROCPRIM_400000_NS6detail17trampoline_kernelINS0_14default_configENS1_22reduce_config_selectorIN6thrust23THRUST_200600_302600_NS5tupleIblNS6_9null_typeES8_S8_S8_S8_S8_S8_S8_EEEEZNS1_11reduce_implILb1ES3_NS6_12zip_iteratorINS7_INS6_11hip_rocprim26transform_input_iterator_tIbNSD_35transform_pair_of_input_iterators_tIbNS6_6detail15normal_iteratorINS6_10device_ptrIKsEEEESL_NS6_8equal_toIsEEEENSG_9not_fun_tINSD_8identityEEEEENSD_19counting_iterator_tIlEES8_S8_S8_S8_S8_S8_S8_S8_EEEEPS9_S9_NSD_9__find_if7functorIS9_EEEE10hipError_tPvRmT1_T2_T3_mT4_P12ihipStream_tbEUlT_E0_NS1_11comp_targetILNS1_3genE3ELNS1_11target_archE908ELNS1_3gpuE7ELNS1_3repE0EEENS1_30default_config_static_selectorELNS0_4arch9wavefront6targetE0EEEvS14_
		.amdhsa_group_segment_fixed_size 0
		.amdhsa_private_segment_fixed_size 0
		.amdhsa_kernarg_size 104
		.amdhsa_user_sgpr_count 2
		.amdhsa_user_sgpr_dispatch_ptr 0
		.amdhsa_user_sgpr_queue_ptr 0
		.amdhsa_user_sgpr_kernarg_segment_ptr 1
		.amdhsa_user_sgpr_dispatch_id 0
		.amdhsa_user_sgpr_kernarg_preload_length 0
		.amdhsa_user_sgpr_kernarg_preload_offset 0
		.amdhsa_user_sgpr_private_segment_size 0
		.amdhsa_wavefront_size32 1
		.amdhsa_uses_dynamic_stack 0
		.amdhsa_enable_private_segment 0
		.amdhsa_system_sgpr_workgroup_id_x 1
		.amdhsa_system_sgpr_workgroup_id_y 0
		.amdhsa_system_sgpr_workgroup_id_z 0
		.amdhsa_system_sgpr_workgroup_info 0
		.amdhsa_system_vgpr_workitem_id 0
		.amdhsa_next_free_vgpr 1
		.amdhsa_next_free_sgpr 1
		.amdhsa_named_barrier_count 0
		.amdhsa_reserve_vcc 0
		.amdhsa_float_round_mode_32 0
		.amdhsa_float_round_mode_16_64 0
		.amdhsa_float_denorm_mode_32 3
		.amdhsa_float_denorm_mode_16_64 3
		.amdhsa_fp16_overflow 0
		.amdhsa_memory_ordered 1
		.amdhsa_forward_progress 1
		.amdhsa_inst_pref_size 0
		.amdhsa_round_robin_scheduling 0
		.amdhsa_exception_fp_ieee_invalid_op 0
		.amdhsa_exception_fp_denorm_src 0
		.amdhsa_exception_fp_ieee_div_zero 0
		.amdhsa_exception_fp_ieee_overflow 0
		.amdhsa_exception_fp_ieee_underflow 0
		.amdhsa_exception_fp_ieee_inexact 0
		.amdhsa_exception_int_div_zero 0
	.end_amdhsa_kernel
	.section	.text._ZN7rocprim17ROCPRIM_400000_NS6detail17trampoline_kernelINS0_14default_configENS1_22reduce_config_selectorIN6thrust23THRUST_200600_302600_NS5tupleIblNS6_9null_typeES8_S8_S8_S8_S8_S8_S8_EEEEZNS1_11reduce_implILb1ES3_NS6_12zip_iteratorINS7_INS6_11hip_rocprim26transform_input_iterator_tIbNSD_35transform_pair_of_input_iterators_tIbNS6_6detail15normal_iteratorINS6_10device_ptrIKsEEEESL_NS6_8equal_toIsEEEENSG_9not_fun_tINSD_8identityEEEEENSD_19counting_iterator_tIlEES8_S8_S8_S8_S8_S8_S8_S8_EEEEPS9_S9_NSD_9__find_if7functorIS9_EEEE10hipError_tPvRmT1_T2_T3_mT4_P12ihipStream_tbEUlT_E0_NS1_11comp_targetILNS1_3genE3ELNS1_11target_archE908ELNS1_3gpuE7ELNS1_3repE0EEENS1_30default_config_static_selectorELNS0_4arch9wavefront6targetE0EEEvS14_,"axG",@progbits,_ZN7rocprim17ROCPRIM_400000_NS6detail17trampoline_kernelINS0_14default_configENS1_22reduce_config_selectorIN6thrust23THRUST_200600_302600_NS5tupleIblNS6_9null_typeES8_S8_S8_S8_S8_S8_S8_EEEEZNS1_11reduce_implILb1ES3_NS6_12zip_iteratorINS7_INS6_11hip_rocprim26transform_input_iterator_tIbNSD_35transform_pair_of_input_iterators_tIbNS6_6detail15normal_iteratorINS6_10device_ptrIKsEEEESL_NS6_8equal_toIsEEEENSG_9not_fun_tINSD_8identityEEEEENSD_19counting_iterator_tIlEES8_S8_S8_S8_S8_S8_S8_S8_EEEEPS9_S9_NSD_9__find_if7functorIS9_EEEE10hipError_tPvRmT1_T2_T3_mT4_P12ihipStream_tbEUlT_E0_NS1_11comp_targetILNS1_3genE3ELNS1_11target_archE908ELNS1_3gpuE7ELNS1_3repE0EEENS1_30default_config_static_selectorELNS0_4arch9wavefront6targetE0EEEvS14_,comdat
.Lfunc_end301:
	.size	_ZN7rocprim17ROCPRIM_400000_NS6detail17trampoline_kernelINS0_14default_configENS1_22reduce_config_selectorIN6thrust23THRUST_200600_302600_NS5tupleIblNS6_9null_typeES8_S8_S8_S8_S8_S8_S8_EEEEZNS1_11reduce_implILb1ES3_NS6_12zip_iteratorINS7_INS6_11hip_rocprim26transform_input_iterator_tIbNSD_35transform_pair_of_input_iterators_tIbNS6_6detail15normal_iteratorINS6_10device_ptrIKsEEEESL_NS6_8equal_toIsEEEENSG_9not_fun_tINSD_8identityEEEEENSD_19counting_iterator_tIlEES8_S8_S8_S8_S8_S8_S8_S8_EEEEPS9_S9_NSD_9__find_if7functorIS9_EEEE10hipError_tPvRmT1_T2_T3_mT4_P12ihipStream_tbEUlT_E0_NS1_11comp_targetILNS1_3genE3ELNS1_11target_archE908ELNS1_3gpuE7ELNS1_3repE0EEENS1_30default_config_static_selectorELNS0_4arch9wavefront6targetE0EEEvS14_, .Lfunc_end301-_ZN7rocprim17ROCPRIM_400000_NS6detail17trampoline_kernelINS0_14default_configENS1_22reduce_config_selectorIN6thrust23THRUST_200600_302600_NS5tupleIblNS6_9null_typeES8_S8_S8_S8_S8_S8_S8_EEEEZNS1_11reduce_implILb1ES3_NS6_12zip_iteratorINS7_INS6_11hip_rocprim26transform_input_iterator_tIbNSD_35transform_pair_of_input_iterators_tIbNS6_6detail15normal_iteratorINS6_10device_ptrIKsEEEESL_NS6_8equal_toIsEEEENSG_9not_fun_tINSD_8identityEEEEENSD_19counting_iterator_tIlEES8_S8_S8_S8_S8_S8_S8_S8_EEEEPS9_S9_NSD_9__find_if7functorIS9_EEEE10hipError_tPvRmT1_T2_T3_mT4_P12ihipStream_tbEUlT_E0_NS1_11comp_targetILNS1_3genE3ELNS1_11target_archE908ELNS1_3gpuE7ELNS1_3repE0EEENS1_30default_config_static_selectorELNS0_4arch9wavefront6targetE0EEEvS14_
                                        ; -- End function
	.set _ZN7rocprim17ROCPRIM_400000_NS6detail17trampoline_kernelINS0_14default_configENS1_22reduce_config_selectorIN6thrust23THRUST_200600_302600_NS5tupleIblNS6_9null_typeES8_S8_S8_S8_S8_S8_S8_EEEEZNS1_11reduce_implILb1ES3_NS6_12zip_iteratorINS7_INS6_11hip_rocprim26transform_input_iterator_tIbNSD_35transform_pair_of_input_iterators_tIbNS6_6detail15normal_iteratorINS6_10device_ptrIKsEEEESL_NS6_8equal_toIsEEEENSG_9not_fun_tINSD_8identityEEEEENSD_19counting_iterator_tIlEES8_S8_S8_S8_S8_S8_S8_S8_EEEEPS9_S9_NSD_9__find_if7functorIS9_EEEE10hipError_tPvRmT1_T2_T3_mT4_P12ihipStream_tbEUlT_E0_NS1_11comp_targetILNS1_3genE3ELNS1_11target_archE908ELNS1_3gpuE7ELNS1_3repE0EEENS1_30default_config_static_selectorELNS0_4arch9wavefront6targetE0EEEvS14_.num_vgpr, 0
	.set _ZN7rocprim17ROCPRIM_400000_NS6detail17trampoline_kernelINS0_14default_configENS1_22reduce_config_selectorIN6thrust23THRUST_200600_302600_NS5tupleIblNS6_9null_typeES8_S8_S8_S8_S8_S8_S8_EEEEZNS1_11reduce_implILb1ES3_NS6_12zip_iteratorINS7_INS6_11hip_rocprim26transform_input_iterator_tIbNSD_35transform_pair_of_input_iterators_tIbNS6_6detail15normal_iteratorINS6_10device_ptrIKsEEEESL_NS6_8equal_toIsEEEENSG_9not_fun_tINSD_8identityEEEEENSD_19counting_iterator_tIlEES8_S8_S8_S8_S8_S8_S8_S8_EEEEPS9_S9_NSD_9__find_if7functorIS9_EEEE10hipError_tPvRmT1_T2_T3_mT4_P12ihipStream_tbEUlT_E0_NS1_11comp_targetILNS1_3genE3ELNS1_11target_archE908ELNS1_3gpuE7ELNS1_3repE0EEENS1_30default_config_static_selectorELNS0_4arch9wavefront6targetE0EEEvS14_.num_agpr, 0
	.set _ZN7rocprim17ROCPRIM_400000_NS6detail17trampoline_kernelINS0_14default_configENS1_22reduce_config_selectorIN6thrust23THRUST_200600_302600_NS5tupleIblNS6_9null_typeES8_S8_S8_S8_S8_S8_S8_EEEEZNS1_11reduce_implILb1ES3_NS6_12zip_iteratorINS7_INS6_11hip_rocprim26transform_input_iterator_tIbNSD_35transform_pair_of_input_iterators_tIbNS6_6detail15normal_iteratorINS6_10device_ptrIKsEEEESL_NS6_8equal_toIsEEEENSG_9not_fun_tINSD_8identityEEEEENSD_19counting_iterator_tIlEES8_S8_S8_S8_S8_S8_S8_S8_EEEEPS9_S9_NSD_9__find_if7functorIS9_EEEE10hipError_tPvRmT1_T2_T3_mT4_P12ihipStream_tbEUlT_E0_NS1_11comp_targetILNS1_3genE3ELNS1_11target_archE908ELNS1_3gpuE7ELNS1_3repE0EEENS1_30default_config_static_selectorELNS0_4arch9wavefront6targetE0EEEvS14_.numbered_sgpr, 0
	.set _ZN7rocprim17ROCPRIM_400000_NS6detail17trampoline_kernelINS0_14default_configENS1_22reduce_config_selectorIN6thrust23THRUST_200600_302600_NS5tupleIblNS6_9null_typeES8_S8_S8_S8_S8_S8_S8_EEEEZNS1_11reduce_implILb1ES3_NS6_12zip_iteratorINS7_INS6_11hip_rocprim26transform_input_iterator_tIbNSD_35transform_pair_of_input_iterators_tIbNS6_6detail15normal_iteratorINS6_10device_ptrIKsEEEESL_NS6_8equal_toIsEEEENSG_9not_fun_tINSD_8identityEEEEENSD_19counting_iterator_tIlEES8_S8_S8_S8_S8_S8_S8_S8_EEEEPS9_S9_NSD_9__find_if7functorIS9_EEEE10hipError_tPvRmT1_T2_T3_mT4_P12ihipStream_tbEUlT_E0_NS1_11comp_targetILNS1_3genE3ELNS1_11target_archE908ELNS1_3gpuE7ELNS1_3repE0EEENS1_30default_config_static_selectorELNS0_4arch9wavefront6targetE0EEEvS14_.num_named_barrier, 0
	.set _ZN7rocprim17ROCPRIM_400000_NS6detail17trampoline_kernelINS0_14default_configENS1_22reduce_config_selectorIN6thrust23THRUST_200600_302600_NS5tupleIblNS6_9null_typeES8_S8_S8_S8_S8_S8_S8_EEEEZNS1_11reduce_implILb1ES3_NS6_12zip_iteratorINS7_INS6_11hip_rocprim26transform_input_iterator_tIbNSD_35transform_pair_of_input_iterators_tIbNS6_6detail15normal_iteratorINS6_10device_ptrIKsEEEESL_NS6_8equal_toIsEEEENSG_9not_fun_tINSD_8identityEEEEENSD_19counting_iterator_tIlEES8_S8_S8_S8_S8_S8_S8_S8_EEEEPS9_S9_NSD_9__find_if7functorIS9_EEEE10hipError_tPvRmT1_T2_T3_mT4_P12ihipStream_tbEUlT_E0_NS1_11comp_targetILNS1_3genE3ELNS1_11target_archE908ELNS1_3gpuE7ELNS1_3repE0EEENS1_30default_config_static_selectorELNS0_4arch9wavefront6targetE0EEEvS14_.private_seg_size, 0
	.set _ZN7rocprim17ROCPRIM_400000_NS6detail17trampoline_kernelINS0_14default_configENS1_22reduce_config_selectorIN6thrust23THRUST_200600_302600_NS5tupleIblNS6_9null_typeES8_S8_S8_S8_S8_S8_S8_EEEEZNS1_11reduce_implILb1ES3_NS6_12zip_iteratorINS7_INS6_11hip_rocprim26transform_input_iterator_tIbNSD_35transform_pair_of_input_iterators_tIbNS6_6detail15normal_iteratorINS6_10device_ptrIKsEEEESL_NS6_8equal_toIsEEEENSG_9not_fun_tINSD_8identityEEEEENSD_19counting_iterator_tIlEES8_S8_S8_S8_S8_S8_S8_S8_EEEEPS9_S9_NSD_9__find_if7functorIS9_EEEE10hipError_tPvRmT1_T2_T3_mT4_P12ihipStream_tbEUlT_E0_NS1_11comp_targetILNS1_3genE3ELNS1_11target_archE908ELNS1_3gpuE7ELNS1_3repE0EEENS1_30default_config_static_selectorELNS0_4arch9wavefront6targetE0EEEvS14_.uses_vcc, 0
	.set _ZN7rocprim17ROCPRIM_400000_NS6detail17trampoline_kernelINS0_14default_configENS1_22reduce_config_selectorIN6thrust23THRUST_200600_302600_NS5tupleIblNS6_9null_typeES8_S8_S8_S8_S8_S8_S8_EEEEZNS1_11reduce_implILb1ES3_NS6_12zip_iteratorINS7_INS6_11hip_rocprim26transform_input_iterator_tIbNSD_35transform_pair_of_input_iterators_tIbNS6_6detail15normal_iteratorINS6_10device_ptrIKsEEEESL_NS6_8equal_toIsEEEENSG_9not_fun_tINSD_8identityEEEEENSD_19counting_iterator_tIlEES8_S8_S8_S8_S8_S8_S8_S8_EEEEPS9_S9_NSD_9__find_if7functorIS9_EEEE10hipError_tPvRmT1_T2_T3_mT4_P12ihipStream_tbEUlT_E0_NS1_11comp_targetILNS1_3genE3ELNS1_11target_archE908ELNS1_3gpuE7ELNS1_3repE0EEENS1_30default_config_static_selectorELNS0_4arch9wavefront6targetE0EEEvS14_.uses_flat_scratch, 0
	.set _ZN7rocprim17ROCPRIM_400000_NS6detail17trampoline_kernelINS0_14default_configENS1_22reduce_config_selectorIN6thrust23THRUST_200600_302600_NS5tupleIblNS6_9null_typeES8_S8_S8_S8_S8_S8_S8_EEEEZNS1_11reduce_implILb1ES3_NS6_12zip_iteratorINS7_INS6_11hip_rocprim26transform_input_iterator_tIbNSD_35transform_pair_of_input_iterators_tIbNS6_6detail15normal_iteratorINS6_10device_ptrIKsEEEESL_NS6_8equal_toIsEEEENSG_9not_fun_tINSD_8identityEEEEENSD_19counting_iterator_tIlEES8_S8_S8_S8_S8_S8_S8_S8_EEEEPS9_S9_NSD_9__find_if7functorIS9_EEEE10hipError_tPvRmT1_T2_T3_mT4_P12ihipStream_tbEUlT_E0_NS1_11comp_targetILNS1_3genE3ELNS1_11target_archE908ELNS1_3gpuE7ELNS1_3repE0EEENS1_30default_config_static_selectorELNS0_4arch9wavefront6targetE0EEEvS14_.has_dyn_sized_stack, 0
	.set _ZN7rocprim17ROCPRIM_400000_NS6detail17trampoline_kernelINS0_14default_configENS1_22reduce_config_selectorIN6thrust23THRUST_200600_302600_NS5tupleIblNS6_9null_typeES8_S8_S8_S8_S8_S8_S8_EEEEZNS1_11reduce_implILb1ES3_NS6_12zip_iteratorINS7_INS6_11hip_rocprim26transform_input_iterator_tIbNSD_35transform_pair_of_input_iterators_tIbNS6_6detail15normal_iteratorINS6_10device_ptrIKsEEEESL_NS6_8equal_toIsEEEENSG_9not_fun_tINSD_8identityEEEEENSD_19counting_iterator_tIlEES8_S8_S8_S8_S8_S8_S8_S8_EEEEPS9_S9_NSD_9__find_if7functorIS9_EEEE10hipError_tPvRmT1_T2_T3_mT4_P12ihipStream_tbEUlT_E0_NS1_11comp_targetILNS1_3genE3ELNS1_11target_archE908ELNS1_3gpuE7ELNS1_3repE0EEENS1_30default_config_static_selectorELNS0_4arch9wavefront6targetE0EEEvS14_.has_recursion, 0
	.set _ZN7rocprim17ROCPRIM_400000_NS6detail17trampoline_kernelINS0_14default_configENS1_22reduce_config_selectorIN6thrust23THRUST_200600_302600_NS5tupleIblNS6_9null_typeES8_S8_S8_S8_S8_S8_S8_EEEEZNS1_11reduce_implILb1ES3_NS6_12zip_iteratorINS7_INS6_11hip_rocprim26transform_input_iterator_tIbNSD_35transform_pair_of_input_iterators_tIbNS6_6detail15normal_iteratorINS6_10device_ptrIKsEEEESL_NS6_8equal_toIsEEEENSG_9not_fun_tINSD_8identityEEEEENSD_19counting_iterator_tIlEES8_S8_S8_S8_S8_S8_S8_S8_EEEEPS9_S9_NSD_9__find_if7functorIS9_EEEE10hipError_tPvRmT1_T2_T3_mT4_P12ihipStream_tbEUlT_E0_NS1_11comp_targetILNS1_3genE3ELNS1_11target_archE908ELNS1_3gpuE7ELNS1_3repE0EEENS1_30default_config_static_selectorELNS0_4arch9wavefront6targetE0EEEvS14_.has_indirect_call, 0
	.section	.AMDGPU.csdata,"",@progbits
; Kernel info:
; codeLenInByte = 0
; TotalNumSgprs: 0
; NumVgprs: 0
; ScratchSize: 0
; MemoryBound: 0
; FloatMode: 240
; IeeeMode: 1
; LDSByteSize: 0 bytes/workgroup (compile time only)
; SGPRBlocks: 0
; VGPRBlocks: 0
; NumSGPRsForWavesPerEU: 1
; NumVGPRsForWavesPerEU: 1
; NamedBarCnt: 0
; Occupancy: 16
; WaveLimiterHint : 0
; COMPUTE_PGM_RSRC2:SCRATCH_EN: 0
; COMPUTE_PGM_RSRC2:USER_SGPR: 2
; COMPUTE_PGM_RSRC2:TRAP_HANDLER: 0
; COMPUTE_PGM_RSRC2:TGID_X_EN: 1
; COMPUTE_PGM_RSRC2:TGID_Y_EN: 0
; COMPUTE_PGM_RSRC2:TGID_Z_EN: 0
; COMPUTE_PGM_RSRC2:TIDIG_COMP_CNT: 0
	.section	.text._ZN7rocprim17ROCPRIM_400000_NS6detail17trampoline_kernelINS0_14default_configENS1_22reduce_config_selectorIN6thrust23THRUST_200600_302600_NS5tupleIblNS6_9null_typeES8_S8_S8_S8_S8_S8_S8_EEEEZNS1_11reduce_implILb1ES3_NS6_12zip_iteratorINS7_INS6_11hip_rocprim26transform_input_iterator_tIbNSD_35transform_pair_of_input_iterators_tIbNS6_6detail15normal_iteratorINS6_10device_ptrIKsEEEESL_NS6_8equal_toIsEEEENSG_9not_fun_tINSD_8identityEEEEENSD_19counting_iterator_tIlEES8_S8_S8_S8_S8_S8_S8_S8_EEEEPS9_S9_NSD_9__find_if7functorIS9_EEEE10hipError_tPvRmT1_T2_T3_mT4_P12ihipStream_tbEUlT_E0_NS1_11comp_targetILNS1_3genE2ELNS1_11target_archE906ELNS1_3gpuE6ELNS1_3repE0EEENS1_30default_config_static_selectorELNS0_4arch9wavefront6targetE0EEEvS14_,"axG",@progbits,_ZN7rocprim17ROCPRIM_400000_NS6detail17trampoline_kernelINS0_14default_configENS1_22reduce_config_selectorIN6thrust23THRUST_200600_302600_NS5tupleIblNS6_9null_typeES8_S8_S8_S8_S8_S8_S8_EEEEZNS1_11reduce_implILb1ES3_NS6_12zip_iteratorINS7_INS6_11hip_rocprim26transform_input_iterator_tIbNSD_35transform_pair_of_input_iterators_tIbNS6_6detail15normal_iteratorINS6_10device_ptrIKsEEEESL_NS6_8equal_toIsEEEENSG_9not_fun_tINSD_8identityEEEEENSD_19counting_iterator_tIlEES8_S8_S8_S8_S8_S8_S8_S8_EEEEPS9_S9_NSD_9__find_if7functorIS9_EEEE10hipError_tPvRmT1_T2_T3_mT4_P12ihipStream_tbEUlT_E0_NS1_11comp_targetILNS1_3genE2ELNS1_11target_archE906ELNS1_3gpuE6ELNS1_3repE0EEENS1_30default_config_static_selectorELNS0_4arch9wavefront6targetE0EEEvS14_,comdat
	.protected	_ZN7rocprim17ROCPRIM_400000_NS6detail17trampoline_kernelINS0_14default_configENS1_22reduce_config_selectorIN6thrust23THRUST_200600_302600_NS5tupleIblNS6_9null_typeES8_S8_S8_S8_S8_S8_S8_EEEEZNS1_11reduce_implILb1ES3_NS6_12zip_iteratorINS7_INS6_11hip_rocprim26transform_input_iterator_tIbNSD_35transform_pair_of_input_iterators_tIbNS6_6detail15normal_iteratorINS6_10device_ptrIKsEEEESL_NS6_8equal_toIsEEEENSG_9not_fun_tINSD_8identityEEEEENSD_19counting_iterator_tIlEES8_S8_S8_S8_S8_S8_S8_S8_EEEEPS9_S9_NSD_9__find_if7functorIS9_EEEE10hipError_tPvRmT1_T2_T3_mT4_P12ihipStream_tbEUlT_E0_NS1_11comp_targetILNS1_3genE2ELNS1_11target_archE906ELNS1_3gpuE6ELNS1_3repE0EEENS1_30default_config_static_selectorELNS0_4arch9wavefront6targetE0EEEvS14_ ; -- Begin function _ZN7rocprim17ROCPRIM_400000_NS6detail17trampoline_kernelINS0_14default_configENS1_22reduce_config_selectorIN6thrust23THRUST_200600_302600_NS5tupleIblNS6_9null_typeES8_S8_S8_S8_S8_S8_S8_EEEEZNS1_11reduce_implILb1ES3_NS6_12zip_iteratorINS7_INS6_11hip_rocprim26transform_input_iterator_tIbNSD_35transform_pair_of_input_iterators_tIbNS6_6detail15normal_iteratorINS6_10device_ptrIKsEEEESL_NS6_8equal_toIsEEEENSG_9not_fun_tINSD_8identityEEEEENSD_19counting_iterator_tIlEES8_S8_S8_S8_S8_S8_S8_S8_EEEEPS9_S9_NSD_9__find_if7functorIS9_EEEE10hipError_tPvRmT1_T2_T3_mT4_P12ihipStream_tbEUlT_E0_NS1_11comp_targetILNS1_3genE2ELNS1_11target_archE906ELNS1_3gpuE6ELNS1_3repE0EEENS1_30default_config_static_selectorELNS0_4arch9wavefront6targetE0EEEvS14_
	.globl	_ZN7rocprim17ROCPRIM_400000_NS6detail17trampoline_kernelINS0_14default_configENS1_22reduce_config_selectorIN6thrust23THRUST_200600_302600_NS5tupleIblNS6_9null_typeES8_S8_S8_S8_S8_S8_S8_EEEEZNS1_11reduce_implILb1ES3_NS6_12zip_iteratorINS7_INS6_11hip_rocprim26transform_input_iterator_tIbNSD_35transform_pair_of_input_iterators_tIbNS6_6detail15normal_iteratorINS6_10device_ptrIKsEEEESL_NS6_8equal_toIsEEEENSG_9not_fun_tINSD_8identityEEEEENSD_19counting_iterator_tIlEES8_S8_S8_S8_S8_S8_S8_S8_EEEEPS9_S9_NSD_9__find_if7functorIS9_EEEE10hipError_tPvRmT1_T2_T3_mT4_P12ihipStream_tbEUlT_E0_NS1_11comp_targetILNS1_3genE2ELNS1_11target_archE906ELNS1_3gpuE6ELNS1_3repE0EEENS1_30default_config_static_selectorELNS0_4arch9wavefront6targetE0EEEvS14_
	.p2align	8
	.type	_ZN7rocprim17ROCPRIM_400000_NS6detail17trampoline_kernelINS0_14default_configENS1_22reduce_config_selectorIN6thrust23THRUST_200600_302600_NS5tupleIblNS6_9null_typeES8_S8_S8_S8_S8_S8_S8_EEEEZNS1_11reduce_implILb1ES3_NS6_12zip_iteratorINS7_INS6_11hip_rocprim26transform_input_iterator_tIbNSD_35transform_pair_of_input_iterators_tIbNS6_6detail15normal_iteratorINS6_10device_ptrIKsEEEESL_NS6_8equal_toIsEEEENSG_9not_fun_tINSD_8identityEEEEENSD_19counting_iterator_tIlEES8_S8_S8_S8_S8_S8_S8_S8_EEEEPS9_S9_NSD_9__find_if7functorIS9_EEEE10hipError_tPvRmT1_T2_T3_mT4_P12ihipStream_tbEUlT_E0_NS1_11comp_targetILNS1_3genE2ELNS1_11target_archE906ELNS1_3gpuE6ELNS1_3repE0EEENS1_30default_config_static_selectorELNS0_4arch9wavefront6targetE0EEEvS14_,@function
_ZN7rocprim17ROCPRIM_400000_NS6detail17trampoline_kernelINS0_14default_configENS1_22reduce_config_selectorIN6thrust23THRUST_200600_302600_NS5tupleIblNS6_9null_typeES8_S8_S8_S8_S8_S8_S8_EEEEZNS1_11reduce_implILb1ES3_NS6_12zip_iteratorINS7_INS6_11hip_rocprim26transform_input_iterator_tIbNSD_35transform_pair_of_input_iterators_tIbNS6_6detail15normal_iteratorINS6_10device_ptrIKsEEEESL_NS6_8equal_toIsEEEENSG_9not_fun_tINSD_8identityEEEEENSD_19counting_iterator_tIlEES8_S8_S8_S8_S8_S8_S8_S8_EEEEPS9_S9_NSD_9__find_if7functorIS9_EEEE10hipError_tPvRmT1_T2_T3_mT4_P12ihipStream_tbEUlT_E0_NS1_11comp_targetILNS1_3genE2ELNS1_11target_archE906ELNS1_3gpuE6ELNS1_3repE0EEENS1_30default_config_static_selectorELNS0_4arch9wavefront6targetE0EEEvS14_: ; @_ZN7rocprim17ROCPRIM_400000_NS6detail17trampoline_kernelINS0_14default_configENS1_22reduce_config_selectorIN6thrust23THRUST_200600_302600_NS5tupleIblNS6_9null_typeES8_S8_S8_S8_S8_S8_S8_EEEEZNS1_11reduce_implILb1ES3_NS6_12zip_iteratorINS7_INS6_11hip_rocprim26transform_input_iterator_tIbNSD_35transform_pair_of_input_iterators_tIbNS6_6detail15normal_iteratorINS6_10device_ptrIKsEEEESL_NS6_8equal_toIsEEEENSG_9not_fun_tINSD_8identityEEEEENSD_19counting_iterator_tIlEES8_S8_S8_S8_S8_S8_S8_S8_EEEEPS9_S9_NSD_9__find_if7functorIS9_EEEE10hipError_tPvRmT1_T2_T3_mT4_P12ihipStream_tbEUlT_E0_NS1_11comp_targetILNS1_3genE2ELNS1_11target_archE906ELNS1_3gpuE6ELNS1_3repE0EEENS1_30default_config_static_selectorELNS0_4arch9wavefront6targetE0EEEvS14_
; %bb.0:
	.section	.rodata,"a",@progbits
	.p2align	6, 0x0
	.amdhsa_kernel _ZN7rocprim17ROCPRIM_400000_NS6detail17trampoline_kernelINS0_14default_configENS1_22reduce_config_selectorIN6thrust23THRUST_200600_302600_NS5tupleIblNS6_9null_typeES8_S8_S8_S8_S8_S8_S8_EEEEZNS1_11reduce_implILb1ES3_NS6_12zip_iteratorINS7_INS6_11hip_rocprim26transform_input_iterator_tIbNSD_35transform_pair_of_input_iterators_tIbNS6_6detail15normal_iteratorINS6_10device_ptrIKsEEEESL_NS6_8equal_toIsEEEENSG_9not_fun_tINSD_8identityEEEEENSD_19counting_iterator_tIlEES8_S8_S8_S8_S8_S8_S8_S8_EEEEPS9_S9_NSD_9__find_if7functorIS9_EEEE10hipError_tPvRmT1_T2_T3_mT4_P12ihipStream_tbEUlT_E0_NS1_11comp_targetILNS1_3genE2ELNS1_11target_archE906ELNS1_3gpuE6ELNS1_3repE0EEENS1_30default_config_static_selectorELNS0_4arch9wavefront6targetE0EEEvS14_
		.amdhsa_group_segment_fixed_size 0
		.amdhsa_private_segment_fixed_size 0
		.amdhsa_kernarg_size 104
		.amdhsa_user_sgpr_count 2
		.amdhsa_user_sgpr_dispatch_ptr 0
		.amdhsa_user_sgpr_queue_ptr 0
		.amdhsa_user_sgpr_kernarg_segment_ptr 1
		.amdhsa_user_sgpr_dispatch_id 0
		.amdhsa_user_sgpr_kernarg_preload_length 0
		.amdhsa_user_sgpr_kernarg_preload_offset 0
		.amdhsa_user_sgpr_private_segment_size 0
		.amdhsa_wavefront_size32 1
		.amdhsa_uses_dynamic_stack 0
		.amdhsa_enable_private_segment 0
		.amdhsa_system_sgpr_workgroup_id_x 1
		.amdhsa_system_sgpr_workgroup_id_y 0
		.amdhsa_system_sgpr_workgroup_id_z 0
		.amdhsa_system_sgpr_workgroup_info 0
		.amdhsa_system_vgpr_workitem_id 0
		.amdhsa_next_free_vgpr 1
		.amdhsa_next_free_sgpr 1
		.amdhsa_named_barrier_count 0
		.amdhsa_reserve_vcc 0
		.amdhsa_float_round_mode_32 0
		.amdhsa_float_round_mode_16_64 0
		.amdhsa_float_denorm_mode_32 3
		.amdhsa_float_denorm_mode_16_64 3
		.amdhsa_fp16_overflow 0
		.amdhsa_memory_ordered 1
		.amdhsa_forward_progress 1
		.amdhsa_inst_pref_size 0
		.amdhsa_round_robin_scheduling 0
		.amdhsa_exception_fp_ieee_invalid_op 0
		.amdhsa_exception_fp_denorm_src 0
		.amdhsa_exception_fp_ieee_div_zero 0
		.amdhsa_exception_fp_ieee_overflow 0
		.amdhsa_exception_fp_ieee_underflow 0
		.amdhsa_exception_fp_ieee_inexact 0
		.amdhsa_exception_int_div_zero 0
	.end_amdhsa_kernel
	.section	.text._ZN7rocprim17ROCPRIM_400000_NS6detail17trampoline_kernelINS0_14default_configENS1_22reduce_config_selectorIN6thrust23THRUST_200600_302600_NS5tupleIblNS6_9null_typeES8_S8_S8_S8_S8_S8_S8_EEEEZNS1_11reduce_implILb1ES3_NS6_12zip_iteratorINS7_INS6_11hip_rocprim26transform_input_iterator_tIbNSD_35transform_pair_of_input_iterators_tIbNS6_6detail15normal_iteratorINS6_10device_ptrIKsEEEESL_NS6_8equal_toIsEEEENSG_9not_fun_tINSD_8identityEEEEENSD_19counting_iterator_tIlEES8_S8_S8_S8_S8_S8_S8_S8_EEEEPS9_S9_NSD_9__find_if7functorIS9_EEEE10hipError_tPvRmT1_T2_T3_mT4_P12ihipStream_tbEUlT_E0_NS1_11comp_targetILNS1_3genE2ELNS1_11target_archE906ELNS1_3gpuE6ELNS1_3repE0EEENS1_30default_config_static_selectorELNS0_4arch9wavefront6targetE0EEEvS14_,"axG",@progbits,_ZN7rocprim17ROCPRIM_400000_NS6detail17trampoline_kernelINS0_14default_configENS1_22reduce_config_selectorIN6thrust23THRUST_200600_302600_NS5tupleIblNS6_9null_typeES8_S8_S8_S8_S8_S8_S8_EEEEZNS1_11reduce_implILb1ES3_NS6_12zip_iteratorINS7_INS6_11hip_rocprim26transform_input_iterator_tIbNSD_35transform_pair_of_input_iterators_tIbNS6_6detail15normal_iteratorINS6_10device_ptrIKsEEEESL_NS6_8equal_toIsEEEENSG_9not_fun_tINSD_8identityEEEEENSD_19counting_iterator_tIlEES8_S8_S8_S8_S8_S8_S8_S8_EEEEPS9_S9_NSD_9__find_if7functorIS9_EEEE10hipError_tPvRmT1_T2_T3_mT4_P12ihipStream_tbEUlT_E0_NS1_11comp_targetILNS1_3genE2ELNS1_11target_archE906ELNS1_3gpuE6ELNS1_3repE0EEENS1_30default_config_static_selectorELNS0_4arch9wavefront6targetE0EEEvS14_,comdat
.Lfunc_end302:
	.size	_ZN7rocprim17ROCPRIM_400000_NS6detail17trampoline_kernelINS0_14default_configENS1_22reduce_config_selectorIN6thrust23THRUST_200600_302600_NS5tupleIblNS6_9null_typeES8_S8_S8_S8_S8_S8_S8_EEEEZNS1_11reduce_implILb1ES3_NS6_12zip_iteratorINS7_INS6_11hip_rocprim26transform_input_iterator_tIbNSD_35transform_pair_of_input_iterators_tIbNS6_6detail15normal_iteratorINS6_10device_ptrIKsEEEESL_NS6_8equal_toIsEEEENSG_9not_fun_tINSD_8identityEEEEENSD_19counting_iterator_tIlEES8_S8_S8_S8_S8_S8_S8_S8_EEEEPS9_S9_NSD_9__find_if7functorIS9_EEEE10hipError_tPvRmT1_T2_T3_mT4_P12ihipStream_tbEUlT_E0_NS1_11comp_targetILNS1_3genE2ELNS1_11target_archE906ELNS1_3gpuE6ELNS1_3repE0EEENS1_30default_config_static_selectorELNS0_4arch9wavefront6targetE0EEEvS14_, .Lfunc_end302-_ZN7rocprim17ROCPRIM_400000_NS6detail17trampoline_kernelINS0_14default_configENS1_22reduce_config_selectorIN6thrust23THRUST_200600_302600_NS5tupleIblNS6_9null_typeES8_S8_S8_S8_S8_S8_S8_EEEEZNS1_11reduce_implILb1ES3_NS6_12zip_iteratorINS7_INS6_11hip_rocprim26transform_input_iterator_tIbNSD_35transform_pair_of_input_iterators_tIbNS6_6detail15normal_iteratorINS6_10device_ptrIKsEEEESL_NS6_8equal_toIsEEEENSG_9not_fun_tINSD_8identityEEEEENSD_19counting_iterator_tIlEES8_S8_S8_S8_S8_S8_S8_S8_EEEEPS9_S9_NSD_9__find_if7functorIS9_EEEE10hipError_tPvRmT1_T2_T3_mT4_P12ihipStream_tbEUlT_E0_NS1_11comp_targetILNS1_3genE2ELNS1_11target_archE906ELNS1_3gpuE6ELNS1_3repE0EEENS1_30default_config_static_selectorELNS0_4arch9wavefront6targetE0EEEvS14_
                                        ; -- End function
	.set _ZN7rocprim17ROCPRIM_400000_NS6detail17trampoline_kernelINS0_14default_configENS1_22reduce_config_selectorIN6thrust23THRUST_200600_302600_NS5tupleIblNS6_9null_typeES8_S8_S8_S8_S8_S8_S8_EEEEZNS1_11reduce_implILb1ES3_NS6_12zip_iteratorINS7_INS6_11hip_rocprim26transform_input_iterator_tIbNSD_35transform_pair_of_input_iterators_tIbNS6_6detail15normal_iteratorINS6_10device_ptrIKsEEEESL_NS6_8equal_toIsEEEENSG_9not_fun_tINSD_8identityEEEEENSD_19counting_iterator_tIlEES8_S8_S8_S8_S8_S8_S8_S8_EEEEPS9_S9_NSD_9__find_if7functorIS9_EEEE10hipError_tPvRmT1_T2_T3_mT4_P12ihipStream_tbEUlT_E0_NS1_11comp_targetILNS1_3genE2ELNS1_11target_archE906ELNS1_3gpuE6ELNS1_3repE0EEENS1_30default_config_static_selectorELNS0_4arch9wavefront6targetE0EEEvS14_.num_vgpr, 0
	.set _ZN7rocprim17ROCPRIM_400000_NS6detail17trampoline_kernelINS0_14default_configENS1_22reduce_config_selectorIN6thrust23THRUST_200600_302600_NS5tupleIblNS6_9null_typeES8_S8_S8_S8_S8_S8_S8_EEEEZNS1_11reduce_implILb1ES3_NS6_12zip_iteratorINS7_INS6_11hip_rocprim26transform_input_iterator_tIbNSD_35transform_pair_of_input_iterators_tIbNS6_6detail15normal_iteratorINS6_10device_ptrIKsEEEESL_NS6_8equal_toIsEEEENSG_9not_fun_tINSD_8identityEEEEENSD_19counting_iterator_tIlEES8_S8_S8_S8_S8_S8_S8_S8_EEEEPS9_S9_NSD_9__find_if7functorIS9_EEEE10hipError_tPvRmT1_T2_T3_mT4_P12ihipStream_tbEUlT_E0_NS1_11comp_targetILNS1_3genE2ELNS1_11target_archE906ELNS1_3gpuE6ELNS1_3repE0EEENS1_30default_config_static_selectorELNS0_4arch9wavefront6targetE0EEEvS14_.num_agpr, 0
	.set _ZN7rocprim17ROCPRIM_400000_NS6detail17trampoline_kernelINS0_14default_configENS1_22reduce_config_selectorIN6thrust23THRUST_200600_302600_NS5tupleIblNS6_9null_typeES8_S8_S8_S8_S8_S8_S8_EEEEZNS1_11reduce_implILb1ES3_NS6_12zip_iteratorINS7_INS6_11hip_rocprim26transform_input_iterator_tIbNSD_35transform_pair_of_input_iterators_tIbNS6_6detail15normal_iteratorINS6_10device_ptrIKsEEEESL_NS6_8equal_toIsEEEENSG_9not_fun_tINSD_8identityEEEEENSD_19counting_iterator_tIlEES8_S8_S8_S8_S8_S8_S8_S8_EEEEPS9_S9_NSD_9__find_if7functorIS9_EEEE10hipError_tPvRmT1_T2_T3_mT4_P12ihipStream_tbEUlT_E0_NS1_11comp_targetILNS1_3genE2ELNS1_11target_archE906ELNS1_3gpuE6ELNS1_3repE0EEENS1_30default_config_static_selectorELNS0_4arch9wavefront6targetE0EEEvS14_.numbered_sgpr, 0
	.set _ZN7rocprim17ROCPRIM_400000_NS6detail17trampoline_kernelINS0_14default_configENS1_22reduce_config_selectorIN6thrust23THRUST_200600_302600_NS5tupleIblNS6_9null_typeES8_S8_S8_S8_S8_S8_S8_EEEEZNS1_11reduce_implILb1ES3_NS6_12zip_iteratorINS7_INS6_11hip_rocprim26transform_input_iterator_tIbNSD_35transform_pair_of_input_iterators_tIbNS6_6detail15normal_iteratorINS6_10device_ptrIKsEEEESL_NS6_8equal_toIsEEEENSG_9not_fun_tINSD_8identityEEEEENSD_19counting_iterator_tIlEES8_S8_S8_S8_S8_S8_S8_S8_EEEEPS9_S9_NSD_9__find_if7functorIS9_EEEE10hipError_tPvRmT1_T2_T3_mT4_P12ihipStream_tbEUlT_E0_NS1_11comp_targetILNS1_3genE2ELNS1_11target_archE906ELNS1_3gpuE6ELNS1_3repE0EEENS1_30default_config_static_selectorELNS0_4arch9wavefront6targetE0EEEvS14_.num_named_barrier, 0
	.set _ZN7rocprim17ROCPRIM_400000_NS6detail17trampoline_kernelINS0_14default_configENS1_22reduce_config_selectorIN6thrust23THRUST_200600_302600_NS5tupleIblNS6_9null_typeES8_S8_S8_S8_S8_S8_S8_EEEEZNS1_11reduce_implILb1ES3_NS6_12zip_iteratorINS7_INS6_11hip_rocprim26transform_input_iterator_tIbNSD_35transform_pair_of_input_iterators_tIbNS6_6detail15normal_iteratorINS6_10device_ptrIKsEEEESL_NS6_8equal_toIsEEEENSG_9not_fun_tINSD_8identityEEEEENSD_19counting_iterator_tIlEES8_S8_S8_S8_S8_S8_S8_S8_EEEEPS9_S9_NSD_9__find_if7functorIS9_EEEE10hipError_tPvRmT1_T2_T3_mT4_P12ihipStream_tbEUlT_E0_NS1_11comp_targetILNS1_3genE2ELNS1_11target_archE906ELNS1_3gpuE6ELNS1_3repE0EEENS1_30default_config_static_selectorELNS0_4arch9wavefront6targetE0EEEvS14_.private_seg_size, 0
	.set _ZN7rocprim17ROCPRIM_400000_NS6detail17trampoline_kernelINS0_14default_configENS1_22reduce_config_selectorIN6thrust23THRUST_200600_302600_NS5tupleIblNS6_9null_typeES8_S8_S8_S8_S8_S8_S8_EEEEZNS1_11reduce_implILb1ES3_NS6_12zip_iteratorINS7_INS6_11hip_rocprim26transform_input_iterator_tIbNSD_35transform_pair_of_input_iterators_tIbNS6_6detail15normal_iteratorINS6_10device_ptrIKsEEEESL_NS6_8equal_toIsEEEENSG_9not_fun_tINSD_8identityEEEEENSD_19counting_iterator_tIlEES8_S8_S8_S8_S8_S8_S8_S8_EEEEPS9_S9_NSD_9__find_if7functorIS9_EEEE10hipError_tPvRmT1_T2_T3_mT4_P12ihipStream_tbEUlT_E0_NS1_11comp_targetILNS1_3genE2ELNS1_11target_archE906ELNS1_3gpuE6ELNS1_3repE0EEENS1_30default_config_static_selectorELNS0_4arch9wavefront6targetE0EEEvS14_.uses_vcc, 0
	.set _ZN7rocprim17ROCPRIM_400000_NS6detail17trampoline_kernelINS0_14default_configENS1_22reduce_config_selectorIN6thrust23THRUST_200600_302600_NS5tupleIblNS6_9null_typeES8_S8_S8_S8_S8_S8_S8_EEEEZNS1_11reduce_implILb1ES3_NS6_12zip_iteratorINS7_INS6_11hip_rocprim26transform_input_iterator_tIbNSD_35transform_pair_of_input_iterators_tIbNS6_6detail15normal_iteratorINS6_10device_ptrIKsEEEESL_NS6_8equal_toIsEEEENSG_9not_fun_tINSD_8identityEEEEENSD_19counting_iterator_tIlEES8_S8_S8_S8_S8_S8_S8_S8_EEEEPS9_S9_NSD_9__find_if7functorIS9_EEEE10hipError_tPvRmT1_T2_T3_mT4_P12ihipStream_tbEUlT_E0_NS1_11comp_targetILNS1_3genE2ELNS1_11target_archE906ELNS1_3gpuE6ELNS1_3repE0EEENS1_30default_config_static_selectorELNS0_4arch9wavefront6targetE0EEEvS14_.uses_flat_scratch, 0
	.set _ZN7rocprim17ROCPRIM_400000_NS6detail17trampoline_kernelINS0_14default_configENS1_22reduce_config_selectorIN6thrust23THRUST_200600_302600_NS5tupleIblNS6_9null_typeES8_S8_S8_S8_S8_S8_S8_EEEEZNS1_11reduce_implILb1ES3_NS6_12zip_iteratorINS7_INS6_11hip_rocprim26transform_input_iterator_tIbNSD_35transform_pair_of_input_iterators_tIbNS6_6detail15normal_iteratorINS6_10device_ptrIKsEEEESL_NS6_8equal_toIsEEEENSG_9not_fun_tINSD_8identityEEEEENSD_19counting_iterator_tIlEES8_S8_S8_S8_S8_S8_S8_S8_EEEEPS9_S9_NSD_9__find_if7functorIS9_EEEE10hipError_tPvRmT1_T2_T3_mT4_P12ihipStream_tbEUlT_E0_NS1_11comp_targetILNS1_3genE2ELNS1_11target_archE906ELNS1_3gpuE6ELNS1_3repE0EEENS1_30default_config_static_selectorELNS0_4arch9wavefront6targetE0EEEvS14_.has_dyn_sized_stack, 0
	.set _ZN7rocprim17ROCPRIM_400000_NS6detail17trampoline_kernelINS0_14default_configENS1_22reduce_config_selectorIN6thrust23THRUST_200600_302600_NS5tupleIblNS6_9null_typeES8_S8_S8_S8_S8_S8_S8_EEEEZNS1_11reduce_implILb1ES3_NS6_12zip_iteratorINS7_INS6_11hip_rocprim26transform_input_iterator_tIbNSD_35transform_pair_of_input_iterators_tIbNS6_6detail15normal_iteratorINS6_10device_ptrIKsEEEESL_NS6_8equal_toIsEEEENSG_9not_fun_tINSD_8identityEEEEENSD_19counting_iterator_tIlEES8_S8_S8_S8_S8_S8_S8_S8_EEEEPS9_S9_NSD_9__find_if7functorIS9_EEEE10hipError_tPvRmT1_T2_T3_mT4_P12ihipStream_tbEUlT_E0_NS1_11comp_targetILNS1_3genE2ELNS1_11target_archE906ELNS1_3gpuE6ELNS1_3repE0EEENS1_30default_config_static_selectorELNS0_4arch9wavefront6targetE0EEEvS14_.has_recursion, 0
	.set _ZN7rocprim17ROCPRIM_400000_NS6detail17trampoline_kernelINS0_14default_configENS1_22reduce_config_selectorIN6thrust23THRUST_200600_302600_NS5tupleIblNS6_9null_typeES8_S8_S8_S8_S8_S8_S8_EEEEZNS1_11reduce_implILb1ES3_NS6_12zip_iteratorINS7_INS6_11hip_rocprim26transform_input_iterator_tIbNSD_35transform_pair_of_input_iterators_tIbNS6_6detail15normal_iteratorINS6_10device_ptrIKsEEEESL_NS6_8equal_toIsEEEENSG_9not_fun_tINSD_8identityEEEEENSD_19counting_iterator_tIlEES8_S8_S8_S8_S8_S8_S8_S8_EEEEPS9_S9_NSD_9__find_if7functorIS9_EEEE10hipError_tPvRmT1_T2_T3_mT4_P12ihipStream_tbEUlT_E0_NS1_11comp_targetILNS1_3genE2ELNS1_11target_archE906ELNS1_3gpuE6ELNS1_3repE0EEENS1_30default_config_static_selectorELNS0_4arch9wavefront6targetE0EEEvS14_.has_indirect_call, 0
	.section	.AMDGPU.csdata,"",@progbits
; Kernel info:
; codeLenInByte = 0
; TotalNumSgprs: 0
; NumVgprs: 0
; ScratchSize: 0
; MemoryBound: 0
; FloatMode: 240
; IeeeMode: 1
; LDSByteSize: 0 bytes/workgroup (compile time only)
; SGPRBlocks: 0
; VGPRBlocks: 0
; NumSGPRsForWavesPerEU: 1
; NumVGPRsForWavesPerEU: 1
; NamedBarCnt: 0
; Occupancy: 16
; WaveLimiterHint : 0
; COMPUTE_PGM_RSRC2:SCRATCH_EN: 0
; COMPUTE_PGM_RSRC2:USER_SGPR: 2
; COMPUTE_PGM_RSRC2:TRAP_HANDLER: 0
; COMPUTE_PGM_RSRC2:TGID_X_EN: 1
; COMPUTE_PGM_RSRC2:TGID_Y_EN: 0
; COMPUTE_PGM_RSRC2:TGID_Z_EN: 0
; COMPUTE_PGM_RSRC2:TIDIG_COMP_CNT: 0
	.section	.text._ZN7rocprim17ROCPRIM_400000_NS6detail17trampoline_kernelINS0_14default_configENS1_22reduce_config_selectorIN6thrust23THRUST_200600_302600_NS5tupleIblNS6_9null_typeES8_S8_S8_S8_S8_S8_S8_EEEEZNS1_11reduce_implILb1ES3_NS6_12zip_iteratorINS7_INS6_11hip_rocprim26transform_input_iterator_tIbNSD_35transform_pair_of_input_iterators_tIbNS6_6detail15normal_iteratorINS6_10device_ptrIKsEEEESL_NS6_8equal_toIsEEEENSG_9not_fun_tINSD_8identityEEEEENSD_19counting_iterator_tIlEES8_S8_S8_S8_S8_S8_S8_S8_EEEEPS9_S9_NSD_9__find_if7functorIS9_EEEE10hipError_tPvRmT1_T2_T3_mT4_P12ihipStream_tbEUlT_E0_NS1_11comp_targetILNS1_3genE10ELNS1_11target_archE1201ELNS1_3gpuE5ELNS1_3repE0EEENS1_30default_config_static_selectorELNS0_4arch9wavefront6targetE0EEEvS14_,"axG",@progbits,_ZN7rocprim17ROCPRIM_400000_NS6detail17trampoline_kernelINS0_14default_configENS1_22reduce_config_selectorIN6thrust23THRUST_200600_302600_NS5tupleIblNS6_9null_typeES8_S8_S8_S8_S8_S8_S8_EEEEZNS1_11reduce_implILb1ES3_NS6_12zip_iteratorINS7_INS6_11hip_rocprim26transform_input_iterator_tIbNSD_35transform_pair_of_input_iterators_tIbNS6_6detail15normal_iteratorINS6_10device_ptrIKsEEEESL_NS6_8equal_toIsEEEENSG_9not_fun_tINSD_8identityEEEEENSD_19counting_iterator_tIlEES8_S8_S8_S8_S8_S8_S8_S8_EEEEPS9_S9_NSD_9__find_if7functorIS9_EEEE10hipError_tPvRmT1_T2_T3_mT4_P12ihipStream_tbEUlT_E0_NS1_11comp_targetILNS1_3genE10ELNS1_11target_archE1201ELNS1_3gpuE5ELNS1_3repE0EEENS1_30default_config_static_selectorELNS0_4arch9wavefront6targetE0EEEvS14_,comdat
	.protected	_ZN7rocprim17ROCPRIM_400000_NS6detail17trampoline_kernelINS0_14default_configENS1_22reduce_config_selectorIN6thrust23THRUST_200600_302600_NS5tupleIblNS6_9null_typeES8_S8_S8_S8_S8_S8_S8_EEEEZNS1_11reduce_implILb1ES3_NS6_12zip_iteratorINS7_INS6_11hip_rocprim26transform_input_iterator_tIbNSD_35transform_pair_of_input_iterators_tIbNS6_6detail15normal_iteratorINS6_10device_ptrIKsEEEESL_NS6_8equal_toIsEEEENSG_9not_fun_tINSD_8identityEEEEENSD_19counting_iterator_tIlEES8_S8_S8_S8_S8_S8_S8_S8_EEEEPS9_S9_NSD_9__find_if7functorIS9_EEEE10hipError_tPvRmT1_T2_T3_mT4_P12ihipStream_tbEUlT_E0_NS1_11comp_targetILNS1_3genE10ELNS1_11target_archE1201ELNS1_3gpuE5ELNS1_3repE0EEENS1_30default_config_static_selectorELNS0_4arch9wavefront6targetE0EEEvS14_ ; -- Begin function _ZN7rocprim17ROCPRIM_400000_NS6detail17trampoline_kernelINS0_14default_configENS1_22reduce_config_selectorIN6thrust23THRUST_200600_302600_NS5tupleIblNS6_9null_typeES8_S8_S8_S8_S8_S8_S8_EEEEZNS1_11reduce_implILb1ES3_NS6_12zip_iteratorINS7_INS6_11hip_rocprim26transform_input_iterator_tIbNSD_35transform_pair_of_input_iterators_tIbNS6_6detail15normal_iteratorINS6_10device_ptrIKsEEEESL_NS6_8equal_toIsEEEENSG_9not_fun_tINSD_8identityEEEEENSD_19counting_iterator_tIlEES8_S8_S8_S8_S8_S8_S8_S8_EEEEPS9_S9_NSD_9__find_if7functorIS9_EEEE10hipError_tPvRmT1_T2_T3_mT4_P12ihipStream_tbEUlT_E0_NS1_11comp_targetILNS1_3genE10ELNS1_11target_archE1201ELNS1_3gpuE5ELNS1_3repE0EEENS1_30default_config_static_selectorELNS0_4arch9wavefront6targetE0EEEvS14_
	.globl	_ZN7rocprim17ROCPRIM_400000_NS6detail17trampoline_kernelINS0_14default_configENS1_22reduce_config_selectorIN6thrust23THRUST_200600_302600_NS5tupleIblNS6_9null_typeES8_S8_S8_S8_S8_S8_S8_EEEEZNS1_11reduce_implILb1ES3_NS6_12zip_iteratorINS7_INS6_11hip_rocprim26transform_input_iterator_tIbNSD_35transform_pair_of_input_iterators_tIbNS6_6detail15normal_iteratorINS6_10device_ptrIKsEEEESL_NS6_8equal_toIsEEEENSG_9not_fun_tINSD_8identityEEEEENSD_19counting_iterator_tIlEES8_S8_S8_S8_S8_S8_S8_S8_EEEEPS9_S9_NSD_9__find_if7functorIS9_EEEE10hipError_tPvRmT1_T2_T3_mT4_P12ihipStream_tbEUlT_E0_NS1_11comp_targetILNS1_3genE10ELNS1_11target_archE1201ELNS1_3gpuE5ELNS1_3repE0EEENS1_30default_config_static_selectorELNS0_4arch9wavefront6targetE0EEEvS14_
	.p2align	8
	.type	_ZN7rocprim17ROCPRIM_400000_NS6detail17trampoline_kernelINS0_14default_configENS1_22reduce_config_selectorIN6thrust23THRUST_200600_302600_NS5tupleIblNS6_9null_typeES8_S8_S8_S8_S8_S8_S8_EEEEZNS1_11reduce_implILb1ES3_NS6_12zip_iteratorINS7_INS6_11hip_rocprim26transform_input_iterator_tIbNSD_35transform_pair_of_input_iterators_tIbNS6_6detail15normal_iteratorINS6_10device_ptrIKsEEEESL_NS6_8equal_toIsEEEENSG_9not_fun_tINSD_8identityEEEEENSD_19counting_iterator_tIlEES8_S8_S8_S8_S8_S8_S8_S8_EEEEPS9_S9_NSD_9__find_if7functorIS9_EEEE10hipError_tPvRmT1_T2_T3_mT4_P12ihipStream_tbEUlT_E0_NS1_11comp_targetILNS1_3genE10ELNS1_11target_archE1201ELNS1_3gpuE5ELNS1_3repE0EEENS1_30default_config_static_selectorELNS0_4arch9wavefront6targetE0EEEvS14_,@function
_ZN7rocprim17ROCPRIM_400000_NS6detail17trampoline_kernelINS0_14default_configENS1_22reduce_config_selectorIN6thrust23THRUST_200600_302600_NS5tupleIblNS6_9null_typeES8_S8_S8_S8_S8_S8_S8_EEEEZNS1_11reduce_implILb1ES3_NS6_12zip_iteratorINS7_INS6_11hip_rocprim26transform_input_iterator_tIbNSD_35transform_pair_of_input_iterators_tIbNS6_6detail15normal_iteratorINS6_10device_ptrIKsEEEESL_NS6_8equal_toIsEEEENSG_9not_fun_tINSD_8identityEEEEENSD_19counting_iterator_tIlEES8_S8_S8_S8_S8_S8_S8_S8_EEEEPS9_S9_NSD_9__find_if7functorIS9_EEEE10hipError_tPvRmT1_T2_T3_mT4_P12ihipStream_tbEUlT_E0_NS1_11comp_targetILNS1_3genE10ELNS1_11target_archE1201ELNS1_3gpuE5ELNS1_3repE0EEENS1_30default_config_static_selectorELNS0_4arch9wavefront6targetE0EEEvS14_: ; @_ZN7rocprim17ROCPRIM_400000_NS6detail17trampoline_kernelINS0_14default_configENS1_22reduce_config_selectorIN6thrust23THRUST_200600_302600_NS5tupleIblNS6_9null_typeES8_S8_S8_S8_S8_S8_S8_EEEEZNS1_11reduce_implILb1ES3_NS6_12zip_iteratorINS7_INS6_11hip_rocprim26transform_input_iterator_tIbNSD_35transform_pair_of_input_iterators_tIbNS6_6detail15normal_iteratorINS6_10device_ptrIKsEEEESL_NS6_8equal_toIsEEEENSG_9not_fun_tINSD_8identityEEEEENSD_19counting_iterator_tIlEES8_S8_S8_S8_S8_S8_S8_S8_EEEEPS9_S9_NSD_9__find_if7functorIS9_EEEE10hipError_tPvRmT1_T2_T3_mT4_P12ihipStream_tbEUlT_E0_NS1_11comp_targetILNS1_3genE10ELNS1_11target_archE1201ELNS1_3gpuE5ELNS1_3repE0EEENS1_30default_config_static_selectorELNS0_4arch9wavefront6targetE0EEEvS14_
; %bb.0:
	.section	.rodata,"a",@progbits
	.p2align	6, 0x0
	.amdhsa_kernel _ZN7rocprim17ROCPRIM_400000_NS6detail17trampoline_kernelINS0_14default_configENS1_22reduce_config_selectorIN6thrust23THRUST_200600_302600_NS5tupleIblNS6_9null_typeES8_S8_S8_S8_S8_S8_S8_EEEEZNS1_11reduce_implILb1ES3_NS6_12zip_iteratorINS7_INS6_11hip_rocprim26transform_input_iterator_tIbNSD_35transform_pair_of_input_iterators_tIbNS6_6detail15normal_iteratorINS6_10device_ptrIKsEEEESL_NS6_8equal_toIsEEEENSG_9not_fun_tINSD_8identityEEEEENSD_19counting_iterator_tIlEES8_S8_S8_S8_S8_S8_S8_S8_EEEEPS9_S9_NSD_9__find_if7functorIS9_EEEE10hipError_tPvRmT1_T2_T3_mT4_P12ihipStream_tbEUlT_E0_NS1_11comp_targetILNS1_3genE10ELNS1_11target_archE1201ELNS1_3gpuE5ELNS1_3repE0EEENS1_30default_config_static_selectorELNS0_4arch9wavefront6targetE0EEEvS14_
		.amdhsa_group_segment_fixed_size 0
		.amdhsa_private_segment_fixed_size 0
		.amdhsa_kernarg_size 104
		.amdhsa_user_sgpr_count 2
		.amdhsa_user_sgpr_dispatch_ptr 0
		.amdhsa_user_sgpr_queue_ptr 0
		.amdhsa_user_sgpr_kernarg_segment_ptr 1
		.amdhsa_user_sgpr_dispatch_id 0
		.amdhsa_user_sgpr_kernarg_preload_length 0
		.amdhsa_user_sgpr_kernarg_preload_offset 0
		.amdhsa_user_sgpr_private_segment_size 0
		.amdhsa_wavefront_size32 1
		.amdhsa_uses_dynamic_stack 0
		.amdhsa_enable_private_segment 0
		.amdhsa_system_sgpr_workgroup_id_x 1
		.amdhsa_system_sgpr_workgroup_id_y 0
		.amdhsa_system_sgpr_workgroup_id_z 0
		.amdhsa_system_sgpr_workgroup_info 0
		.amdhsa_system_vgpr_workitem_id 0
		.amdhsa_next_free_vgpr 1
		.amdhsa_next_free_sgpr 1
		.amdhsa_named_barrier_count 0
		.amdhsa_reserve_vcc 0
		.amdhsa_float_round_mode_32 0
		.amdhsa_float_round_mode_16_64 0
		.amdhsa_float_denorm_mode_32 3
		.amdhsa_float_denorm_mode_16_64 3
		.amdhsa_fp16_overflow 0
		.amdhsa_memory_ordered 1
		.amdhsa_forward_progress 1
		.amdhsa_inst_pref_size 0
		.amdhsa_round_robin_scheduling 0
		.amdhsa_exception_fp_ieee_invalid_op 0
		.amdhsa_exception_fp_denorm_src 0
		.amdhsa_exception_fp_ieee_div_zero 0
		.amdhsa_exception_fp_ieee_overflow 0
		.amdhsa_exception_fp_ieee_underflow 0
		.amdhsa_exception_fp_ieee_inexact 0
		.amdhsa_exception_int_div_zero 0
	.end_amdhsa_kernel
	.section	.text._ZN7rocprim17ROCPRIM_400000_NS6detail17trampoline_kernelINS0_14default_configENS1_22reduce_config_selectorIN6thrust23THRUST_200600_302600_NS5tupleIblNS6_9null_typeES8_S8_S8_S8_S8_S8_S8_EEEEZNS1_11reduce_implILb1ES3_NS6_12zip_iteratorINS7_INS6_11hip_rocprim26transform_input_iterator_tIbNSD_35transform_pair_of_input_iterators_tIbNS6_6detail15normal_iteratorINS6_10device_ptrIKsEEEESL_NS6_8equal_toIsEEEENSG_9not_fun_tINSD_8identityEEEEENSD_19counting_iterator_tIlEES8_S8_S8_S8_S8_S8_S8_S8_EEEEPS9_S9_NSD_9__find_if7functorIS9_EEEE10hipError_tPvRmT1_T2_T3_mT4_P12ihipStream_tbEUlT_E0_NS1_11comp_targetILNS1_3genE10ELNS1_11target_archE1201ELNS1_3gpuE5ELNS1_3repE0EEENS1_30default_config_static_selectorELNS0_4arch9wavefront6targetE0EEEvS14_,"axG",@progbits,_ZN7rocprim17ROCPRIM_400000_NS6detail17trampoline_kernelINS0_14default_configENS1_22reduce_config_selectorIN6thrust23THRUST_200600_302600_NS5tupleIblNS6_9null_typeES8_S8_S8_S8_S8_S8_S8_EEEEZNS1_11reduce_implILb1ES3_NS6_12zip_iteratorINS7_INS6_11hip_rocprim26transform_input_iterator_tIbNSD_35transform_pair_of_input_iterators_tIbNS6_6detail15normal_iteratorINS6_10device_ptrIKsEEEESL_NS6_8equal_toIsEEEENSG_9not_fun_tINSD_8identityEEEEENSD_19counting_iterator_tIlEES8_S8_S8_S8_S8_S8_S8_S8_EEEEPS9_S9_NSD_9__find_if7functorIS9_EEEE10hipError_tPvRmT1_T2_T3_mT4_P12ihipStream_tbEUlT_E0_NS1_11comp_targetILNS1_3genE10ELNS1_11target_archE1201ELNS1_3gpuE5ELNS1_3repE0EEENS1_30default_config_static_selectorELNS0_4arch9wavefront6targetE0EEEvS14_,comdat
.Lfunc_end303:
	.size	_ZN7rocprim17ROCPRIM_400000_NS6detail17trampoline_kernelINS0_14default_configENS1_22reduce_config_selectorIN6thrust23THRUST_200600_302600_NS5tupleIblNS6_9null_typeES8_S8_S8_S8_S8_S8_S8_EEEEZNS1_11reduce_implILb1ES3_NS6_12zip_iteratorINS7_INS6_11hip_rocprim26transform_input_iterator_tIbNSD_35transform_pair_of_input_iterators_tIbNS6_6detail15normal_iteratorINS6_10device_ptrIKsEEEESL_NS6_8equal_toIsEEEENSG_9not_fun_tINSD_8identityEEEEENSD_19counting_iterator_tIlEES8_S8_S8_S8_S8_S8_S8_S8_EEEEPS9_S9_NSD_9__find_if7functorIS9_EEEE10hipError_tPvRmT1_T2_T3_mT4_P12ihipStream_tbEUlT_E0_NS1_11comp_targetILNS1_3genE10ELNS1_11target_archE1201ELNS1_3gpuE5ELNS1_3repE0EEENS1_30default_config_static_selectorELNS0_4arch9wavefront6targetE0EEEvS14_, .Lfunc_end303-_ZN7rocprim17ROCPRIM_400000_NS6detail17trampoline_kernelINS0_14default_configENS1_22reduce_config_selectorIN6thrust23THRUST_200600_302600_NS5tupleIblNS6_9null_typeES8_S8_S8_S8_S8_S8_S8_EEEEZNS1_11reduce_implILb1ES3_NS6_12zip_iteratorINS7_INS6_11hip_rocprim26transform_input_iterator_tIbNSD_35transform_pair_of_input_iterators_tIbNS6_6detail15normal_iteratorINS6_10device_ptrIKsEEEESL_NS6_8equal_toIsEEEENSG_9not_fun_tINSD_8identityEEEEENSD_19counting_iterator_tIlEES8_S8_S8_S8_S8_S8_S8_S8_EEEEPS9_S9_NSD_9__find_if7functorIS9_EEEE10hipError_tPvRmT1_T2_T3_mT4_P12ihipStream_tbEUlT_E0_NS1_11comp_targetILNS1_3genE10ELNS1_11target_archE1201ELNS1_3gpuE5ELNS1_3repE0EEENS1_30default_config_static_selectorELNS0_4arch9wavefront6targetE0EEEvS14_
                                        ; -- End function
	.set _ZN7rocprim17ROCPRIM_400000_NS6detail17trampoline_kernelINS0_14default_configENS1_22reduce_config_selectorIN6thrust23THRUST_200600_302600_NS5tupleIblNS6_9null_typeES8_S8_S8_S8_S8_S8_S8_EEEEZNS1_11reduce_implILb1ES3_NS6_12zip_iteratorINS7_INS6_11hip_rocprim26transform_input_iterator_tIbNSD_35transform_pair_of_input_iterators_tIbNS6_6detail15normal_iteratorINS6_10device_ptrIKsEEEESL_NS6_8equal_toIsEEEENSG_9not_fun_tINSD_8identityEEEEENSD_19counting_iterator_tIlEES8_S8_S8_S8_S8_S8_S8_S8_EEEEPS9_S9_NSD_9__find_if7functorIS9_EEEE10hipError_tPvRmT1_T2_T3_mT4_P12ihipStream_tbEUlT_E0_NS1_11comp_targetILNS1_3genE10ELNS1_11target_archE1201ELNS1_3gpuE5ELNS1_3repE0EEENS1_30default_config_static_selectorELNS0_4arch9wavefront6targetE0EEEvS14_.num_vgpr, 0
	.set _ZN7rocprim17ROCPRIM_400000_NS6detail17trampoline_kernelINS0_14default_configENS1_22reduce_config_selectorIN6thrust23THRUST_200600_302600_NS5tupleIblNS6_9null_typeES8_S8_S8_S8_S8_S8_S8_EEEEZNS1_11reduce_implILb1ES3_NS6_12zip_iteratorINS7_INS6_11hip_rocprim26transform_input_iterator_tIbNSD_35transform_pair_of_input_iterators_tIbNS6_6detail15normal_iteratorINS6_10device_ptrIKsEEEESL_NS6_8equal_toIsEEEENSG_9not_fun_tINSD_8identityEEEEENSD_19counting_iterator_tIlEES8_S8_S8_S8_S8_S8_S8_S8_EEEEPS9_S9_NSD_9__find_if7functorIS9_EEEE10hipError_tPvRmT1_T2_T3_mT4_P12ihipStream_tbEUlT_E0_NS1_11comp_targetILNS1_3genE10ELNS1_11target_archE1201ELNS1_3gpuE5ELNS1_3repE0EEENS1_30default_config_static_selectorELNS0_4arch9wavefront6targetE0EEEvS14_.num_agpr, 0
	.set _ZN7rocprim17ROCPRIM_400000_NS6detail17trampoline_kernelINS0_14default_configENS1_22reduce_config_selectorIN6thrust23THRUST_200600_302600_NS5tupleIblNS6_9null_typeES8_S8_S8_S8_S8_S8_S8_EEEEZNS1_11reduce_implILb1ES3_NS6_12zip_iteratorINS7_INS6_11hip_rocprim26transform_input_iterator_tIbNSD_35transform_pair_of_input_iterators_tIbNS6_6detail15normal_iteratorINS6_10device_ptrIKsEEEESL_NS6_8equal_toIsEEEENSG_9not_fun_tINSD_8identityEEEEENSD_19counting_iterator_tIlEES8_S8_S8_S8_S8_S8_S8_S8_EEEEPS9_S9_NSD_9__find_if7functorIS9_EEEE10hipError_tPvRmT1_T2_T3_mT4_P12ihipStream_tbEUlT_E0_NS1_11comp_targetILNS1_3genE10ELNS1_11target_archE1201ELNS1_3gpuE5ELNS1_3repE0EEENS1_30default_config_static_selectorELNS0_4arch9wavefront6targetE0EEEvS14_.numbered_sgpr, 0
	.set _ZN7rocprim17ROCPRIM_400000_NS6detail17trampoline_kernelINS0_14default_configENS1_22reduce_config_selectorIN6thrust23THRUST_200600_302600_NS5tupleIblNS6_9null_typeES8_S8_S8_S8_S8_S8_S8_EEEEZNS1_11reduce_implILb1ES3_NS6_12zip_iteratorINS7_INS6_11hip_rocprim26transform_input_iterator_tIbNSD_35transform_pair_of_input_iterators_tIbNS6_6detail15normal_iteratorINS6_10device_ptrIKsEEEESL_NS6_8equal_toIsEEEENSG_9not_fun_tINSD_8identityEEEEENSD_19counting_iterator_tIlEES8_S8_S8_S8_S8_S8_S8_S8_EEEEPS9_S9_NSD_9__find_if7functorIS9_EEEE10hipError_tPvRmT1_T2_T3_mT4_P12ihipStream_tbEUlT_E0_NS1_11comp_targetILNS1_3genE10ELNS1_11target_archE1201ELNS1_3gpuE5ELNS1_3repE0EEENS1_30default_config_static_selectorELNS0_4arch9wavefront6targetE0EEEvS14_.num_named_barrier, 0
	.set _ZN7rocprim17ROCPRIM_400000_NS6detail17trampoline_kernelINS0_14default_configENS1_22reduce_config_selectorIN6thrust23THRUST_200600_302600_NS5tupleIblNS6_9null_typeES8_S8_S8_S8_S8_S8_S8_EEEEZNS1_11reduce_implILb1ES3_NS6_12zip_iteratorINS7_INS6_11hip_rocprim26transform_input_iterator_tIbNSD_35transform_pair_of_input_iterators_tIbNS6_6detail15normal_iteratorINS6_10device_ptrIKsEEEESL_NS6_8equal_toIsEEEENSG_9not_fun_tINSD_8identityEEEEENSD_19counting_iterator_tIlEES8_S8_S8_S8_S8_S8_S8_S8_EEEEPS9_S9_NSD_9__find_if7functorIS9_EEEE10hipError_tPvRmT1_T2_T3_mT4_P12ihipStream_tbEUlT_E0_NS1_11comp_targetILNS1_3genE10ELNS1_11target_archE1201ELNS1_3gpuE5ELNS1_3repE0EEENS1_30default_config_static_selectorELNS0_4arch9wavefront6targetE0EEEvS14_.private_seg_size, 0
	.set _ZN7rocprim17ROCPRIM_400000_NS6detail17trampoline_kernelINS0_14default_configENS1_22reduce_config_selectorIN6thrust23THRUST_200600_302600_NS5tupleIblNS6_9null_typeES8_S8_S8_S8_S8_S8_S8_EEEEZNS1_11reduce_implILb1ES3_NS6_12zip_iteratorINS7_INS6_11hip_rocprim26transform_input_iterator_tIbNSD_35transform_pair_of_input_iterators_tIbNS6_6detail15normal_iteratorINS6_10device_ptrIKsEEEESL_NS6_8equal_toIsEEEENSG_9not_fun_tINSD_8identityEEEEENSD_19counting_iterator_tIlEES8_S8_S8_S8_S8_S8_S8_S8_EEEEPS9_S9_NSD_9__find_if7functorIS9_EEEE10hipError_tPvRmT1_T2_T3_mT4_P12ihipStream_tbEUlT_E0_NS1_11comp_targetILNS1_3genE10ELNS1_11target_archE1201ELNS1_3gpuE5ELNS1_3repE0EEENS1_30default_config_static_selectorELNS0_4arch9wavefront6targetE0EEEvS14_.uses_vcc, 0
	.set _ZN7rocprim17ROCPRIM_400000_NS6detail17trampoline_kernelINS0_14default_configENS1_22reduce_config_selectorIN6thrust23THRUST_200600_302600_NS5tupleIblNS6_9null_typeES8_S8_S8_S8_S8_S8_S8_EEEEZNS1_11reduce_implILb1ES3_NS6_12zip_iteratorINS7_INS6_11hip_rocprim26transform_input_iterator_tIbNSD_35transform_pair_of_input_iterators_tIbNS6_6detail15normal_iteratorINS6_10device_ptrIKsEEEESL_NS6_8equal_toIsEEEENSG_9not_fun_tINSD_8identityEEEEENSD_19counting_iterator_tIlEES8_S8_S8_S8_S8_S8_S8_S8_EEEEPS9_S9_NSD_9__find_if7functorIS9_EEEE10hipError_tPvRmT1_T2_T3_mT4_P12ihipStream_tbEUlT_E0_NS1_11comp_targetILNS1_3genE10ELNS1_11target_archE1201ELNS1_3gpuE5ELNS1_3repE0EEENS1_30default_config_static_selectorELNS0_4arch9wavefront6targetE0EEEvS14_.uses_flat_scratch, 0
	.set _ZN7rocprim17ROCPRIM_400000_NS6detail17trampoline_kernelINS0_14default_configENS1_22reduce_config_selectorIN6thrust23THRUST_200600_302600_NS5tupleIblNS6_9null_typeES8_S8_S8_S8_S8_S8_S8_EEEEZNS1_11reduce_implILb1ES3_NS6_12zip_iteratorINS7_INS6_11hip_rocprim26transform_input_iterator_tIbNSD_35transform_pair_of_input_iterators_tIbNS6_6detail15normal_iteratorINS6_10device_ptrIKsEEEESL_NS6_8equal_toIsEEEENSG_9not_fun_tINSD_8identityEEEEENSD_19counting_iterator_tIlEES8_S8_S8_S8_S8_S8_S8_S8_EEEEPS9_S9_NSD_9__find_if7functorIS9_EEEE10hipError_tPvRmT1_T2_T3_mT4_P12ihipStream_tbEUlT_E0_NS1_11comp_targetILNS1_3genE10ELNS1_11target_archE1201ELNS1_3gpuE5ELNS1_3repE0EEENS1_30default_config_static_selectorELNS0_4arch9wavefront6targetE0EEEvS14_.has_dyn_sized_stack, 0
	.set _ZN7rocprim17ROCPRIM_400000_NS6detail17trampoline_kernelINS0_14default_configENS1_22reduce_config_selectorIN6thrust23THRUST_200600_302600_NS5tupleIblNS6_9null_typeES8_S8_S8_S8_S8_S8_S8_EEEEZNS1_11reduce_implILb1ES3_NS6_12zip_iteratorINS7_INS6_11hip_rocprim26transform_input_iterator_tIbNSD_35transform_pair_of_input_iterators_tIbNS6_6detail15normal_iteratorINS6_10device_ptrIKsEEEESL_NS6_8equal_toIsEEEENSG_9not_fun_tINSD_8identityEEEEENSD_19counting_iterator_tIlEES8_S8_S8_S8_S8_S8_S8_S8_EEEEPS9_S9_NSD_9__find_if7functorIS9_EEEE10hipError_tPvRmT1_T2_T3_mT4_P12ihipStream_tbEUlT_E0_NS1_11comp_targetILNS1_3genE10ELNS1_11target_archE1201ELNS1_3gpuE5ELNS1_3repE0EEENS1_30default_config_static_selectorELNS0_4arch9wavefront6targetE0EEEvS14_.has_recursion, 0
	.set _ZN7rocprim17ROCPRIM_400000_NS6detail17trampoline_kernelINS0_14default_configENS1_22reduce_config_selectorIN6thrust23THRUST_200600_302600_NS5tupleIblNS6_9null_typeES8_S8_S8_S8_S8_S8_S8_EEEEZNS1_11reduce_implILb1ES3_NS6_12zip_iteratorINS7_INS6_11hip_rocprim26transform_input_iterator_tIbNSD_35transform_pair_of_input_iterators_tIbNS6_6detail15normal_iteratorINS6_10device_ptrIKsEEEESL_NS6_8equal_toIsEEEENSG_9not_fun_tINSD_8identityEEEEENSD_19counting_iterator_tIlEES8_S8_S8_S8_S8_S8_S8_S8_EEEEPS9_S9_NSD_9__find_if7functorIS9_EEEE10hipError_tPvRmT1_T2_T3_mT4_P12ihipStream_tbEUlT_E0_NS1_11comp_targetILNS1_3genE10ELNS1_11target_archE1201ELNS1_3gpuE5ELNS1_3repE0EEENS1_30default_config_static_selectorELNS0_4arch9wavefront6targetE0EEEvS14_.has_indirect_call, 0
	.section	.AMDGPU.csdata,"",@progbits
; Kernel info:
; codeLenInByte = 0
; TotalNumSgprs: 0
; NumVgprs: 0
; ScratchSize: 0
; MemoryBound: 0
; FloatMode: 240
; IeeeMode: 1
; LDSByteSize: 0 bytes/workgroup (compile time only)
; SGPRBlocks: 0
; VGPRBlocks: 0
; NumSGPRsForWavesPerEU: 1
; NumVGPRsForWavesPerEU: 1
; NamedBarCnt: 0
; Occupancy: 16
; WaveLimiterHint : 0
; COMPUTE_PGM_RSRC2:SCRATCH_EN: 0
; COMPUTE_PGM_RSRC2:USER_SGPR: 2
; COMPUTE_PGM_RSRC2:TRAP_HANDLER: 0
; COMPUTE_PGM_RSRC2:TGID_X_EN: 1
; COMPUTE_PGM_RSRC2:TGID_Y_EN: 0
; COMPUTE_PGM_RSRC2:TGID_Z_EN: 0
; COMPUTE_PGM_RSRC2:TIDIG_COMP_CNT: 0
	.section	.text._ZN7rocprim17ROCPRIM_400000_NS6detail17trampoline_kernelINS0_14default_configENS1_22reduce_config_selectorIN6thrust23THRUST_200600_302600_NS5tupleIblNS6_9null_typeES8_S8_S8_S8_S8_S8_S8_EEEEZNS1_11reduce_implILb1ES3_NS6_12zip_iteratorINS7_INS6_11hip_rocprim26transform_input_iterator_tIbNSD_35transform_pair_of_input_iterators_tIbNS6_6detail15normal_iteratorINS6_10device_ptrIKsEEEESL_NS6_8equal_toIsEEEENSG_9not_fun_tINSD_8identityEEEEENSD_19counting_iterator_tIlEES8_S8_S8_S8_S8_S8_S8_S8_EEEEPS9_S9_NSD_9__find_if7functorIS9_EEEE10hipError_tPvRmT1_T2_T3_mT4_P12ihipStream_tbEUlT_E0_NS1_11comp_targetILNS1_3genE10ELNS1_11target_archE1200ELNS1_3gpuE4ELNS1_3repE0EEENS1_30default_config_static_selectorELNS0_4arch9wavefront6targetE0EEEvS14_,"axG",@progbits,_ZN7rocprim17ROCPRIM_400000_NS6detail17trampoline_kernelINS0_14default_configENS1_22reduce_config_selectorIN6thrust23THRUST_200600_302600_NS5tupleIblNS6_9null_typeES8_S8_S8_S8_S8_S8_S8_EEEEZNS1_11reduce_implILb1ES3_NS6_12zip_iteratorINS7_INS6_11hip_rocprim26transform_input_iterator_tIbNSD_35transform_pair_of_input_iterators_tIbNS6_6detail15normal_iteratorINS6_10device_ptrIKsEEEESL_NS6_8equal_toIsEEEENSG_9not_fun_tINSD_8identityEEEEENSD_19counting_iterator_tIlEES8_S8_S8_S8_S8_S8_S8_S8_EEEEPS9_S9_NSD_9__find_if7functorIS9_EEEE10hipError_tPvRmT1_T2_T3_mT4_P12ihipStream_tbEUlT_E0_NS1_11comp_targetILNS1_3genE10ELNS1_11target_archE1200ELNS1_3gpuE4ELNS1_3repE0EEENS1_30default_config_static_selectorELNS0_4arch9wavefront6targetE0EEEvS14_,comdat
	.protected	_ZN7rocprim17ROCPRIM_400000_NS6detail17trampoline_kernelINS0_14default_configENS1_22reduce_config_selectorIN6thrust23THRUST_200600_302600_NS5tupleIblNS6_9null_typeES8_S8_S8_S8_S8_S8_S8_EEEEZNS1_11reduce_implILb1ES3_NS6_12zip_iteratorINS7_INS6_11hip_rocprim26transform_input_iterator_tIbNSD_35transform_pair_of_input_iterators_tIbNS6_6detail15normal_iteratorINS6_10device_ptrIKsEEEESL_NS6_8equal_toIsEEEENSG_9not_fun_tINSD_8identityEEEEENSD_19counting_iterator_tIlEES8_S8_S8_S8_S8_S8_S8_S8_EEEEPS9_S9_NSD_9__find_if7functorIS9_EEEE10hipError_tPvRmT1_T2_T3_mT4_P12ihipStream_tbEUlT_E0_NS1_11comp_targetILNS1_3genE10ELNS1_11target_archE1200ELNS1_3gpuE4ELNS1_3repE0EEENS1_30default_config_static_selectorELNS0_4arch9wavefront6targetE0EEEvS14_ ; -- Begin function _ZN7rocprim17ROCPRIM_400000_NS6detail17trampoline_kernelINS0_14default_configENS1_22reduce_config_selectorIN6thrust23THRUST_200600_302600_NS5tupleIblNS6_9null_typeES8_S8_S8_S8_S8_S8_S8_EEEEZNS1_11reduce_implILb1ES3_NS6_12zip_iteratorINS7_INS6_11hip_rocprim26transform_input_iterator_tIbNSD_35transform_pair_of_input_iterators_tIbNS6_6detail15normal_iteratorINS6_10device_ptrIKsEEEESL_NS6_8equal_toIsEEEENSG_9not_fun_tINSD_8identityEEEEENSD_19counting_iterator_tIlEES8_S8_S8_S8_S8_S8_S8_S8_EEEEPS9_S9_NSD_9__find_if7functorIS9_EEEE10hipError_tPvRmT1_T2_T3_mT4_P12ihipStream_tbEUlT_E0_NS1_11comp_targetILNS1_3genE10ELNS1_11target_archE1200ELNS1_3gpuE4ELNS1_3repE0EEENS1_30default_config_static_selectorELNS0_4arch9wavefront6targetE0EEEvS14_
	.globl	_ZN7rocprim17ROCPRIM_400000_NS6detail17trampoline_kernelINS0_14default_configENS1_22reduce_config_selectorIN6thrust23THRUST_200600_302600_NS5tupleIblNS6_9null_typeES8_S8_S8_S8_S8_S8_S8_EEEEZNS1_11reduce_implILb1ES3_NS6_12zip_iteratorINS7_INS6_11hip_rocprim26transform_input_iterator_tIbNSD_35transform_pair_of_input_iterators_tIbNS6_6detail15normal_iteratorINS6_10device_ptrIKsEEEESL_NS6_8equal_toIsEEEENSG_9not_fun_tINSD_8identityEEEEENSD_19counting_iterator_tIlEES8_S8_S8_S8_S8_S8_S8_S8_EEEEPS9_S9_NSD_9__find_if7functorIS9_EEEE10hipError_tPvRmT1_T2_T3_mT4_P12ihipStream_tbEUlT_E0_NS1_11comp_targetILNS1_3genE10ELNS1_11target_archE1200ELNS1_3gpuE4ELNS1_3repE0EEENS1_30default_config_static_selectorELNS0_4arch9wavefront6targetE0EEEvS14_
	.p2align	8
	.type	_ZN7rocprim17ROCPRIM_400000_NS6detail17trampoline_kernelINS0_14default_configENS1_22reduce_config_selectorIN6thrust23THRUST_200600_302600_NS5tupleIblNS6_9null_typeES8_S8_S8_S8_S8_S8_S8_EEEEZNS1_11reduce_implILb1ES3_NS6_12zip_iteratorINS7_INS6_11hip_rocprim26transform_input_iterator_tIbNSD_35transform_pair_of_input_iterators_tIbNS6_6detail15normal_iteratorINS6_10device_ptrIKsEEEESL_NS6_8equal_toIsEEEENSG_9not_fun_tINSD_8identityEEEEENSD_19counting_iterator_tIlEES8_S8_S8_S8_S8_S8_S8_S8_EEEEPS9_S9_NSD_9__find_if7functorIS9_EEEE10hipError_tPvRmT1_T2_T3_mT4_P12ihipStream_tbEUlT_E0_NS1_11comp_targetILNS1_3genE10ELNS1_11target_archE1200ELNS1_3gpuE4ELNS1_3repE0EEENS1_30default_config_static_selectorELNS0_4arch9wavefront6targetE0EEEvS14_,@function
_ZN7rocprim17ROCPRIM_400000_NS6detail17trampoline_kernelINS0_14default_configENS1_22reduce_config_selectorIN6thrust23THRUST_200600_302600_NS5tupleIblNS6_9null_typeES8_S8_S8_S8_S8_S8_S8_EEEEZNS1_11reduce_implILb1ES3_NS6_12zip_iteratorINS7_INS6_11hip_rocprim26transform_input_iterator_tIbNSD_35transform_pair_of_input_iterators_tIbNS6_6detail15normal_iteratorINS6_10device_ptrIKsEEEESL_NS6_8equal_toIsEEEENSG_9not_fun_tINSD_8identityEEEEENSD_19counting_iterator_tIlEES8_S8_S8_S8_S8_S8_S8_S8_EEEEPS9_S9_NSD_9__find_if7functorIS9_EEEE10hipError_tPvRmT1_T2_T3_mT4_P12ihipStream_tbEUlT_E0_NS1_11comp_targetILNS1_3genE10ELNS1_11target_archE1200ELNS1_3gpuE4ELNS1_3repE0EEENS1_30default_config_static_selectorELNS0_4arch9wavefront6targetE0EEEvS14_: ; @_ZN7rocprim17ROCPRIM_400000_NS6detail17trampoline_kernelINS0_14default_configENS1_22reduce_config_selectorIN6thrust23THRUST_200600_302600_NS5tupleIblNS6_9null_typeES8_S8_S8_S8_S8_S8_S8_EEEEZNS1_11reduce_implILb1ES3_NS6_12zip_iteratorINS7_INS6_11hip_rocprim26transform_input_iterator_tIbNSD_35transform_pair_of_input_iterators_tIbNS6_6detail15normal_iteratorINS6_10device_ptrIKsEEEESL_NS6_8equal_toIsEEEENSG_9not_fun_tINSD_8identityEEEEENSD_19counting_iterator_tIlEES8_S8_S8_S8_S8_S8_S8_S8_EEEEPS9_S9_NSD_9__find_if7functorIS9_EEEE10hipError_tPvRmT1_T2_T3_mT4_P12ihipStream_tbEUlT_E0_NS1_11comp_targetILNS1_3genE10ELNS1_11target_archE1200ELNS1_3gpuE4ELNS1_3repE0EEENS1_30default_config_static_selectorELNS0_4arch9wavefront6targetE0EEEvS14_
; %bb.0:
	.section	.rodata,"a",@progbits
	.p2align	6, 0x0
	.amdhsa_kernel _ZN7rocprim17ROCPRIM_400000_NS6detail17trampoline_kernelINS0_14default_configENS1_22reduce_config_selectorIN6thrust23THRUST_200600_302600_NS5tupleIblNS6_9null_typeES8_S8_S8_S8_S8_S8_S8_EEEEZNS1_11reduce_implILb1ES3_NS6_12zip_iteratorINS7_INS6_11hip_rocprim26transform_input_iterator_tIbNSD_35transform_pair_of_input_iterators_tIbNS6_6detail15normal_iteratorINS6_10device_ptrIKsEEEESL_NS6_8equal_toIsEEEENSG_9not_fun_tINSD_8identityEEEEENSD_19counting_iterator_tIlEES8_S8_S8_S8_S8_S8_S8_S8_EEEEPS9_S9_NSD_9__find_if7functorIS9_EEEE10hipError_tPvRmT1_T2_T3_mT4_P12ihipStream_tbEUlT_E0_NS1_11comp_targetILNS1_3genE10ELNS1_11target_archE1200ELNS1_3gpuE4ELNS1_3repE0EEENS1_30default_config_static_selectorELNS0_4arch9wavefront6targetE0EEEvS14_
		.amdhsa_group_segment_fixed_size 0
		.amdhsa_private_segment_fixed_size 0
		.amdhsa_kernarg_size 104
		.amdhsa_user_sgpr_count 2
		.amdhsa_user_sgpr_dispatch_ptr 0
		.amdhsa_user_sgpr_queue_ptr 0
		.amdhsa_user_sgpr_kernarg_segment_ptr 1
		.amdhsa_user_sgpr_dispatch_id 0
		.amdhsa_user_sgpr_kernarg_preload_length 0
		.amdhsa_user_sgpr_kernarg_preload_offset 0
		.amdhsa_user_sgpr_private_segment_size 0
		.amdhsa_wavefront_size32 1
		.amdhsa_uses_dynamic_stack 0
		.amdhsa_enable_private_segment 0
		.amdhsa_system_sgpr_workgroup_id_x 1
		.amdhsa_system_sgpr_workgroup_id_y 0
		.amdhsa_system_sgpr_workgroup_id_z 0
		.amdhsa_system_sgpr_workgroup_info 0
		.amdhsa_system_vgpr_workitem_id 0
		.amdhsa_next_free_vgpr 1
		.amdhsa_next_free_sgpr 1
		.amdhsa_named_barrier_count 0
		.amdhsa_reserve_vcc 0
		.amdhsa_float_round_mode_32 0
		.amdhsa_float_round_mode_16_64 0
		.amdhsa_float_denorm_mode_32 3
		.amdhsa_float_denorm_mode_16_64 3
		.amdhsa_fp16_overflow 0
		.amdhsa_memory_ordered 1
		.amdhsa_forward_progress 1
		.amdhsa_inst_pref_size 0
		.amdhsa_round_robin_scheduling 0
		.amdhsa_exception_fp_ieee_invalid_op 0
		.amdhsa_exception_fp_denorm_src 0
		.amdhsa_exception_fp_ieee_div_zero 0
		.amdhsa_exception_fp_ieee_overflow 0
		.amdhsa_exception_fp_ieee_underflow 0
		.amdhsa_exception_fp_ieee_inexact 0
		.amdhsa_exception_int_div_zero 0
	.end_amdhsa_kernel
	.section	.text._ZN7rocprim17ROCPRIM_400000_NS6detail17trampoline_kernelINS0_14default_configENS1_22reduce_config_selectorIN6thrust23THRUST_200600_302600_NS5tupleIblNS6_9null_typeES8_S8_S8_S8_S8_S8_S8_EEEEZNS1_11reduce_implILb1ES3_NS6_12zip_iteratorINS7_INS6_11hip_rocprim26transform_input_iterator_tIbNSD_35transform_pair_of_input_iterators_tIbNS6_6detail15normal_iteratorINS6_10device_ptrIKsEEEESL_NS6_8equal_toIsEEEENSG_9not_fun_tINSD_8identityEEEEENSD_19counting_iterator_tIlEES8_S8_S8_S8_S8_S8_S8_S8_EEEEPS9_S9_NSD_9__find_if7functorIS9_EEEE10hipError_tPvRmT1_T2_T3_mT4_P12ihipStream_tbEUlT_E0_NS1_11comp_targetILNS1_3genE10ELNS1_11target_archE1200ELNS1_3gpuE4ELNS1_3repE0EEENS1_30default_config_static_selectorELNS0_4arch9wavefront6targetE0EEEvS14_,"axG",@progbits,_ZN7rocprim17ROCPRIM_400000_NS6detail17trampoline_kernelINS0_14default_configENS1_22reduce_config_selectorIN6thrust23THRUST_200600_302600_NS5tupleIblNS6_9null_typeES8_S8_S8_S8_S8_S8_S8_EEEEZNS1_11reduce_implILb1ES3_NS6_12zip_iteratorINS7_INS6_11hip_rocprim26transform_input_iterator_tIbNSD_35transform_pair_of_input_iterators_tIbNS6_6detail15normal_iteratorINS6_10device_ptrIKsEEEESL_NS6_8equal_toIsEEEENSG_9not_fun_tINSD_8identityEEEEENSD_19counting_iterator_tIlEES8_S8_S8_S8_S8_S8_S8_S8_EEEEPS9_S9_NSD_9__find_if7functorIS9_EEEE10hipError_tPvRmT1_T2_T3_mT4_P12ihipStream_tbEUlT_E0_NS1_11comp_targetILNS1_3genE10ELNS1_11target_archE1200ELNS1_3gpuE4ELNS1_3repE0EEENS1_30default_config_static_selectorELNS0_4arch9wavefront6targetE0EEEvS14_,comdat
.Lfunc_end304:
	.size	_ZN7rocprim17ROCPRIM_400000_NS6detail17trampoline_kernelINS0_14default_configENS1_22reduce_config_selectorIN6thrust23THRUST_200600_302600_NS5tupleIblNS6_9null_typeES8_S8_S8_S8_S8_S8_S8_EEEEZNS1_11reduce_implILb1ES3_NS6_12zip_iteratorINS7_INS6_11hip_rocprim26transform_input_iterator_tIbNSD_35transform_pair_of_input_iterators_tIbNS6_6detail15normal_iteratorINS6_10device_ptrIKsEEEESL_NS6_8equal_toIsEEEENSG_9not_fun_tINSD_8identityEEEEENSD_19counting_iterator_tIlEES8_S8_S8_S8_S8_S8_S8_S8_EEEEPS9_S9_NSD_9__find_if7functorIS9_EEEE10hipError_tPvRmT1_T2_T3_mT4_P12ihipStream_tbEUlT_E0_NS1_11comp_targetILNS1_3genE10ELNS1_11target_archE1200ELNS1_3gpuE4ELNS1_3repE0EEENS1_30default_config_static_selectorELNS0_4arch9wavefront6targetE0EEEvS14_, .Lfunc_end304-_ZN7rocprim17ROCPRIM_400000_NS6detail17trampoline_kernelINS0_14default_configENS1_22reduce_config_selectorIN6thrust23THRUST_200600_302600_NS5tupleIblNS6_9null_typeES8_S8_S8_S8_S8_S8_S8_EEEEZNS1_11reduce_implILb1ES3_NS6_12zip_iteratorINS7_INS6_11hip_rocprim26transform_input_iterator_tIbNSD_35transform_pair_of_input_iterators_tIbNS6_6detail15normal_iteratorINS6_10device_ptrIKsEEEESL_NS6_8equal_toIsEEEENSG_9not_fun_tINSD_8identityEEEEENSD_19counting_iterator_tIlEES8_S8_S8_S8_S8_S8_S8_S8_EEEEPS9_S9_NSD_9__find_if7functorIS9_EEEE10hipError_tPvRmT1_T2_T3_mT4_P12ihipStream_tbEUlT_E0_NS1_11comp_targetILNS1_3genE10ELNS1_11target_archE1200ELNS1_3gpuE4ELNS1_3repE0EEENS1_30default_config_static_selectorELNS0_4arch9wavefront6targetE0EEEvS14_
                                        ; -- End function
	.set _ZN7rocprim17ROCPRIM_400000_NS6detail17trampoline_kernelINS0_14default_configENS1_22reduce_config_selectorIN6thrust23THRUST_200600_302600_NS5tupleIblNS6_9null_typeES8_S8_S8_S8_S8_S8_S8_EEEEZNS1_11reduce_implILb1ES3_NS6_12zip_iteratorINS7_INS6_11hip_rocprim26transform_input_iterator_tIbNSD_35transform_pair_of_input_iterators_tIbNS6_6detail15normal_iteratorINS6_10device_ptrIKsEEEESL_NS6_8equal_toIsEEEENSG_9not_fun_tINSD_8identityEEEEENSD_19counting_iterator_tIlEES8_S8_S8_S8_S8_S8_S8_S8_EEEEPS9_S9_NSD_9__find_if7functorIS9_EEEE10hipError_tPvRmT1_T2_T3_mT4_P12ihipStream_tbEUlT_E0_NS1_11comp_targetILNS1_3genE10ELNS1_11target_archE1200ELNS1_3gpuE4ELNS1_3repE0EEENS1_30default_config_static_selectorELNS0_4arch9wavefront6targetE0EEEvS14_.num_vgpr, 0
	.set _ZN7rocprim17ROCPRIM_400000_NS6detail17trampoline_kernelINS0_14default_configENS1_22reduce_config_selectorIN6thrust23THRUST_200600_302600_NS5tupleIblNS6_9null_typeES8_S8_S8_S8_S8_S8_S8_EEEEZNS1_11reduce_implILb1ES3_NS6_12zip_iteratorINS7_INS6_11hip_rocprim26transform_input_iterator_tIbNSD_35transform_pair_of_input_iterators_tIbNS6_6detail15normal_iteratorINS6_10device_ptrIKsEEEESL_NS6_8equal_toIsEEEENSG_9not_fun_tINSD_8identityEEEEENSD_19counting_iterator_tIlEES8_S8_S8_S8_S8_S8_S8_S8_EEEEPS9_S9_NSD_9__find_if7functorIS9_EEEE10hipError_tPvRmT1_T2_T3_mT4_P12ihipStream_tbEUlT_E0_NS1_11comp_targetILNS1_3genE10ELNS1_11target_archE1200ELNS1_3gpuE4ELNS1_3repE0EEENS1_30default_config_static_selectorELNS0_4arch9wavefront6targetE0EEEvS14_.num_agpr, 0
	.set _ZN7rocprim17ROCPRIM_400000_NS6detail17trampoline_kernelINS0_14default_configENS1_22reduce_config_selectorIN6thrust23THRUST_200600_302600_NS5tupleIblNS6_9null_typeES8_S8_S8_S8_S8_S8_S8_EEEEZNS1_11reduce_implILb1ES3_NS6_12zip_iteratorINS7_INS6_11hip_rocprim26transform_input_iterator_tIbNSD_35transform_pair_of_input_iterators_tIbNS6_6detail15normal_iteratorINS6_10device_ptrIKsEEEESL_NS6_8equal_toIsEEEENSG_9not_fun_tINSD_8identityEEEEENSD_19counting_iterator_tIlEES8_S8_S8_S8_S8_S8_S8_S8_EEEEPS9_S9_NSD_9__find_if7functorIS9_EEEE10hipError_tPvRmT1_T2_T3_mT4_P12ihipStream_tbEUlT_E0_NS1_11comp_targetILNS1_3genE10ELNS1_11target_archE1200ELNS1_3gpuE4ELNS1_3repE0EEENS1_30default_config_static_selectorELNS0_4arch9wavefront6targetE0EEEvS14_.numbered_sgpr, 0
	.set _ZN7rocprim17ROCPRIM_400000_NS6detail17trampoline_kernelINS0_14default_configENS1_22reduce_config_selectorIN6thrust23THRUST_200600_302600_NS5tupleIblNS6_9null_typeES8_S8_S8_S8_S8_S8_S8_EEEEZNS1_11reduce_implILb1ES3_NS6_12zip_iteratorINS7_INS6_11hip_rocprim26transform_input_iterator_tIbNSD_35transform_pair_of_input_iterators_tIbNS6_6detail15normal_iteratorINS6_10device_ptrIKsEEEESL_NS6_8equal_toIsEEEENSG_9not_fun_tINSD_8identityEEEEENSD_19counting_iterator_tIlEES8_S8_S8_S8_S8_S8_S8_S8_EEEEPS9_S9_NSD_9__find_if7functorIS9_EEEE10hipError_tPvRmT1_T2_T3_mT4_P12ihipStream_tbEUlT_E0_NS1_11comp_targetILNS1_3genE10ELNS1_11target_archE1200ELNS1_3gpuE4ELNS1_3repE0EEENS1_30default_config_static_selectorELNS0_4arch9wavefront6targetE0EEEvS14_.num_named_barrier, 0
	.set _ZN7rocprim17ROCPRIM_400000_NS6detail17trampoline_kernelINS0_14default_configENS1_22reduce_config_selectorIN6thrust23THRUST_200600_302600_NS5tupleIblNS6_9null_typeES8_S8_S8_S8_S8_S8_S8_EEEEZNS1_11reduce_implILb1ES3_NS6_12zip_iteratorINS7_INS6_11hip_rocprim26transform_input_iterator_tIbNSD_35transform_pair_of_input_iterators_tIbNS6_6detail15normal_iteratorINS6_10device_ptrIKsEEEESL_NS6_8equal_toIsEEEENSG_9not_fun_tINSD_8identityEEEEENSD_19counting_iterator_tIlEES8_S8_S8_S8_S8_S8_S8_S8_EEEEPS9_S9_NSD_9__find_if7functorIS9_EEEE10hipError_tPvRmT1_T2_T3_mT4_P12ihipStream_tbEUlT_E0_NS1_11comp_targetILNS1_3genE10ELNS1_11target_archE1200ELNS1_3gpuE4ELNS1_3repE0EEENS1_30default_config_static_selectorELNS0_4arch9wavefront6targetE0EEEvS14_.private_seg_size, 0
	.set _ZN7rocprim17ROCPRIM_400000_NS6detail17trampoline_kernelINS0_14default_configENS1_22reduce_config_selectorIN6thrust23THRUST_200600_302600_NS5tupleIblNS6_9null_typeES8_S8_S8_S8_S8_S8_S8_EEEEZNS1_11reduce_implILb1ES3_NS6_12zip_iteratorINS7_INS6_11hip_rocprim26transform_input_iterator_tIbNSD_35transform_pair_of_input_iterators_tIbNS6_6detail15normal_iteratorINS6_10device_ptrIKsEEEESL_NS6_8equal_toIsEEEENSG_9not_fun_tINSD_8identityEEEEENSD_19counting_iterator_tIlEES8_S8_S8_S8_S8_S8_S8_S8_EEEEPS9_S9_NSD_9__find_if7functorIS9_EEEE10hipError_tPvRmT1_T2_T3_mT4_P12ihipStream_tbEUlT_E0_NS1_11comp_targetILNS1_3genE10ELNS1_11target_archE1200ELNS1_3gpuE4ELNS1_3repE0EEENS1_30default_config_static_selectorELNS0_4arch9wavefront6targetE0EEEvS14_.uses_vcc, 0
	.set _ZN7rocprim17ROCPRIM_400000_NS6detail17trampoline_kernelINS0_14default_configENS1_22reduce_config_selectorIN6thrust23THRUST_200600_302600_NS5tupleIblNS6_9null_typeES8_S8_S8_S8_S8_S8_S8_EEEEZNS1_11reduce_implILb1ES3_NS6_12zip_iteratorINS7_INS6_11hip_rocprim26transform_input_iterator_tIbNSD_35transform_pair_of_input_iterators_tIbNS6_6detail15normal_iteratorINS6_10device_ptrIKsEEEESL_NS6_8equal_toIsEEEENSG_9not_fun_tINSD_8identityEEEEENSD_19counting_iterator_tIlEES8_S8_S8_S8_S8_S8_S8_S8_EEEEPS9_S9_NSD_9__find_if7functorIS9_EEEE10hipError_tPvRmT1_T2_T3_mT4_P12ihipStream_tbEUlT_E0_NS1_11comp_targetILNS1_3genE10ELNS1_11target_archE1200ELNS1_3gpuE4ELNS1_3repE0EEENS1_30default_config_static_selectorELNS0_4arch9wavefront6targetE0EEEvS14_.uses_flat_scratch, 0
	.set _ZN7rocprim17ROCPRIM_400000_NS6detail17trampoline_kernelINS0_14default_configENS1_22reduce_config_selectorIN6thrust23THRUST_200600_302600_NS5tupleIblNS6_9null_typeES8_S8_S8_S8_S8_S8_S8_EEEEZNS1_11reduce_implILb1ES3_NS6_12zip_iteratorINS7_INS6_11hip_rocprim26transform_input_iterator_tIbNSD_35transform_pair_of_input_iterators_tIbNS6_6detail15normal_iteratorINS6_10device_ptrIKsEEEESL_NS6_8equal_toIsEEEENSG_9not_fun_tINSD_8identityEEEEENSD_19counting_iterator_tIlEES8_S8_S8_S8_S8_S8_S8_S8_EEEEPS9_S9_NSD_9__find_if7functorIS9_EEEE10hipError_tPvRmT1_T2_T3_mT4_P12ihipStream_tbEUlT_E0_NS1_11comp_targetILNS1_3genE10ELNS1_11target_archE1200ELNS1_3gpuE4ELNS1_3repE0EEENS1_30default_config_static_selectorELNS0_4arch9wavefront6targetE0EEEvS14_.has_dyn_sized_stack, 0
	.set _ZN7rocprim17ROCPRIM_400000_NS6detail17trampoline_kernelINS0_14default_configENS1_22reduce_config_selectorIN6thrust23THRUST_200600_302600_NS5tupleIblNS6_9null_typeES8_S8_S8_S8_S8_S8_S8_EEEEZNS1_11reduce_implILb1ES3_NS6_12zip_iteratorINS7_INS6_11hip_rocprim26transform_input_iterator_tIbNSD_35transform_pair_of_input_iterators_tIbNS6_6detail15normal_iteratorINS6_10device_ptrIKsEEEESL_NS6_8equal_toIsEEEENSG_9not_fun_tINSD_8identityEEEEENSD_19counting_iterator_tIlEES8_S8_S8_S8_S8_S8_S8_S8_EEEEPS9_S9_NSD_9__find_if7functorIS9_EEEE10hipError_tPvRmT1_T2_T3_mT4_P12ihipStream_tbEUlT_E0_NS1_11comp_targetILNS1_3genE10ELNS1_11target_archE1200ELNS1_3gpuE4ELNS1_3repE0EEENS1_30default_config_static_selectorELNS0_4arch9wavefront6targetE0EEEvS14_.has_recursion, 0
	.set _ZN7rocprim17ROCPRIM_400000_NS6detail17trampoline_kernelINS0_14default_configENS1_22reduce_config_selectorIN6thrust23THRUST_200600_302600_NS5tupleIblNS6_9null_typeES8_S8_S8_S8_S8_S8_S8_EEEEZNS1_11reduce_implILb1ES3_NS6_12zip_iteratorINS7_INS6_11hip_rocprim26transform_input_iterator_tIbNSD_35transform_pair_of_input_iterators_tIbNS6_6detail15normal_iteratorINS6_10device_ptrIKsEEEESL_NS6_8equal_toIsEEEENSG_9not_fun_tINSD_8identityEEEEENSD_19counting_iterator_tIlEES8_S8_S8_S8_S8_S8_S8_S8_EEEEPS9_S9_NSD_9__find_if7functorIS9_EEEE10hipError_tPvRmT1_T2_T3_mT4_P12ihipStream_tbEUlT_E0_NS1_11comp_targetILNS1_3genE10ELNS1_11target_archE1200ELNS1_3gpuE4ELNS1_3repE0EEENS1_30default_config_static_selectorELNS0_4arch9wavefront6targetE0EEEvS14_.has_indirect_call, 0
	.section	.AMDGPU.csdata,"",@progbits
; Kernel info:
; codeLenInByte = 0
; TotalNumSgprs: 0
; NumVgprs: 0
; ScratchSize: 0
; MemoryBound: 0
; FloatMode: 240
; IeeeMode: 1
; LDSByteSize: 0 bytes/workgroup (compile time only)
; SGPRBlocks: 0
; VGPRBlocks: 0
; NumSGPRsForWavesPerEU: 1
; NumVGPRsForWavesPerEU: 1
; NamedBarCnt: 0
; Occupancy: 16
; WaveLimiterHint : 0
; COMPUTE_PGM_RSRC2:SCRATCH_EN: 0
; COMPUTE_PGM_RSRC2:USER_SGPR: 2
; COMPUTE_PGM_RSRC2:TRAP_HANDLER: 0
; COMPUTE_PGM_RSRC2:TGID_X_EN: 1
; COMPUTE_PGM_RSRC2:TGID_Y_EN: 0
; COMPUTE_PGM_RSRC2:TGID_Z_EN: 0
; COMPUTE_PGM_RSRC2:TIDIG_COMP_CNT: 0
	.section	.text._ZN7rocprim17ROCPRIM_400000_NS6detail17trampoline_kernelINS0_14default_configENS1_22reduce_config_selectorIN6thrust23THRUST_200600_302600_NS5tupleIblNS6_9null_typeES8_S8_S8_S8_S8_S8_S8_EEEEZNS1_11reduce_implILb1ES3_NS6_12zip_iteratorINS7_INS6_11hip_rocprim26transform_input_iterator_tIbNSD_35transform_pair_of_input_iterators_tIbNS6_6detail15normal_iteratorINS6_10device_ptrIKsEEEESL_NS6_8equal_toIsEEEENSG_9not_fun_tINSD_8identityEEEEENSD_19counting_iterator_tIlEES8_S8_S8_S8_S8_S8_S8_S8_EEEEPS9_S9_NSD_9__find_if7functorIS9_EEEE10hipError_tPvRmT1_T2_T3_mT4_P12ihipStream_tbEUlT_E0_NS1_11comp_targetILNS1_3genE9ELNS1_11target_archE1100ELNS1_3gpuE3ELNS1_3repE0EEENS1_30default_config_static_selectorELNS0_4arch9wavefront6targetE0EEEvS14_,"axG",@progbits,_ZN7rocprim17ROCPRIM_400000_NS6detail17trampoline_kernelINS0_14default_configENS1_22reduce_config_selectorIN6thrust23THRUST_200600_302600_NS5tupleIblNS6_9null_typeES8_S8_S8_S8_S8_S8_S8_EEEEZNS1_11reduce_implILb1ES3_NS6_12zip_iteratorINS7_INS6_11hip_rocprim26transform_input_iterator_tIbNSD_35transform_pair_of_input_iterators_tIbNS6_6detail15normal_iteratorINS6_10device_ptrIKsEEEESL_NS6_8equal_toIsEEEENSG_9not_fun_tINSD_8identityEEEEENSD_19counting_iterator_tIlEES8_S8_S8_S8_S8_S8_S8_S8_EEEEPS9_S9_NSD_9__find_if7functorIS9_EEEE10hipError_tPvRmT1_T2_T3_mT4_P12ihipStream_tbEUlT_E0_NS1_11comp_targetILNS1_3genE9ELNS1_11target_archE1100ELNS1_3gpuE3ELNS1_3repE0EEENS1_30default_config_static_selectorELNS0_4arch9wavefront6targetE0EEEvS14_,comdat
	.protected	_ZN7rocprim17ROCPRIM_400000_NS6detail17trampoline_kernelINS0_14default_configENS1_22reduce_config_selectorIN6thrust23THRUST_200600_302600_NS5tupleIblNS6_9null_typeES8_S8_S8_S8_S8_S8_S8_EEEEZNS1_11reduce_implILb1ES3_NS6_12zip_iteratorINS7_INS6_11hip_rocprim26transform_input_iterator_tIbNSD_35transform_pair_of_input_iterators_tIbNS6_6detail15normal_iteratorINS6_10device_ptrIKsEEEESL_NS6_8equal_toIsEEEENSG_9not_fun_tINSD_8identityEEEEENSD_19counting_iterator_tIlEES8_S8_S8_S8_S8_S8_S8_S8_EEEEPS9_S9_NSD_9__find_if7functorIS9_EEEE10hipError_tPvRmT1_T2_T3_mT4_P12ihipStream_tbEUlT_E0_NS1_11comp_targetILNS1_3genE9ELNS1_11target_archE1100ELNS1_3gpuE3ELNS1_3repE0EEENS1_30default_config_static_selectorELNS0_4arch9wavefront6targetE0EEEvS14_ ; -- Begin function _ZN7rocprim17ROCPRIM_400000_NS6detail17trampoline_kernelINS0_14default_configENS1_22reduce_config_selectorIN6thrust23THRUST_200600_302600_NS5tupleIblNS6_9null_typeES8_S8_S8_S8_S8_S8_S8_EEEEZNS1_11reduce_implILb1ES3_NS6_12zip_iteratorINS7_INS6_11hip_rocprim26transform_input_iterator_tIbNSD_35transform_pair_of_input_iterators_tIbNS6_6detail15normal_iteratorINS6_10device_ptrIKsEEEESL_NS6_8equal_toIsEEEENSG_9not_fun_tINSD_8identityEEEEENSD_19counting_iterator_tIlEES8_S8_S8_S8_S8_S8_S8_S8_EEEEPS9_S9_NSD_9__find_if7functorIS9_EEEE10hipError_tPvRmT1_T2_T3_mT4_P12ihipStream_tbEUlT_E0_NS1_11comp_targetILNS1_3genE9ELNS1_11target_archE1100ELNS1_3gpuE3ELNS1_3repE0EEENS1_30default_config_static_selectorELNS0_4arch9wavefront6targetE0EEEvS14_
	.globl	_ZN7rocprim17ROCPRIM_400000_NS6detail17trampoline_kernelINS0_14default_configENS1_22reduce_config_selectorIN6thrust23THRUST_200600_302600_NS5tupleIblNS6_9null_typeES8_S8_S8_S8_S8_S8_S8_EEEEZNS1_11reduce_implILb1ES3_NS6_12zip_iteratorINS7_INS6_11hip_rocprim26transform_input_iterator_tIbNSD_35transform_pair_of_input_iterators_tIbNS6_6detail15normal_iteratorINS6_10device_ptrIKsEEEESL_NS6_8equal_toIsEEEENSG_9not_fun_tINSD_8identityEEEEENSD_19counting_iterator_tIlEES8_S8_S8_S8_S8_S8_S8_S8_EEEEPS9_S9_NSD_9__find_if7functorIS9_EEEE10hipError_tPvRmT1_T2_T3_mT4_P12ihipStream_tbEUlT_E0_NS1_11comp_targetILNS1_3genE9ELNS1_11target_archE1100ELNS1_3gpuE3ELNS1_3repE0EEENS1_30default_config_static_selectorELNS0_4arch9wavefront6targetE0EEEvS14_
	.p2align	8
	.type	_ZN7rocprim17ROCPRIM_400000_NS6detail17trampoline_kernelINS0_14default_configENS1_22reduce_config_selectorIN6thrust23THRUST_200600_302600_NS5tupleIblNS6_9null_typeES8_S8_S8_S8_S8_S8_S8_EEEEZNS1_11reduce_implILb1ES3_NS6_12zip_iteratorINS7_INS6_11hip_rocprim26transform_input_iterator_tIbNSD_35transform_pair_of_input_iterators_tIbNS6_6detail15normal_iteratorINS6_10device_ptrIKsEEEESL_NS6_8equal_toIsEEEENSG_9not_fun_tINSD_8identityEEEEENSD_19counting_iterator_tIlEES8_S8_S8_S8_S8_S8_S8_S8_EEEEPS9_S9_NSD_9__find_if7functorIS9_EEEE10hipError_tPvRmT1_T2_T3_mT4_P12ihipStream_tbEUlT_E0_NS1_11comp_targetILNS1_3genE9ELNS1_11target_archE1100ELNS1_3gpuE3ELNS1_3repE0EEENS1_30default_config_static_selectorELNS0_4arch9wavefront6targetE0EEEvS14_,@function
_ZN7rocprim17ROCPRIM_400000_NS6detail17trampoline_kernelINS0_14default_configENS1_22reduce_config_selectorIN6thrust23THRUST_200600_302600_NS5tupleIblNS6_9null_typeES8_S8_S8_S8_S8_S8_S8_EEEEZNS1_11reduce_implILb1ES3_NS6_12zip_iteratorINS7_INS6_11hip_rocprim26transform_input_iterator_tIbNSD_35transform_pair_of_input_iterators_tIbNS6_6detail15normal_iteratorINS6_10device_ptrIKsEEEESL_NS6_8equal_toIsEEEENSG_9not_fun_tINSD_8identityEEEEENSD_19counting_iterator_tIlEES8_S8_S8_S8_S8_S8_S8_S8_EEEEPS9_S9_NSD_9__find_if7functorIS9_EEEE10hipError_tPvRmT1_T2_T3_mT4_P12ihipStream_tbEUlT_E0_NS1_11comp_targetILNS1_3genE9ELNS1_11target_archE1100ELNS1_3gpuE3ELNS1_3repE0EEENS1_30default_config_static_selectorELNS0_4arch9wavefront6targetE0EEEvS14_: ; @_ZN7rocprim17ROCPRIM_400000_NS6detail17trampoline_kernelINS0_14default_configENS1_22reduce_config_selectorIN6thrust23THRUST_200600_302600_NS5tupleIblNS6_9null_typeES8_S8_S8_S8_S8_S8_S8_EEEEZNS1_11reduce_implILb1ES3_NS6_12zip_iteratorINS7_INS6_11hip_rocprim26transform_input_iterator_tIbNSD_35transform_pair_of_input_iterators_tIbNS6_6detail15normal_iteratorINS6_10device_ptrIKsEEEESL_NS6_8equal_toIsEEEENSG_9not_fun_tINSD_8identityEEEEENSD_19counting_iterator_tIlEES8_S8_S8_S8_S8_S8_S8_S8_EEEEPS9_S9_NSD_9__find_if7functorIS9_EEEE10hipError_tPvRmT1_T2_T3_mT4_P12ihipStream_tbEUlT_E0_NS1_11comp_targetILNS1_3genE9ELNS1_11target_archE1100ELNS1_3gpuE3ELNS1_3repE0EEENS1_30default_config_static_selectorELNS0_4arch9wavefront6targetE0EEEvS14_
; %bb.0:
	.section	.rodata,"a",@progbits
	.p2align	6, 0x0
	.amdhsa_kernel _ZN7rocprim17ROCPRIM_400000_NS6detail17trampoline_kernelINS0_14default_configENS1_22reduce_config_selectorIN6thrust23THRUST_200600_302600_NS5tupleIblNS6_9null_typeES8_S8_S8_S8_S8_S8_S8_EEEEZNS1_11reduce_implILb1ES3_NS6_12zip_iteratorINS7_INS6_11hip_rocprim26transform_input_iterator_tIbNSD_35transform_pair_of_input_iterators_tIbNS6_6detail15normal_iteratorINS6_10device_ptrIKsEEEESL_NS6_8equal_toIsEEEENSG_9not_fun_tINSD_8identityEEEEENSD_19counting_iterator_tIlEES8_S8_S8_S8_S8_S8_S8_S8_EEEEPS9_S9_NSD_9__find_if7functorIS9_EEEE10hipError_tPvRmT1_T2_T3_mT4_P12ihipStream_tbEUlT_E0_NS1_11comp_targetILNS1_3genE9ELNS1_11target_archE1100ELNS1_3gpuE3ELNS1_3repE0EEENS1_30default_config_static_selectorELNS0_4arch9wavefront6targetE0EEEvS14_
		.amdhsa_group_segment_fixed_size 0
		.amdhsa_private_segment_fixed_size 0
		.amdhsa_kernarg_size 104
		.amdhsa_user_sgpr_count 2
		.amdhsa_user_sgpr_dispatch_ptr 0
		.amdhsa_user_sgpr_queue_ptr 0
		.amdhsa_user_sgpr_kernarg_segment_ptr 1
		.amdhsa_user_sgpr_dispatch_id 0
		.amdhsa_user_sgpr_kernarg_preload_length 0
		.amdhsa_user_sgpr_kernarg_preload_offset 0
		.amdhsa_user_sgpr_private_segment_size 0
		.amdhsa_wavefront_size32 1
		.amdhsa_uses_dynamic_stack 0
		.amdhsa_enable_private_segment 0
		.amdhsa_system_sgpr_workgroup_id_x 1
		.amdhsa_system_sgpr_workgroup_id_y 0
		.amdhsa_system_sgpr_workgroup_id_z 0
		.amdhsa_system_sgpr_workgroup_info 0
		.amdhsa_system_vgpr_workitem_id 0
		.amdhsa_next_free_vgpr 1
		.amdhsa_next_free_sgpr 1
		.amdhsa_named_barrier_count 0
		.amdhsa_reserve_vcc 0
		.amdhsa_float_round_mode_32 0
		.amdhsa_float_round_mode_16_64 0
		.amdhsa_float_denorm_mode_32 3
		.amdhsa_float_denorm_mode_16_64 3
		.amdhsa_fp16_overflow 0
		.amdhsa_memory_ordered 1
		.amdhsa_forward_progress 1
		.amdhsa_inst_pref_size 0
		.amdhsa_round_robin_scheduling 0
		.amdhsa_exception_fp_ieee_invalid_op 0
		.amdhsa_exception_fp_denorm_src 0
		.amdhsa_exception_fp_ieee_div_zero 0
		.amdhsa_exception_fp_ieee_overflow 0
		.amdhsa_exception_fp_ieee_underflow 0
		.amdhsa_exception_fp_ieee_inexact 0
		.amdhsa_exception_int_div_zero 0
	.end_amdhsa_kernel
	.section	.text._ZN7rocprim17ROCPRIM_400000_NS6detail17trampoline_kernelINS0_14default_configENS1_22reduce_config_selectorIN6thrust23THRUST_200600_302600_NS5tupleIblNS6_9null_typeES8_S8_S8_S8_S8_S8_S8_EEEEZNS1_11reduce_implILb1ES3_NS6_12zip_iteratorINS7_INS6_11hip_rocprim26transform_input_iterator_tIbNSD_35transform_pair_of_input_iterators_tIbNS6_6detail15normal_iteratorINS6_10device_ptrIKsEEEESL_NS6_8equal_toIsEEEENSG_9not_fun_tINSD_8identityEEEEENSD_19counting_iterator_tIlEES8_S8_S8_S8_S8_S8_S8_S8_EEEEPS9_S9_NSD_9__find_if7functorIS9_EEEE10hipError_tPvRmT1_T2_T3_mT4_P12ihipStream_tbEUlT_E0_NS1_11comp_targetILNS1_3genE9ELNS1_11target_archE1100ELNS1_3gpuE3ELNS1_3repE0EEENS1_30default_config_static_selectorELNS0_4arch9wavefront6targetE0EEEvS14_,"axG",@progbits,_ZN7rocprim17ROCPRIM_400000_NS6detail17trampoline_kernelINS0_14default_configENS1_22reduce_config_selectorIN6thrust23THRUST_200600_302600_NS5tupleIblNS6_9null_typeES8_S8_S8_S8_S8_S8_S8_EEEEZNS1_11reduce_implILb1ES3_NS6_12zip_iteratorINS7_INS6_11hip_rocprim26transform_input_iterator_tIbNSD_35transform_pair_of_input_iterators_tIbNS6_6detail15normal_iteratorINS6_10device_ptrIKsEEEESL_NS6_8equal_toIsEEEENSG_9not_fun_tINSD_8identityEEEEENSD_19counting_iterator_tIlEES8_S8_S8_S8_S8_S8_S8_S8_EEEEPS9_S9_NSD_9__find_if7functorIS9_EEEE10hipError_tPvRmT1_T2_T3_mT4_P12ihipStream_tbEUlT_E0_NS1_11comp_targetILNS1_3genE9ELNS1_11target_archE1100ELNS1_3gpuE3ELNS1_3repE0EEENS1_30default_config_static_selectorELNS0_4arch9wavefront6targetE0EEEvS14_,comdat
.Lfunc_end305:
	.size	_ZN7rocprim17ROCPRIM_400000_NS6detail17trampoline_kernelINS0_14default_configENS1_22reduce_config_selectorIN6thrust23THRUST_200600_302600_NS5tupleIblNS6_9null_typeES8_S8_S8_S8_S8_S8_S8_EEEEZNS1_11reduce_implILb1ES3_NS6_12zip_iteratorINS7_INS6_11hip_rocprim26transform_input_iterator_tIbNSD_35transform_pair_of_input_iterators_tIbNS6_6detail15normal_iteratorINS6_10device_ptrIKsEEEESL_NS6_8equal_toIsEEEENSG_9not_fun_tINSD_8identityEEEEENSD_19counting_iterator_tIlEES8_S8_S8_S8_S8_S8_S8_S8_EEEEPS9_S9_NSD_9__find_if7functorIS9_EEEE10hipError_tPvRmT1_T2_T3_mT4_P12ihipStream_tbEUlT_E0_NS1_11comp_targetILNS1_3genE9ELNS1_11target_archE1100ELNS1_3gpuE3ELNS1_3repE0EEENS1_30default_config_static_selectorELNS0_4arch9wavefront6targetE0EEEvS14_, .Lfunc_end305-_ZN7rocprim17ROCPRIM_400000_NS6detail17trampoline_kernelINS0_14default_configENS1_22reduce_config_selectorIN6thrust23THRUST_200600_302600_NS5tupleIblNS6_9null_typeES8_S8_S8_S8_S8_S8_S8_EEEEZNS1_11reduce_implILb1ES3_NS6_12zip_iteratorINS7_INS6_11hip_rocprim26transform_input_iterator_tIbNSD_35transform_pair_of_input_iterators_tIbNS6_6detail15normal_iteratorINS6_10device_ptrIKsEEEESL_NS6_8equal_toIsEEEENSG_9not_fun_tINSD_8identityEEEEENSD_19counting_iterator_tIlEES8_S8_S8_S8_S8_S8_S8_S8_EEEEPS9_S9_NSD_9__find_if7functorIS9_EEEE10hipError_tPvRmT1_T2_T3_mT4_P12ihipStream_tbEUlT_E0_NS1_11comp_targetILNS1_3genE9ELNS1_11target_archE1100ELNS1_3gpuE3ELNS1_3repE0EEENS1_30default_config_static_selectorELNS0_4arch9wavefront6targetE0EEEvS14_
                                        ; -- End function
	.set _ZN7rocprim17ROCPRIM_400000_NS6detail17trampoline_kernelINS0_14default_configENS1_22reduce_config_selectorIN6thrust23THRUST_200600_302600_NS5tupleIblNS6_9null_typeES8_S8_S8_S8_S8_S8_S8_EEEEZNS1_11reduce_implILb1ES3_NS6_12zip_iteratorINS7_INS6_11hip_rocprim26transform_input_iterator_tIbNSD_35transform_pair_of_input_iterators_tIbNS6_6detail15normal_iteratorINS6_10device_ptrIKsEEEESL_NS6_8equal_toIsEEEENSG_9not_fun_tINSD_8identityEEEEENSD_19counting_iterator_tIlEES8_S8_S8_S8_S8_S8_S8_S8_EEEEPS9_S9_NSD_9__find_if7functorIS9_EEEE10hipError_tPvRmT1_T2_T3_mT4_P12ihipStream_tbEUlT_E0_NS1_11comp_targetILNS1_3genE9ELNS1_11target_archE1100ELNS1_3gpuE3ELNS1_3repE0EEENS1_30default_config_static_selectorELNS0_4arch9wavefront6targetE0EEEvS14_.num_vgpr, 0
	.set _ZN7rocprim17ROCPRIM_400000_NS6detail17trampoline_kernelINS0_14default_configENS1_22reduce_config_selectorIN6thrust23THRUST_200600_302600_NS5tupleIblNS6_9null_typeES8_S8_S8_S8_S8_S8_S8_EEEEZNS1_11reduce_implILb1ES3_NS6_12zip_iteratorINS7_INS6_11hip_rocprim26transform_input_iterator_tIbNSD_35transform_pair_of_input_iterators_tIbNS6_6detail15normal_iteratorINS6_10device_ptrIKsEEEESL_NS6_8equal_toIsEEEENSG_9not_fun_tINSD_8identityEEEEENSD_19counting_iterator_tIlEES8_S8_S8_S8_S8_S8_S8_S8_EEEEPS9_S9_NSD_9__find_if7functorIS9_EEEE10hipError_tPvRmT1_T2_T3_mT4_P12ihipStream_tbEUlT_E0_NS1_11comp_targetILNS1_3genE9ELNS1_11target_archE1100ELNS1_3gpuE3ELNS1_3repE0EEENS1_30default_config_static_selectorELNS0_4arch9wavefront6targetE0EEEvS14_.num_agpr, 0
	.set _ZN7rocprim17ROCPRIM_400000_NS6detail17trampoline_kernelINS0_14default_configENS1_22reduce_config_selectorIN6thrust23THRUST_200600_302600_NS5tupleIblNS6_9null_typeES8_S8_S8_S8_S8_S8_S8_EEEEZNS1_11reduce_implILb1ES3_NS6_12zip_iteratorINS7_INS6_11hip_rocprim26transform_input_iterator_tIbNSD_35transform_pair_of_input_iterators_tIbNS6_6detail15normal_iteratorINS6_10device_ptrIKsEEEESL_NS6_8equal_toIsEEEENSG_9not_fun_tINSD_8identityEEEEENSD_19counting_iterator_tIlEES8_S8_S8_S8_S8_S8_S8_S8_EEEEPS9_S9_NSD_9__find_if7functorIS9_EEEE10hipError_tPvRmT1_T2_T3_mT4_P12ihipStream_tbEUlT_E0_NS1_11comp_targetILNS1_3genE9ELNS1_11target_archE1100ELNS1_3gpuE3ELNS1_3repE0EEENS1_30default_config_static_selectorELNS0_4arch9wavefront6targetE0EEEvS14_.numbered_sgpr, 0
	.set _ZN7rocprim17ROCPRIM_400000_NS6detail17trampoline_kernelINS0_14default_configENS1_22reduce_config_selectorIN6thrust23THRUST_200600_302600_NS5tupleIblNS6_9null_typeES8_S8_S8_S8_S8_S8_S8_EEEEZNS1_11reduce_implILb1ES3_NS6_12zip_iteratorINS7_INS6_11hip_rocprim26transform_input_iterator_tIbNSD_35transform_pair_of_input_iterators_tIbNS6_6detail15normal_iteratorINS6_10device_ptrIKsEEEESL_NS6_8equal_toIsEEEENSG_9not_fun_tINSD_8identityEEEEENSD_19counting_iterator_tIlEES8_S8_S8_S8_S8_S8_S8_S8_EEEEPS9_S9_NSD_9__find_if7functorIS9_EEEE10hipError_tPvRmT1_T2_T3_mT4_P12ihipStream_tbEUlT_E0_NS1_11comp_targetILNS1_3genE9ELNS1_11target_archE1100ELNS1_3gpuE3ELNS1_3repE0EEENS1_30default_config_static_selectorELNS0_4arch9wavefront6targetE0EEEvS14_.num_named_barrier, 0
	.set _ZN7rocprim17ROCPRIM_400000_NS6detail17trampoline_kernelINS0_14default_configENS1_22reduce_config_selectorIN6thrust23THRUST_200600_302600_NS5tupleIblNS6_9null_typeES8_S8_S8_S8_S8_S8_S8_EEEEZNS1_11reduce_implILb1ES3_NS6_12zip_iteratorINS7_INS6_11hip_rocprim26transform_input_iterator_tIbNSD_35transform_pair_of_input_iterators_tIbNS6_6detail15normal_iteratorINS6_10device_ptrIKsEEEESL_NS6_8equal_toIsEEEENSG_9not_fun_tINSD_8identityEEEEENSD_19counting_iterator_tIlEES8_S8_S8_S8_S8_S8_S8_S8_EEEEPS9_S9_NSD_9__find_if7functorIS9_EEEE10hipError_tPvRmT1_T2_T3_mT4_P12ihipStream_tbEUlT_E0_NS1_11comp_targetILNS1_3genE9ELNS1_11target_archE1100ELNS1_3gpuE3ELNS1_3repE0EEENS1_30default_config_static_selectorELNS0_4arch9wavefront6targetE0EEEvS14_.private_seg_size, 0
	.set _ZN7rocprim17ROCPRIM_400000_NS6detail17trampoline_kernelINS0_14default_configENS1_22reduce_config_selectorIN6thrust23THRUST_200600_302600_NS5tupleIblNS6_9null_typeES8_S8_S8_S8_S8_S8_S8_EEEEZNS1_11reduce_implILb1ES3_NS6_12zip_iteratorINS7_INS6_11hip_rocprim26transform_input_iterator_tIbNSD_35transform_pair_of_input_iterators_tIbNS6_6detail15normal_iteratorINS6_10device_ptrIKsEEEESL_NS6_8equal_toIsEEEENSG_9not_fun_tINSD_8identityEEEEENSD_19counting_iterator_tIlEES8_S8_S8_S8_S8_S8_S8_S8_EEEEPS9_S9_NSD_9__find_if7functorIS9_EEEE10hipError_tPvRmT1_T2_T3_mT4_P12ihipStream_tbEUlT_E0_NS1_11comp_targetILNS1_3genE9ELNS1_11target_archE1100ELNS1_3gpuE3ELNS1_3repE0EEENS1_30default_config_static_selectorELNS0_4arch9wavefront6targetE0EEEvS14_.uses_vcc, 0
	.set _ZN7rocprim17ROCPRIM_400000_NS6detail17trampoline_kernelINS0_14default_configENS1_22reduce_config_selectorIN6thrust23THRUST_200600_302600_NS5tupleIblNS6_9null_typeES8_S8_S8_S8_S8_S8_S8_EEEEZNS1_11reduce_implILb1ES3_NS6_12zip_iteratorINS7_INS6_11hip_rocprim26transform_input_iterator_tIbNSD_35transform_pair_of_input_iterators_tIbNS6_6detail15normal_iteratorINS6_10device_ptrIKsEEEESL_NS6_8equal_toIsEEEENSG_9not_fun_tINSD_8identityEEEEENSD_19counting_iterator_tIlEES8_S8_S8_S8_S8_S8_S8_S8_EEEEPS9_S9_NSD_9__find_if7functorIS9_EEEE10hipError_tPvRmT1_T2_T3_mT4_P12ihipStream_tbEUlT_E0_NS1_11comp_targetILNS1_3genE9ELNS1_11target_archE1100ELNS1_3gpuE3ELNS1_3repE0EEENS1_30default_config_static_selectorELNS0_4arch9wavefront6targetE0EEEvS14_.uses_flat_scratch, 0
	.set _ZN7rocprim17ROCPRIM_400000_NS6detail17trampoline_kernelINS0_14default_configENS1_22reduce_config_selectorIN6thrust23THRUST_200600_302600_NS5tupleIblNS6_9null_typeES8_S8_S8_S8_S8_S8_S8_EEEEZNS1_11reduce_implILb1ES3_NS6_12zip_iteratorINS7_INS6_11hip_rocprim26transform_input_iterator_tIbNSD_35transform_pair_of_input_iterators_tIbNS6_6detail15normal_iteratorINS6_10device_ptrIKsEEEESL_NS6_8equal_toIsEEEENSG_9not_fun_tINSD_8identityEEEEENSD_19counting_iterator_tIlEES8_S8_S8_S8_S8_S8_S8_S8_EEEEPS9_S9_NSD_9__find_if7functorIS9_EEEE10hipError_tPvRmT1_T2_T3_mT4_P12ihipStream_tbEUlT_E0_NS1_11comp_targetILNS1_3genE9ELNS1_11target_archE1100ELNS1_3gpuE3ELNS1_3repE0EEENS1_30default_config_static_selectorELNS0_4arch9wavefront6targetE0EEEvS14_.has_dyn_sized_stack, 0
	.set _ZN7rocprim17ROCPRIM_400000_NS6detail17trampoline_kernelINS0_14default_configENS1_22reduce_config_selectorIN6thrust23THRUST_200600_302600_NS5tupleIblNS6_9null_typeES8_S8_S8_S8_S8_S8_S8_EEEEZNS1_11reduce_implILb1ES3_NS6_12zip_iteratorINS7_INS6_11hip_rocprim26transform_input_iterator_tIbNSD_35transform_pair_of_input_iterators_tIbNS6_6detail15normal_iteratorINS6_10device_ptrIKsEEEESL_NS6_8equal_toIsEEEENSG_9not_fun_tINSD_8identityEEEEENSD_19counting_iterator_tIlEES8_S8_S8_S8_S8_S8_S8_S8_EEEEPS9_S9_NSD_9__find_if7functorIS9_EEEE10hipError_tPvRmT1_T2_T3_mT4_P12ihipStream_tbEUlT_E0_NS1_11comp_targetILNS1_3genE9ELNS1_11target_archE1100ELNS1_3gpuE3ELNS1_3repE0EEENS1_30default_config_static_selectorELNS0_4arch9wavefront6targetE0EEEvS14_.has_recursion, 0
	.set _ZN7rocprim17ROCPRIM_400000_NS6detail17trampoline_kernelINS0_14default_configENS1_22reduce_config_selectorIN6thrust23THRUST_200600_302600_NS5tupleIblNS6_9null_typeES8_S8_S8_S8_S8_S8_S8_EEEEZNS1_11reduce_implILb1ES3_NS6_12zip_iteratorINS7_INS6_11hip_rocprim26transform_input_iterator_tIbNSD_35transform_pair_of_input_iterators_tIbNS6_6detail15normal_iteratorINS6_10device_ptrIKsEEEESL_NS6_8equal_toIsEEEENSG_9not_fun_tINSD_8identityEEEEENSD_19counting_iterator_tIlEES8_S8_S8_S8_S8_S8_S8_S8_EEEEPS9_S9_NSD_9__find_if7functorIS9_EEEE10hipError_tPvRmT1_T2_T3_mT4_P12ihipStream_tbEUlT_E0_NS1_11comp_targetILNS1_3genE9ELNS1_11target_archE1100ELNS1_3gpuE3ELNS1_3repE0EEENS1_30default_config_static_selectorELNS0_4arch9wavefront6targetE0EEEvS14_.has_indirect_call, 0
	.section	.AMDGPU.csdata,"",@progbits
; Kernel info:
; codeLenInByte = 0
; TotalNumSgprs: 0
; NumVgprs: 0
; ScratchSize: 0
; MemoryBound: 0
; FloatMode: 240
; IeeeMode: 1
; LDSByteSize: 0 bytes/workgroup (compile time only)
; SGPRBlocks: 0
; VGPRBlocks: 0
; NumSGPRsForWavesPerEU: 1
; NumVGPRsForWavesPerEU: 1
; NamedBarCnt: 0
; Occupancy: 16
; WaveLimiterHint : 0
; COMPUTE_PGM_RSRC2:SCRATCH_EN: 0
; COMPUTE_PGM_RSRC2:USER_SGPR: 2
; COMPUTE_PGM_RSRC2:TRAP_HANDLER: 0
; COMPUTE_PGM_RSRC2:TGID_X_EN: 1
; COMPUTE_PGM_RSRC2:TGID_Y_EN: 0
; COMPUTE_PGM_RSRC2:TGID_Z_EN: 0
; COMPUTE_PGM_RSRC2:TIDIG_COMP_CNT: 0
	.section	.text._ZN7rocprim17ROCPRIM_400000_NS6detail17trampoline_kernelINS0_14default_configENS1_22reduce_config_selectorIN6thrust23THRUST_200600_302600_NS5tupleIblNS6_9null_typeES8_S8_S8_S8_S8_S8_S8_EEEEZNS1_11reduce_implILb1ES3_NS6_12zip_iteratorINS7_INS6_11hip_rocprim26transform_input_iterator_tIbNSD_35transform_pair_of_input_iterators_tIbNS6_6detail15normal_iteratorINS6_10device_ptrIKsEEEESL_NS6_8equal_toIsEEEENSG_9not_fun_tINSD_8identityEEEEENSD_19counting_iterator_tIlEES8_S8_S8_S8_S8_S8_S8_S8_EEEEPS9_S9_NSD_9__find_if7functorIS9_EEEE10hipError_tPvRmT1_T2_T3_mT4_P12ihipStream_tbEUlT_E0_NS1_11comp_targetILNS1_3genE8ELNS1_11target_archE1030ELNS1_3gpuE2ELNS1_3repE0EEENS1_30default_config_static_selectorELNS0_4arch9wavefront6targetE0EEEvS14_,"axG",@progbits,_ZN7rocprim17ROCPRIM_400000_NS6detail17trampoline_kernelINS0_14default_configENS1_22reduce_config_selectorIN6thrust23THRUST_200600_302600_NS5tupleIblNS6_9null_typeES8_S8_S8_S8_S8_S8_S8_EEEEZNS1_11reduce_implILb1ES3_NS6_12zip_iteratorINS7_INS6_11hip_rocprim26transform_input_iterator_tIbNSD_35transform_pair_of_input_iterators_tIbNS6_6detail15normal_iteratorINS6_10device_ptrIKsEEEESL_NS6_8equal_toIsEEEENSG_9not_fun_tINSD_8identityEEEEENSD_19counting_iterator_tIlEES8_S8_S8_S8_S8_S8_S8_S8_EEEEPS9_S9_NSD_9__find_if7functorIS9_EEEE10hipError_tPvRmT1_T2_T3_mT4_P12ihipStream_tbEUlT_E0_NS1_11comp_targetILNS1_3genE8ELNS1_11target_archE1030ELNS1_3gpuE2ELNS1_3repE0EEENS1_30default_config_static_selectorELNS0_4arch9wavefront6targetE0EEEvS14_,comdat
	.protected	_ZN7rocprim17ROCPRIM_400000_NS6detail17trampoline_kernelINS0_14default_configENS1_22reduce_config_selectorIN6thrust23THRUST_200600_302600_NS5tupleIblNS6_9null_typeES8_S8_S8_S8_S8_S8_S8_EEEEZNS1_11reduce_implILb1ES3_NS6_12zip_iteratorINS7_INS6_11hip_rocprim26transform_input_iterator_tIbNSD_35transform_pair_of_input_iterators_tIbNS6_6detail15normal_iteratorINS6_10device_ptrIKsEEEESL_NS6_8equal_toIsEEEENSG_9not_fun_tINSD_8identityEEEEENSD_19counting_iterator_tIlEES8_S8_S8_S8_S8_S8_S8_S8_EEEEPS9_S9_NSD_9__find_if7functorIS9_EEEE10hipError_tPvRmT1_T2_T3_mT4_P12ihipStream_tbEUlT_E0_NS1_11comp_targetILNS1_3genE8ELNS1_11target_archE1030ELNS1_3gpuE2ELNS1_3repE0EEENS1_30default_config_static_selectorELNS0_4arch9wavefront6targetE0EEEvS14_ ; -- Begin function _ZN7rocprim17ROCPRIM_400000_NS6detail17trampoline_kernelINS0_14default_configENS1_22reduce_config_selectorIN6thrust23THRUST_200600_302600_NS5tupleIblNS6_9null_typeES8_S8_S8_S8_S8_S8_S8_EEEEZNS1_11reduce_implILb1ES3_NS6_12zip_iteratorINS7_INS6_11hip_rocprim26transform_input_iterator_tIbNSD_35transform_pair_of_input_iterators_tIbNS6_6detail15normal_iteratorINS6_10device_ptrIKsEEEESL_NS6_8equal_toIsEEEENSG_9not_fun_tINSD_8identityEEEEENSD_19counting_iterator_tIlEES8_S8_S8_S8_S8_S8_S8_S8_EEEEPS9_S9_NSD_9__find_if7functorIS9_EEEE10hipError_tPvRmT1_T2_T3_mT4_P12ihipStream_tbEUlT_E0_NS1_11comp_targetILNS1_3genE8ELNS1_11target_archE1030ELNS1_3gpuE2ELNS1_3repE0EEENS1_30default_config_static_selectorELNS0_4arch9wavefront6targetE0EEEvS14_
	.globl	_ZN7rocprim17ROCPRIM_400000_NS6detail17trampoline_kernelINS0_14default_configENS1_22reduce_config_selectorIN6thrust23THRUST_200600_302600_NS5tupleIblNS6_9null_typeES8_S8_S8_S8_S8_S8_S8_EEEEZNS1_11reduce_implILb1ES3_NS6_12zip_iteratorINS7_INS6_11hip_rocprim26transform_input_iterator_tIbNSD_35transform_pair_of_input_iterators_tIbNS6_6detail15normal_iteratorINS6_10device_ptrIKsEEEESL_NS6_8equal_toIsEEEENSG_9not_fun_tINSD_8identityEEEEENSD_19counting_iterator_tIlEES8_S8_S8_S8_S8_S8_S8_S8_EEEEPS9_S9_NSD_9__find_if7functorIS9_EEEE10hipError_tPvRmT1_T2_T3_mT4_P12ihipStream_tbEUlT_E0_NS1_11comp_targetILNS1_3genE8ELNS1_11target_archE1030ELNS1_3gpuE2ELNS1_3repE0EEENS1_30default_config_static_selectorELNS0_4arch9wavefront6targetE0EEEvS14_
	.p2align	8
	.type	_ZN7rocprim17ROCPRIM_400000_NS6detail17trampoline_kernelINS0_14default_configENS1_22reduce_config_selectorIN6thrust23THRUST_200600_302600_NS5tupleIblNS6_9null_typeES8_S8_S8_S8_S8_S8_S8_EEEEZNS1_11reduce_implILb1ES3_NS6_12zip_iteratorINS7_INS6_11hip_rocprim26transform_input_iterator_tIbNSD_35transform_pair_of_input_iterators_tIbNS6_6detail15normal_iteratorINS6_10device_ptrIKsEEEESL_NS6_8equal_toIsEEEENSG_9not_fun_tINSD_8identityEEEEENSD_19counting_iterator_tIlEES8_S8_S8_S8_S8_S8_S8_S8_EEEEPS9_S9_NSD_9__find_if7functorIS9_EEEE10hipError_tPvRmT1_T2_T3_mT4_P12ihipStream_tbEUlT_E0_NS1_11comp_targetILNS1_3genE8ELNS1_11target_archE1030ELNS1_3gpuE2ELNS1_3repE0EEENS1_30default_config_static_selectorELNS0_4arch9wavefront6targetE0EEEvS14_,@function
_ZN7rocprim17ROCPRIM_400000_NS6detail17trampoline_kernelINS0_14default_configENS1_22reduce_config_selectorIN6thrust23THRUST_200600_302600_NS5tupleIblNS6_9null_typeES8_S8_S8_S8_S8_S8_S8_EEEEZNS1_11reduce_implILb1ES3_NS6_12zip_iteratorINS7_INS6_11hip_rocprim26transform_input_iterator_tIbNSD_35transform_pair_of_input_iterators_tIbNS6_6detail15normal_iteratorINS6_10device_ptrIKsEEEESL_NS6_8equal_toIsEEEENSG_9not_fun_tINSD_8identityEEEEENSD_19counting_iterator_tIlEES8_S8_S8_S8_S8_S8_S8_S8_EEEEPS9_S9_NSD_9__find_if7functorIS9_EEEE10hipError_tPvRmT1_T2_T3_mT4_P12ihipStream_tbEUlT_E0_NS1_11comp_targetILNS1_3genE8ELNS1_11target_archE1030ELNS1_3gpuE2ELNS1_3repE0EEENS1_30default_config_static_selectorELNS0_4arch9wavefront6targetE0EEEvS14_: ; @_ZN7rocprim17ROCPRIM_400000_NS6detail17trampoline_kernelINS0_14default_configENS1_22reduce_config_selectorIN6thrust23THRUST_200600_302600_NS5tupleIblNS6_9null_typeES8_S8_S8_S8_S8_S8_S8_EEEEZNS1_11reduce_implILb1ES3_NS6_12zip_iteratorINS7_INS6_11hip_rocprim26transform_input_iterator_tIbNSD_35transform_pair_of_input_iterators_tIbNS6_6detail15normal_iteratorINS6_10device_ptrIKsEEEESL_NS6_8equal_toIsEEEENSG_9not_fun_tINSD_8identityEEEEENSD_19counting_iterator_tIlEES8_S8_S8_S8_S8_S8_S8_S8_EEEEPS9_S9_NSD_9__find_if7functorIS9_EEEE10hipError_tPvRmT1_T2_T3_mT4_P12ihipStream_tbEUlT_E0_NS1_11comp_targetILNS1_3genE8ELNS1_11target_archE1030ELNS1_3gpuE2ELNS1_3repE0EEENS1_30default_config_static_selectorELNS0_4arch9wavefront6targetE0EEEvS14_
; %bb.0:
	.section	.rodata,"a",@progbits
	.p2align	6, 0x0
	.amdhsa_kernel _ZN7rocprim17ROCPRIM_400000_NS6detail17trampoline_kernelINS0_14default_configENS1_22reduce_config_selectorIN6thrust23THRUST_200600_302600_NS5tupleIblNS6_9null_typeES8_S8_S8_S8_S8_S8_S8_EEEEZNS1_11reduce_implILb1ES3_NS6_12zip_iteratorINS7_INS6_11hip_rocprim26transform_input_iterator_tIbNSD_35transform_pair_of_input_iterators_tIbNS6_6detail15normal_iteratorINS6_10device_ptrIKsEEEESL_NS6_8equal_toIsEEEENSG_9not_fun_tINSD_8identityEEEEENSD_19counting_iterator_tIlEES8_S8_S8_S8_S8_S8_S8_S8_EEEEPS9_S9_NSD_9__find_if7functorIS9_EEEE10hipError_tPvRmT1_T2_T3_mT4_P12ihipStream_tbEUlT_E0_NS1_11comp_targetILNS1_3genE8ELNS1_11target_archE1030ELNS1_3gpuE2ELNS1_3repE0EEENS1_30default_config_static_selectorELNS0_4arch9wavefront6targetE0EEEvS14_
		.amdhsa_group_segment_fixed_size 0
		.amdhsa_private_segment_fixed_size 0
		.amdhsa_kernarg_size 104
		.amdhsa_user_sgpr_count 2
		.amdhsa_user_sgpr_dispatch_ptr 0
		.amdhsa_user_sgpr_queue_ptr 0
		.amdhsa_user_sgpr_kernarg_segment_ptr 1
		.amdhsa_user_sgpr_dispatch_id 0
		.amdhsa_user_sgpr_kernarg_preload_length 0
		.amdhsa_user_sgpr_kernarg_preload_offset 0
		.amdhsa_user_sgpr_private_segment_size 0
		.amdhsa_wavefront_size32 1
		.amdhsa_uses_dynamic_stack 0
		.amdhsa_enable_private_segment 0
		.amdhsa_system_sgpr_workgroup_id_x 1
		.amdhsa_system_sgpr_workgroup_id_y 0
		.amdhsa_system_sgpr_workgroup_id_z 0
		.amdhsa_system_sgpr_workgroup_info 0
		.amdhsa_system_vgpr_workitem_id 0
		.amdhsa_next_free_vgpr 1
		.amdhsa_next_free_sgpr 1
		.amdhsa_named_barrier_count 0
		.amdhsa_reserve_vcc 0
		.amdhsa_float_round_mode_32 0
		.amdhsa_float_round_mode_16_64 0
		.amdhsa_float_denorm_mode_32 3
		.amdhsa_float_denorm_mode_16_64 3
		.amdhsa_fp16_overflow 0
		.amdhsa_memory_ordered 1
		.amdhsa_forward_progress 1
		.amdhsa_inst_pref_size 0
		.amdhsa_round_robin_scheduling 0
		.amdhsa_exception_fp_ieee_invalid_op 0
		.amdhsa_exception_fp_denorm_src 0
		.amdhsa_exception_fp_ieee_div_zero 0
		.amdhsa_exception_fp_ieee_overflow 0
		.amdhsa_exception_fp_ieee_underflow 0
		.amdhsa_exception_fp_ieee_inexact 0
		.amdhsa_exception_int_div_zero 0
	.end_amdhsa_kernel
	.section	.text._ZN7rocprim17ROCPRIM_400000_NS6detail17trampoline_kernelINS0_14default_configENS1_22reduce_config_selectorIN6thrust23THRUST_200600_302600_NS5tupleIblNS6_9null_typeES8_S8_S8_S8_S8_S8_S8_EEEEZNS1_11reduce_implILb1ES3_NS6_12zip_iteratorINS7_INS6_11hip_rocprim26transform_input_iterator_tIbNSD_35transform_pair_of_input_iterators_tIbNS6_6detail15normal_iteratorINS6_10device_ptrIKsEEEESL_NS6_8equal_toIsEEEENSG_9not_fun_tINSD_8identityEEEEENSD_19counting_iterator_tIlEES8_S8_S8_S8_S8_S8_S8_S8_EEEEPS9_S9_NSD_9__find_if7functorIS9_EEEE10hipError_tPvRmT1_T2_T3_mT4_P12ihipStream_tbEUlT_E0_NS1_11comp_targetILNS1_3genE8ELNS1_11target_archE1030ELNS1_3gpuE2ELNS1_3repE0EEENS1_30default_config_static_selectorELNS0_4arch9wavefront6targetE0EEEvS14_,"axG",@progbits,_ZN7rocprim17ROCPRIM_400000_NS6detail17trampoline_kernelINS0_14default_configENS1_22reduce_config_selectorIN6thrust23THRUST_200600_302600_NS5tupleIblNS6_9null_typeES8_S8_S8_S8_S8_S8_S8_EEEEZNS1_11reduce_implILb1ES3_NS6_12zip_iteratorINS7_INS6_11hip_rocprim26transform_input_iterator_tIbNSD_35transform_pair_of_input_iterators_tIbNS6_6detail15normal_iteratorINS6_10device_ptrIKsEEEESL_NS6_8equal_toIsEEEENSG_9not_fun_tINSD_8identityEEEEENSD_19counting_iterator_tIlEES8_S8_S8_S8_S8_S8_S8_S8_EEEEPS9_S9_NSD_9__find_if7functorIS9_EEEE10hipError_tPvRmT1_T2_T3_mT4_P12ihipStream_tbEUlT_E0_NS1_11comp_targetILNS1_3genE8ELNS1_11target_archE1030ELNS1_3gpuE2ELNS1_3repE0EEENS1_30default_config_static_selectorELNS0_4arch9wavefront6targetE0EEEvS14_,comdat
.Lfunc_end306:
	.size	_ZN7rocprim17ROCPRIM_400000_NS6detail17trampoline_kernelINS0_14default_configENS1_22reduce_config_selectorIN6thrust23THRUST_200600_302600_NS5tupleIblNS6_9null_typeES8_S8_S8_S8_S8_S8_S8_EEEEZNS1_11reduce_implILb1ES3_NS6_12zip_iteratorINS7_INS6_11hip_rocprim26transform_input_iterator_tIbNSD_35transform_pair_of_input_iterators_tIbNS6_6detail15normal_iteratorINS6_10device_ptrIKsEEEESL_NS6_8equal_toIsEEEENSG_9not_fun_tINSD_8identityEEEEENSD_19counting_iterator_tIlEES8_S8_S8_S8_S8_S8_S8_S8_EEEEPS9_S9_NSD_9__find_if7functorIS9_EEEE10hipError_tPvRmT1_T2_T3_mT4_P12ihipStream_tbEUlT_E0_NS1_11comp_targetILNS1_3genE8ELNS1_11target_archE1030ELNS1_3gpuE2ELNS1_3repE0EEENS1_30default_config_static_selectorELNS0_4arch9wavefront6targetE0EEEvS14_, .Lfunc_end306-_ZN7rocprim17ROCPRIM_400000_NS6detail17trampoline_kernelINS0_14default_configENS1_22reduce_config_selectorIN6thrust23THRUST_200600_302600_NS5tupleIblNS6_9null_typeES8_S8_S8_S8_S8_S8_S8_EEEEZNS1_11reduce_implILb1ES3_NS6_12zip_iteratorINS7_INS6_11hip_rocprim26transform_input_iterator_tIbNSD_35transform_pair_of_input_iterators_tIbNS6_6detail15normal_iteratorINS6_10device_ptrIKsEEEESL_NS6_8equal_toIsEEEENSG_9not_fun_tINSD_8identityEEEEENSD_19counting_iterator_tIlEES8_S8_S8_S8_S8_S8_S8_S8_EEEEPS9_S9_NSD_9__find_if7functorIS9_EEEE10hipError_tPvRmT1_T2_T3_mT4_P12ihipStream_tbEUlT_E0_NS1_11comp_targetILNS1_3genE8ELNS1_11target_archE1030ELNS1_3gpuE2ELNS1_3repE0EEENS1_30default_config_static_selectorELNS0_4arch9wavefront6targetE0EEEvS14_
                                        ; -- End function
	.set _ZN7rocprim17ROCPRIM_400000_NS6detail17trampoline_kernelINS0_14default_configENS1_22reduce_config_selectorIN6thrust23THRUST_200600_302600_NS5tupleIblNS6_9null_typeES8_S8_S8_S8_S8_S8_S8_EEEEZNS1_11reduce_implILb1ES3_NS6_12zip_iteratorINS7_INS6_11hip_rocprim26transform_input_iterator_tIbNSD_35transform_pair_of_input_iterators_tIbNS6_6detail15normal_iteratorINS6_10device_ptrIKsEEEESL_NS6_8equal_toIsEEEENSG_9not_fun_tINSD_8identityEEEEENSD_19counting_iterator_tIlEES8_S8_S8_S8_S8_S8_S8_S8_EEEEPS9_S9_NSD_9__find_if7functorIS9_EEEE10hipError_tPvRmT1_T2_T3_mT4_P12ihipStream_tbEUlT_E0_NS1_11comp_targetILNS1_3genE8ELNS1_11target_archE1030ELNS1_3gpuE2ELNS1_3repE0EEENS1_30default_config_static_selectorELNS0_4arch9wavefront6targetE0EEEvS14_.num_vgpr, 0
	.set _ZN7rocprim17ROCPRIM_400000_NS6detail17trampoline_kernelINS0_14default_configENS1_22reduce_config_selectorIN6thrust23THRUST_200600_302600_NS5tupleIblNS6_9null_typeES8_S8_S8_S8_S8_S8_S8_EEEEZNS1_11reduce_implILb1ES3_NS6_12zip_iteratorINS7_INS6_11hip_rocprim26transform_input_iterator_tIbNSD_35transform_pair_of_input_iterators_tIbNS6_6detail15normal_iteratorINS6_10device_ptrIKsEEEESL_NS6_8equal_toIsEEEENSG_9not_fun_tINSD_8identityEEEEENSD_19counting_iterator_tIlEES8_S8_S8_S8_S8_S8_S8_S8_EEEEPS9_S9_NSD_9__find_if7functorIS9_EEEE10hipError_tPvRmT1_T2_T3_mT4_P12ihipStream_tbEUlT_E0_NS1_11comp_targetILNS1_3genE8ELNS1_11target_archE1030ELNS1_3gpuE2ELNS1_3repE0EEENS1_30default_config_static_selectorELNS0_4arch9wavefront6targetE0EEEvS14_.num_agpr, 0
	.set _ZN7rocprim17ROCPRIM_400000_NS6detail17trampoline_kernelINS0_14default_configENS1_22reduce_config_selectorIN6thrust23THRUST_200600_302600_NS5tupleIblNS6_9null_typeES8_S8_S8_S8_S8_S8_S8_EEEEZNS1_11reduce_implILb1ES3_NS6_12zip_iteratorINS7_INS6_11hip_rocprim26transform_input_iterator_tIbNSD_35transform_pair_of_input_iterators_tIbNS6_6detail15normal_iteratorINS6_10device_ptrIKsEEEESL_NS6_8equal_toIsEEEENSG_9not_fun_tINSD_8identityEEEEENSD_19counting_iterator_tIlEES8_S8_S8_S8_S8_S8_S8_S8_EEEEPS9_S9_NSD_9__find_if7functorIS9_EEEE10hipError_tPvRmT1_T2_T3_mT4_P12ihipStream_tbEUlT_E0_NS1_11comp_targetILNS1_3genE8ELNS1_11target_archE1030ELNS1_3gpuE2ELNS1_3repE0EEENS1_30default_config_static_selectorELNS0_4arch9wavefront6targetE0EEEvS14_.numbered_sgpr, 0
	.set _ZN7rocprim17ROCPRIM_400000_NS6detail17trampoline_kernelINS0_14default_configENS1_22reduce_config_selectorIN6thrust23THRUST_200600_302600_NS5tupleIblNS6_9null_typeES8_S8_S8_S8_S8_S8_S8_EEEEZNS1_11reduce_implILb1ES3_NS6_12zip_iteratorINS7_INS6_11hip_rocprim26transform_input_iterator_tIbNSD_35transform_pair_of_input_iterators_tIbNS6_6detail15normal_iteratorINS6_10device_ptrIKsEEEESL_NS6_8equal_toIsEEEENSG_9not_fun_tINSD_8identityEEEEENSD_19counting_iterator_tIlEES8_S8_S8_S8_S8_S8_S8_S8_EEEEPS9_S9_NSD_9__find_if7functorIS9_EEEE10hipError_tPvRmT1_T2_T3_mT4_P12ihipStream_tbEUlT_E0_NS1_11comp_targetILNS1_3genE8ELNS1_11target_archE1030ELNS1_3gpuE2ELNS1_3repE0EEENS1_30default_config_static_selectorELNS0_4arch9wavefront6targetE0EEEvS14_.num_named_barrier, 0
	.set _ZN7rocprim17ROCPRIM_400000_NS6detail17trampoline_kernelINS0_14default_configENS1_22reduce_config_selectorIN6thrust23THRUST_200600_302600_NS5tupleIblNS6_9null_typeES8_S8_S8_S8_S8_S8_S8_EEEEZNS1_11reduce_implILb1ES3_NS6_12zip_iteratorINS7_INS6_11hip_rocprim26transform_input_iterator_tIbNSD_35transform_pair_of_input_iterators_tIbNS6_6detail15normal_iteratorINS6_10device_ptrIKsEEEESL_NS6_8equal_toIsEEEENSG_9not_fun_tINSD_8identityEEEEENSD_19counting_iterator_tIlEES8_S8_S8_S8_S8_S8_S8_S8_EEEEPS9_S9_NSD_9__find_if7functorIS9_EEEE10hipError_tPvRmT1_T2_T3_mT4_P12ihipStream_tbEUlT_E0_NS1_11comp_targetILNS1_3genE8ELNS1_11target_archE1030ELNS1_3gpuE2ELNS1_3repE0EEENS1_30default_config_static_selectorELNS0_4arch9wavefront6targetE0EEEvS14_.private_seg_size, 0
	.set _ZN7rocprim17ROCPRIM_400000_NS6detail17trampoline_kernelINS0_14default_configENS1_22reduce_config_selectorIN6thrust23THRUST_200600_302600_NS5tupleIblNS6_9null_typeES8_S8_S8_S8_S8_S8_S8_EEEEZNS1_11reduce_implILb1ES3_NS6_12zip_iteratorINS7_INS6_11hip_rocprim26transform_input_iterator_tIbNSD_35transform_pair_of_input_iterators_tIbNS6_6detail15normal_iteratorINS6_10device_ptrIKsEEEESL_NS6_8equal_toIsEEEENSG_9not_fun_tINSD_8identityEEEEENSD_19counting_iterator_tIlEES8_S8_S8_S8_S8_S8_S8_S8_EEEEPS9_S9_NSD_9__find_if7functorIS9_EEEE10hipError_tPvRmT1_T2_T3_mT4_P12ihipStream_tbEUlT_E0_NS1_11comp_targetILNS1_3genE8ELNS1_11target_archE1030ELNS1_3gpuE2ELNS1_3repE0EEENS1_30default_config_static_selectorELNS0_4arch9wavefront6targetE0EEEvS14_.uses_vcc, 0
	.set _ZN7rocprim17ROCPRIM_400000_NS6detail17trampoline_kernelINS0_14default_configENS1_22reduce_config_selectorIN6thrust23THRUST_200600_302600_NS5tupleIblNS6_9null_typeES8_S8_S8_S8_S8_S8_S8_EEEEZNS1_11reduce_implILb1ES3_NS6_12zip_iteratorINS7_INS6_11hip_rocprim26transform_input_iterator_tIbNSD_35transform_pair_of_input_iterators_tIbNS6_6detail15normal_iteratorINS6_10device_ptrIKsEEEESL_NS6_8equal_toIsEEEENSG_9not_fun_tINSD_8identityEEEEENSD_19counting_iterator_tIlEES8_S8_S8_S8_S8_S8_S8_S8_EEEEPS9_S9_NSD_9__find_if7functorIS9_EEEE10hipError_tPvRmT1_T2_T3_mT4_P12ihipStream_tbEUlT_E0_NS1_11comp_targetILNS1_3genE8ELNS1_11target_archE1030ELNS1_3gpuE2ELNS1_3repE0EEENS1_30default_config_static_selectorELNS0_4arch9wavefront6targetE0EEEvS14_.uses_flat_scratch, 0
	.set _ZN7rocprim17ROCPRIM_400000_NS6detail17trampoline_kernelINS0_14default_configENS1_22reduce_config_selectorIN6thrust23THRUST_200600_302600_NS5tupleIblNS6_9null_typeES8_S8_S8_S8_S8_S8_S8_EEEEZNS1_11reduce_implILb1ES3_NS6_12zip_iteratorINS7_INS6_11hip_rocprim26transform_input_iterator_tIbNSD_35transform_pair_of_input_iterators_tIbNS6_6detail15normal_iteratorINS6_10device_ptrIKsEEEESL_NS6_8equal_toIsEEEENSG_9not_fun_tINSD_8identityEEEEENSD_19counting_iterator_tIlEES8_S8_S8_S8_S8_S8_S8_S8_EEEEPS9_S9_NSD_9__find_if7functorIS9_EEEE10hipError_tPvRmT1_T2_T3_mT4_P12ihipStream_tbEUlT_E0_NS1_11comp_targetILNS1_3genE8ELNS1_11target_archE1030ELNS1_3gpuE2ELNS1_3repE0EEENS1_30default_config_static_selectorELNS0_4arch9wavefront6targetE0EEEvS14_.has_dyn_sized_stack, 0
	.set _ZN7rocprim17ROCPRIM_400000_NS6detail17trampoline_kernelINS0_14default_configENS1_22reduce_config_selectorIN6thrust23THRUST_200600_302600_NS5tupleIblNS6_9null_typeES8_S8_S8_S8_S8_S8_S8_EEEEZNS1_11reduce_implILb1ES3_NS6_12zip_iteratorINS7_INS6_11hip_rocprim26transform_input_iterator_tIbNSD_35transform_pair_of_input_iterators_tIbNS6_6detail15normal_iteratorINS6_10device_ptrIKsEEEESL_NS6_8equal_toIsEEEENSG_9not_fun_tINSD_8identityEEEEENSD_19counting_iterator_tIlEES8_S8_S8_S8_S8_S8_S8_S8_EEEEPS9_S9_NSD_9__find_if7functorIS9_EEEE10hipError_tPvRmT1_T2_T3_mT4_P12ihipStream_tbEUlT_E0_NS1_11comp_targetILNS1_3genE8ELNS1_11target_archE1030ELNS1_3gpuE2ELNS1_3repE0EEENS1_30default_config_static_selectorELNS0_4arch9wavefront6targetE0EEEvS14_.has_recursion, 0
	.set _ZN7rocprim17ROCPRIM_400000_NS6detail17trampoline_kernelINS0_14default_configENS1_22reduce_config_selectorIN6thrust23THRUST_200600_302600_NS5tupleIblNS6_9null_typeES8_S8_S8_S8_S8_S8_S8_EEEEZNS1_11reduce_implILb1ES3_NS6_12zip_iteratorINS7_INS6_11hip_rocprim26transform_input_iterator_tIbNSD_35transform_pair_of_input_iterators_tIbNS6_6detail15normal_iteratorINS6_10device_ptrIKsEEEESL_NS6_8equal_toIsEEEENSG_9not_fun_tINSD_8identityEEEEENSD_19counting_iterator_tIlEES8_S8_S8_S8_S8_S8_S8_S8_EEEEPS9_S9_NSD_9__find_if7functorIS9_EEEE10hipError_tPvRmT1_T2_T3_mT4_P12ihipStream_tbEUlT_E0_NS1_11comp_targetILNS1_3genE8ELNS1_11target_archE1030ELNS1_3gpuE2ELNS1_3repE0EEENS1_30default_config_static_selectorELNS0_4arch9wavefront6targetE0EEEvS14_.has_indirect_call, 0
	.section	.AMDGPU.csdata,"",@progbits
; Kernel info:
; codeLenInByte = 0
; TotalNumSgprs: 0
; NumVgprs: 0
; ScratchSize: 0
; MemoryBound: 0
; FloatMode: 240
; IeeeMode: 1
; LDSByteSize: 0 bytes/workgroup (compile time only)
; SGPRBlocks: 0
; VGPRBlocks: 0
; NumSGPRsForWavesPerEU: 1
; NumVGPRsForWavesPerEU: 1
; NamedBarCnt: 0
; Occupancy: 16
; WaveLimiterHint : 0
; COMPUTE_PGM_RSRC2:SCRATCH_EN: 0
; COMPUTE_PGM_RSRC2:USER_SGPR: 2
; COMPUTE_PGM_RSRC2:TRAP_HANDLER: 0
; COMPUTE_PGM_RSRC2:TGID_X_EN: 1
; COMPUTE_PGM_RSRC2:TGID_Y_EN: 0
; COMPUTE_PGM_RSRC2:TGID_Z_EN: 0
; COMPUTE_PGM_RSRC2:TIDIG_COMP_CNT: 0
	.section	.text._ZN7rocprim17ROCPRIM_400000_NS6detail17trampoline_kernelINS0_14default_configENS1_22reduce_config_selectorIN6thrust23THRUST_200600_302600_NS5tupleIblNS6_9null_typeES8_S8_S8_S8_S8_S8_S8_EEEEZNS1_11reduce_implILb1ES3_NS6_12zip_iteratorINS7_INS6_11hip_rocprim26transform_input_iterator_tIbNSD_35transform_pair_of_input_iterators_tIbNS6_6detail15normal_iteratorINS6_10device_ptrIKsEEEESL_NS6_8equal_toIsEEEENSG_9not_fun_tINSD_8identityEEEEENSD_19counting_iterator_tIlEES8_S8_S8_S8_S8_S8_S8_S8_EEEEPS9_S9_NSD_9__find_if7functorIS9_EEEE10hipError_tPvRmT1_T2_T3_mT4_P12ihipStream_tbEUlT_E1_NS1_11comp_targetILNS1_3genE0ELNS1_11target_archE4294967295ELNS1_3gpuE0ELNS1_3repE0EEENS1_30default_config_static_selectorELNS0_4arch9wavefront6targetE0EEEvS14_,"axG",@progbits,_ZN7rocprim17ROCPRIM_400000_NS6detail17trampoline_kernelINS0_14default_configENS1_22reduce_config_selectorIN6thrust23THRUST_200600_302600_NS5tupleIblNS6_9null_typeES8_S8_S8_S8_S8_S8_S8_EEEEZNS1_11reduce_implILb1ES3_NS6_12zip_iteratorINS7_INS6_11hip_rocprim26transform_input_iterator_tIbNSD_35transform_pair_of_input_iterators_tIbNS6_6detail15normal_iteratorINS6_10device_ptrIKsEEEESL_NS6_8equal_toIsEEEENSG_9not_fun_tINSD_8identityEEEEENSD_19counting_iterator_tIlEES8_S8_S8_S8_S8_S8_S8_S8_EEEEPS9_S9_NSD_9__find_if7functorIS9_EEEE10hipError_tPvRmT1_T2_T3_mT4_P12ihipStream_tbEUlT_E1_NS1_11comp_targetILNS1_3genE0ELNS1_11target_archE4294967295ELNS1_3gpuE0ELNS1_3repE0EEENS1_30default_config_static_selectorELNS0_4arch9wavefront6targetE0EEEvS14_,comdat
	.protected	_ZN7rocprim17ROCPRIM_400000_NS6detail17trampoline_kernelINS0_14default_configENS1_22reduce_config_selectorIN6thrust23THRUST_200600_302600_NS5tupleIblNS6_9null_typeES8_S8_S8_S8_S8_S8_S8_EEEEZNS1_11reduce_implILb1ES3_NS6_12zip_iteratorINS7_INS6_11hip_rocprim26transform_input_iterator_tIbNSD_35transform_pair_of_input_iterators_tIbNS6_6detail15normal_iteratorINS6_10device_ptrIKsEEEESL_NS6_8equal_toIsEEEENSG_9not_fun_tINSD_8identityEEEEENSD_19counting_iterator_tIlEES8_S8_S8_S8_S8_S8_S8_S8_EEEEPS9_S9_NSD_9__find_if7functorIS9_EEEE10hipError_tPvRmT1_T2_T3_mT4_P12ihipStream_tbEUlT_E1_NS1_11comp_targetILNS1_3genE0ELNS1_11target_archE4294967295ELNS1_3gpuE0ELNS1_3repE0EEENS1_30default_config_static_selectorELNS0_4arch9wavefront6targetE0EEEvS14_ ; -- Begin function _ZN7rocprim17ROCPRIM_400000_NS6detail17trampoline_kernelINS0_14default_configENS1_22reduce_config_selectorIN6thrust23THRUST_200600_302600_NS5tupleIblNS6_9null_typeES8_S8_S8_S8_S8_S8_S8_EEEEZNS1_11reduce_implILb1ES3_NS6_12zip_iteratorINS7_INS6_11hip_rocprim26transform_input_iterator_tIbNSD_35transform_pair_of_input_iterators_tIbNS6_6detail15normal_iteratorINS6_10device_ptrIKsEEEESL_NS6_8equal_toIsEEEENSG_9not_fun_tINSD_8identityEEEEENSD_19counting_iterator_tIlEES8_S8_S8_S8_S8_S8_S8_S8_EEEEPS9_S9_NSD_9__find_if7functorIS9_EEEE10hipError_tPvRmT1_T2_T3_mT4_P12ihipStream_tbEUlT_E1_NS1_11comp_targetILNS1_3genE0ELNS1_11target_archE4294967295ELNS1_3gpuE0ELNS1_3repE0EEENS1_30default_config_static_selectorELNS0_4arch9wavefront6targetE0EEEvS14_
	.globl	_ZN7rocprim17ROCPRIM_400000_NS6detail17trampoline_kernelINS0_14default_configENS1_22reduce_config_selectorIN6thrust23THRUST_200600_302600_NS5tupleIblNS6_9null_typeES8_S8_S8_S8_S8_S8_S8_EEEEZNS1_11reduce_implILb1ES3_NS6_12zip_iteratorINS7_INS6_11hip_rocprim26transform_input_iterator_tIbNSD_35transform_pair_of_input_iterators_tIbNS6_6detail15normal_iteratorINS6_10device_ptrIKsEEEESL_NS6_8equal_toIsEEEENSG_9not_fun_tINSD_8identityEEEEENSD_19counting_iterator_tIlEES8_S8_S8_S8_S8_S8_S8_S8_EEEEPS9_S9_NSD_9__find_if7functorIS9_EEEE10hipError_tPvRmT1_T2_T3_mT4_P12ihipStream_tbEUlT_E1_NS1_11comp_targetILNS1_3genE0ELNS1_11target_archE4294967295ELNS1_3gpuE0ELNS1_3repE0EEENS1_30default_config_static_selectorELNS0_4arch9wavefront6targetE0EEEvS14_
	.p2align	8
	.type	_ZN7rocprim17ROCPRIM_400000_NS6detail17trampoline_kernelINS0_14default_configENS1_22reduce_config_selectorIN6thrust23THRUST_200600_302600_NS5tupleIblNS6_9null_typeES8_S8_S8_S8_S8_S8_S8_EEEEZNS1_11reduce_implILb1ES3_NS6_12zip_iteratorINS7_INS6_11hip_rocprim26transform_input_iterator_tIbNSD_35transform_pair_of_input_iterators_tIbNS6_6detail15normal_iteratorINS6_10device_ptrIKsEEEESL_NS6_8equal_toIsEEEENSG_9not_fun_tINSD_8identityEEEEENSD_19counting_iterator_tIlEES8_S8_S8_S8_S8_S8_S8_S8_EEEEPS9_S9_NSD_9__find_if7functorIS9_EEEE10hipError_tPvRmT1_T2_T3_mT4_P12ihipStream_tbEUlT_E1_NS1_11comp_targetILNS1_3genE0ELNS1_11target_archE4294967295ELNS1_3gpuE0ELNS1_3repE0EEENS1_30default_config_static_selectorELNS0_4arch9wavefront6targetE0EEEvS14_,@function
_ZN7rocprim17ROCPRIM_400000_NS6detail17trampoline_kernelINS0_14default_configENS1_22reduce_config_selectorIN6thrust23THRUST_200600_302600_NS5tupleIblNS6_9null_typeES8_S8_S8_S8_S8_S8_S8_EEEEZNS1_11reduce_implILb1ES3_NS6_12zip_iteratorINS7_INS6_11hip_rocprim26transform_input_iterator_tIbNSD_35transform_pair_of_input_iterators_tIbNS6_6detail15normal_iteratorINS6_10device_ptrIKsEEEESL_NS6_8equal_toIsEEEENSG_9not_fun_tINSD_8identityEEEEENSD_19counting_iterator_tIlEES8_S8_S8_S8_S8_S8_S8_S8_EEEEPS9_S9_NSD_9__find_if7functorIS9_EEEE10hipError_tPvRmT1_T2_T3_mT4_P12ihipStream_tbEUlT_E1_NS1_11comp_targetILNS1_3genE0ELNS1_11target_archE4294967295ELNS1_3gpuE0ELNS1_3repE0EEENS1_30default_config_static_selectorELNS0_4arch9wavefront6targetE0EEEvS14_: ; @_ZN7rocprim17ROCPRIM_400000_NS6detail17trampoline_kernelINS0_14default_configENS1_22reduce_config_selectorIN6thrust23THRUST_200600_302600_NS5tupleIblNS6_9null_typeES8_S8_S8_S8_S8_S8_S8_EEEEZNS1_11reduce_implILb1ES3_NS6_12zip_iteratorINS7_INS6_11hip_rocprim26transform_input_iterator_tIbNSD_35transform_pair_of_input_iterators_tIbNS6_6detail15normal_iteratorINS6_10device_ptrIKsEEEESL_NS6_8equal_toIsEEEENSG_9not_fun_tINSD_8identityEEEEENSD_19counting_iterator_tIlEES8_S8_S8_S8_S8_S8_S8_S8_EEEEPS9_S9_NSD_9__find_if7functorIS9_EEEE10hipError_tPvRmT1_T2_T3_mT4_P12ihipStream_tbEUlT_E1_NS1_11comp_targetILNS1_3genE0ELNS1_11target_archE4294967295ELNS1_3gpuE0ELNS1_3repE0EEENS1_30default_config_static_selectorELNS0_4arch9wavefront6targetE0EEEvS14_
; %bb.0:
	s_clause 0x2
	s_load_b32 s24, s[0:1], 0x4
	s_load_b128 s[16:19], s[0:1], 0x8
	s_load_b128 s[12:15], s[0:1], 0x28
	s_wait_kmcnt 0x0
	s_cmp_lt_i32 s24, 4
	s_cbranch_scc1 .LBB307_14
; %bb.1:
	s_cmp_gt_i32 s24, 7
	s_cbranch_scc0 .LBB307_15
; %bb.2:
	s_cmp_eq_u32 s24, 8
	s_mov_b32 s25, 0
	s_cbranch_scc0 .LBB307_16
; %bb.3:
	s_bfe_u32 s2, ttmp6, 0x4000c
	s_and_b32 s3, ttmp6, 15
	s_add_co_i32 s2, s2, 1
	s_getreg_b32 s4, hwreg(HW_REG_IB_STS2, 6, 4)
	s_mul_i32 s2, ttmp9, s2
	s_mov_b32 s11, 0
	s_add_co_i32 s3, s3, s2
	s_cmp_eq_u32 s4, 0
	s_mov_b32 s7, s11
	s_cselect_b32 s10, ttmp9, s3
	s_lshr_b64 s[2:3], s[14:15], 10
	s_lshl_b32 s6, s10, 10
	s_delay_alu instid0(SALU_CYCLE_1)
	s_lshl_b64 s[4:5], s[6:7], 1
	s_cmp_lg_u64 s[2:3], s[10:11]
	s_add_nc_u64 s[8:9], s[16:17], s[4:5]
	s_add_nc_u64 s[22:23], s[18:19], s[4:5]
	;; [unrolled: 1-line block ×3, first 2 shown]
	s_cbranch_scc0 .LBB307_29
; %bb.4:
	s_clause 0xf
	global_load_u16 v1, v0, s[8:9] offset:256 scale_offset
	global_load_u16 v2, v0, s[22:23] scale_offset
	global_load_u16 v3, v0, s[22:23] offset:256 scale_offset
	global_load_u16 v4, v0, s[22:23] offset:512 scale_offset
	;; [unrolled: 1-line block ×4, first 2 shown]
	global_load_u16 v7, v0, s[8:9] scale_offset
	global_load_u16 v8, v0, s[8:9] offset:512 scale_offset
	global_load_u16 v9, v0, s[8:9] offset:1024 scale_offset
	;; [unrolled: 1-line block ×9, first 2 shown]
	v_mov_b32_e32 v17, 0x80
	v_mov_b32_e32 v18, 0x180
	;; [unrolled: 1-line block ×3, first 2 shown]
	s_wait_loadcnt 0xd
	v_cmp_ne_u16_e32 vcc_lo, v1, v3
	s_wait_loadcnt 0x9
	v_cmp_ne_u16_e64 s2, v7, v2
	v_cndmask_b32_e32 v1, 0x100, v17, vcc_lo
	s_wait_loadcnt 0x8
	v_cmp_ne_u16_e64 s3, v8, v4
	s_wait_loadcnt 0x6
	v_cmp_ne_u16_e64 s5, v10, v5
	v_cmp_ne_u16_e64 s4, v9, v6
	v_cndmask_b32_e64 v1, v1, 0, s2
	s_or_b32 s2, s2, vcc_lo
	v_cndmask_b32_e64 v2, 0x200, v18, s5
	s_wait_loadcnt 0x4
	v_cmp_ne_u16_e32 vcc_lo, v11, v12
	s_or_b32 s2, s2, s3
	s_delay_alu instid0(SALU_CYCLE_1)
	s_or_b32 s3, s2, s5
	v_cndmask_b32_e64 v2, v2, v1, s2
	v_cndmask_b32_e32 v3, 0x300, v19, vcc_lo
	v_mov_b32_e32 v1, 0
	s_wait_loadcnt 0x2
	v_cmp_ne_u16_e64 s2, v14, v13
	s_or_b32 s3, s3, s4
	s_delay_alu instid0(SALU_CYCLE_1)
	v_dual_mov_b32 v5, v1 :: v_dual_cndmask_b32 v4, v3, v2, s3
	s_or_b32 s3, s3, vcc_lo
	v_add_nc_u64_e32 v[2:3], s[20:21], v[0:1]
	s_or_b32 vcc_lo, s3, s2
	s_wait_loadcnt 0x0
	v_cmp_ne_u16_e64 s2, v15, v16
	v_cndmask_b32_e32 v4, 0x380, v4, vcc_lo
	s_or_b32 vcc_lo, vcc_lo, s2
	s_delay_alu instid0(VALU_DEP_1) | instskip(SKIP_2) | instid1(VALU_DEP_1)
	v_add_nc_u64_e32 v[2:3], v[2:3], v[4:5]
	v_cndmask_b32_e64 v8, 0, 1, vcc_lo
	s_mov_b32 s2, exec_lo
	v_mov_b32_dpp v9, v8 quad_perm:[1,0,3,2] row_mask:0xf bank_mask:0xf
	s_delay_alu instid0(VALU_DEP_3) | instskip(NEXT) | instid1(VALU_DEP_4)
	v_mov_b32_dpp v4, v2 quad_perm:[1,0,3,2] row_mask:0xf bank_mask:0xf
	v_mov_b32_dpp v5, v3 quad_perm:[1,0,3,2] row_mask:0xf bank_mask:0xf
	s_delay_alu instid0(VALU_DEP_3) | instskip(NEXT) | instid1(VALU_DEP_2)
	v_and_b32_e32 v9, 1, v9
	v_min_i64 v[6:7], v[2:3], v[4:5]
	s_delay_alu instid0(VALU_DEP_1) | instskip(NEXT) | instid1(VALU_DEP_3)
	v_dual_cndmask_b32 v4, v4, v6 :: v_dual_cndmask_b32 v5, v5, v7
	v_cmp_eq_u32_e32 vcc_lo, 1, v9
	v_cndmask_b32_e64 v8, v8, 1, vcc_lo
	s_delay_alu instid0(VALU_DEP_3) | instskip(NEXT) | instid1(VALU_DEP_2)
	v_cndmask_b32_e32 v2, v2, v4, vcc_lo
	v_and_b32_e32 v9, 1, v8
	v_mov_b32_dpp v10, v8 quad_perm:[2,3,0,1] row_mask:0xf bank_mask:0xf
	v_cndmask_b32_e32 v3, v3, v5, vcc_lo
	s_delay_alu instid0(VALU_DEP_4) | instskip(NEXT) | instid1(VALU_DEP_4)
	v_mov_b32_dpp v4, v2 quad_perm:[2,3,0,1] row_mask:0xf bank_mask:0xf
	v_cmp_eq_u32_e32 vcc_lo, 1, v9
	s_delay_alu instid0(VALU_DEP_4) | instskip(NEXT) | instid1(VALU_DEP_4)
	v_and_b32_e32 v9, 1, v10
	v_mov_b32_dpp v5, v3 quad_perm:[2,3,0,1] row_mask:0xf bank_mask:0xf
	s_delay_alu instid0(VALU_DEP_1) | instskip(NEXT) | instid1(VALU_DEP_1)
	v_min_i64 v[6:7], v[2:3], v[4:5]
	v_dual_cndmask_b32 v4, v4, v6 :: v_dual_cndmask_b32 v5, v5, v7
	s_delay_alu instid0(VALU_DEP_4) | instskip(NEXT) | instid1(VALU_DEP_2)
	v_cmp_eq_u32_e32 vcc_lo, 1, v9
	v_dual_cndmask_b32 v3, v3, v5 :: v_dual_cndmask_b32 v2, v2, v4
	v_cndmask_b32_e64 v8, v8, 1, vcc_lo
	s_delay_alu instid0(VALU_DEP_2) | instskip(NEXT) | instid1(VALU_DEP_3)
	v_mov_b32_dpp v5, v3 row_ror:4 row_mask:0xf bank_mask:0xf
	v_mov_b32_dpp v4, v2 row_ror:4 row_mask:0xf bank_mask:0xf
	s_delay_alu instid0(VALU_DEP_3) | instskip(NEXT) | instid1(VALU_DEP_2)
	v_mov_b32_dpp v10, v8 row_ror:4 row_mask:0xf bank_mask:0xf
	v_min_i64 v[6:7], v[2:3], v[4:5]
	v_and_b32_e32 v9, 1, v8
	s_delay_alu instid0(VALU_DEP_1) | instskip(NEXT) | instid1(VALU_DEP_3)
	v_cmp_eq_u32_e32 vcc_lo, 1, v9
	v_dual_cndmask_b32 v5, v5, v7, vcc_lo :: v_dual_bitop2_b32 v9, 1, v10 bitop3:0x40
	s_delay_alu instid0(VALU_DEP_4) | instskip(NEXT) | instid1(VALU_DEP_2)
	v_cndmask_b32_e32 v4, v4, v6, vcc_lo
	v_cmp_eq_u32_e32 vcc_lo, 1, v9
	s_delay_alu instid0(VALU_DEP_2) | instskip(SKIP_1) | instid1(VALU_DEP_2)
	v_dual_cndmask_b32 v3, v3, v5 :: v_dual_cndmask_b32 v2, v2, v4
	v_cndmask_b32_e64 v8, v8, 1, vcc_lo
	v_mov_b32_dpp v5, v3 row_ror:8 row_mask:0xf bank_mask:0xf
	s_delay_alu instid0(VALU_DEP_3) | instskip(NEXT) | instid1(VALU_DEP_3)
	v_mov_b32_dpp v4, v2 row_ror:8 row_mask:0xf bank_mask:0xf
	v_mov_b32_dpp v10, v8 row_ror:8 row_mask:0xf bank_mask:0xf
	s_delay_alu instid0(VALU_DEP_2) | instskip(SKIP_1) | instid1(VALU_DEP_1)
	v_min_i64 v[6:7], v[2:3], v[4:5]
	v_and_b32_e32 v9, 1, v8
	v_cmp_eq_u32_e32 vcc_lo, 1, v9
	s_delay_alu instid0(VALU_DEP_3) | instskip(NEXT) | instid1(VALU_DEP_4)
	v_dual_cndmask_b32 v5, v5, v7, vcc_lo :: v_dual_bitop2_b32 v9, 1, v10 bitop3:0x40
	v_cndmask_b32_e32 v4, v4, v6, vcc_lo
	s_delay_alu instid0(VALU_DEP_2) | instskip(NEXT) | instid1(VALU_DEP_2)
	v_cmp_eq_u32_e32 vcc_lo, 1, v9
	v_dual_cndmask_b32 v3, v3, v5 :: v_dual_cndmask_b32 v2, v2, v4
	v_cndmask_b32_e64 v8, v8, 1, vcc_lo
	ds_swizzle_b32 v5, v3 offset:swizzle(BROADCAST,32,15)
	ds_swizzle_b32 v4, v2 offset:swizzle(BROADCAST,32,15)
	;; [unrolled: 1-line block ×3, first 2 shown]
	s_wait_dscnt 0x1
	v_min_i64 v[6:7], v[2:3], v[4:5]
	v_and_b32_e32 v10, 1, v8
	s_delay_alu instid0(VALU_DEP_1) | instskip(SKIP_1) | instid1(VALU_DEP_3)
	v_cmp_eq_u32_e32 vcc_lo, 1, v10
	s_wait_dscnt 0x0
	v_dual_cndmask_b32 v5, v5, v7, vcc_lo :: v_dual_bitop2_b32 v9, 1, v9 bitop3:0x40
	s_delay_alu instid0(VALU_DEP_4) | instskip(NEXT) | instid1(VALU_DEP_2)
	v_cndmask_b32_e32 v4, v4, v6, vcc_lo
	v_cmp_eq_u32_e32 vcc_lo, 1, v9
	s_delay_alu instid0(VALU_DEP_2)
	v_dual_cndmask_b32 v3, v3, v5 :: v_dual_cndmask_b32 v2, v2, v4
	v_cndmask_b32_e64 v5, v8, 1, vcc_lo
	ds_bpermute_b32 v3, v1, v3 offset:124
	ds_bpermute_b32 v2, v1, v2 offset:124
	;; [unrolled: 1-line block ×3, first 2 shown]
	v_mbcnt_lo_u32_b32 v1, -1, 0
	s_delay_alu instid0(VALU_DEP_1)
	v_cmpx_eq_u32_e32 0, v1
	s_cbranch_execz .LBB307_6
; %bb.5:
	v_lshrrev_b32_e32 v4, 1, v0
	s_delay_alu instid0(VALU_DEP_1)
	v_and_b32_e32 v4, 48, v4
	s_wait_dscnt 0x0
	ds_store_b8 v4, v20 offset:192
	ds_store_b64 v4, v[2:3] offset:200
.LBB307_6:
	s_or_b32 exec_lo, exec_lo, s2
	s_delay_alu instid0(SALU_CYCLE_1)
	s_mov_b32 s2, exec_lo
	s_wait_dscnt 0x0
	s_barrier_signal -1
	s_barrier_wait -1
	v_cmpx_gt_u32_e32 32, v0
	s_cbranch_execz .LBB307_12
; %bb.7:
	v_and_b32_e32 v2, 3, v1
	s_delay_alu instid0(VALU_DEP_1) | instskip(SKIP_2) | instid1(VALU_DEP_1)
	v_cmp_ne_u32_e32 vcc_lo, 3, v2
	v_lshlrev_b32_e32 v3, 4, v2
	v_add_co_ci_u32_e64 v2, null, 0, v1, vcc_lo
	v_lshlrev_b32_e32 v2, 2, v2
	ds_load_u8 v8, v3 offset:192
	ds_load_b64 v[4:5], v3 offset:200
	s_wait_dscnt 0x1
	v_and_b32_e32 v3, 0xff, v8
	s_wait_dscnt 0x0
	ds_bpermute_b32 v6, v2, v4
	ds_bpermute_b32 v7, v2, v5
	;; [unrolled: 1-line block ×3, first 2 shown]
	s_wait_dscnt 0x0
	v_and_b32_e32 v2, v8, v9
	s_delay_alu instid0(VALU_DEP_1) | instskip(NEXT) | instid1(VALU_DEP_1)
	v_and_b32_e32 v2, 1, v2
	v_cmp_eq_u32_e32 vcc_lo, 1, v2
                                        ; implicit-def: $vgpr2_vgpr3
	s_and_saveexec_b32 s3, vcc_lo
	s_delay_alu instid0(SALU_CYCLE_1)
	s_xor_b32 s3, exec_lo, s3
; %bb.8:
	v_min_i64 v[2:3], v[6:7], v[4:5]
                                        ; implicit-def: $vgpr8
                                        ; implicit-def: $vgpr6_vgpr7
                                        ; implicit-def: $vgpr4_vgpr5
                                        ; implicit-def: $vgpr9
; %bb.9:
	s_or_saveexec_b32 s3, s3
	v_dual_mov_b32 v10, 1 :: v_dual_lshlrev_b32 v1, 2, v1
	s_xor_b32 exec_lo, exec_lo, s3
; %bb.10:
	v_and_b32_e32 v2, 1, v8
	v_and_b32_e32 v8, 0xff, v9
	s_delay_alu instid0(VALU_DEP_2) | instskip(SKIP_1) | instid1(VALU_DEP_3)
	v_cmp_eq_u32_e32 vcc_lo, 1, v2
	v_dual_cndmask_b32 v3, v7, v5 :: v_dual_cndmask_b32 v2, v6, v4
	v_cndmask_b32_e64 v10, v8, 1, vcc_lo
; %bb.11:
	s_or_b32 exec_lo, exec_lo, s3
	s_delay_alu instid0(VALU_DEP_1) | instskip(NEXT) | instid1(VALU_DEP_1)
	v_and_b32_e32 v8, 1, v10
	v_cmp_eq_u32_e32 vcc_lo, 1, v8
	v_or_b32_e32 v1, 8, v1
	ds_bpermute_b32 v4, v1, v2
	ds_bpermute_b32 v5, v1, v3
	s_wait_dscnt 0x0
	v_min_i64 v[6:7], v[4:5], v[2:3]
	v_cndmask_b32_e32 v2, v4, v2, vcc_lo
	ds_bpermute_b32 v1, v1, v10
	v_cndmask_b32_e32 v3, v5, v3, vcc_lo
	s_wait_dscnt 0x0
	v_bitop3_b32 v8, v10, 1, v1 bitop3:0x80
	v_cndmask_b32_e64 v1, v1, 1, vcc_lo
	s_delay_alu instid0(VALU_DEP_2) | instskip(NEXT) | instid1(VALU_DEP_2)
	v_cmp_eq_u32_e32 vcc_lo, 0, v8
	v_dual_cndmask_b32 v20, 1, v1 :: v_dual_cndmask_b32 v3, v7, v3
	v_cndmask_b32_e32 v2, v6, v2, vcc_lo
.LBB307_12:
	s_or_b32 exec_lo, exec_lo, s2
.LBB307_13:
	v_cmp_eq_u32_e64 s2, 0, v0
	s_and_b32 vcc_lo, exec_lo, s25
	s_cbranch_vccnz .LBB307_17
	s_branch .LBB307_118
.LBB307_14:
	s_mov_b32 s2, 0
                                        ; implicit-def: $sgpr10_sgpr11
                                        ; implicit-def: $vgpr2_vgpr3
                                        ; implicit-def: $vgpr20
	s_cbranch_execnz .LBB307_155
	s_branch .LBB307_211
.LBB307_15:
	s_mov_b32 s25, -1
.LBB307_16:
	s_mov_b32 s2, 0
                                        ; implicit-def: $sgpr10_sgpr11
                                        ; implicit-def: $vgpr2_vgpr3
                                        ; implicit-def: $vgpr20
	s_and_b32 vcc_lo, exec_lo, s25
	s_cbranch_vccz .LBB307_118
.LBB307_17:
	s_cmp_eq_u32 s24, 4
	s_cbranch_scc0 .LBB307_28
; %bb.18:
	s_bfe_u32 s2, ttmp6, 0x4000c
	s_and_b32 s3, ttmp6, 15
	s_add_co_i32 s2, s2, 1
	s_getreg_b32 s4, hwreg(HW_REG_IB_STS2, 6, 4)
	s_mul_i32 s2, ttmp9, s2
	s_mov_b32 s11, 0
	s_add_co_i32 s3, s3, s2
	s_cmp_eq_u32 s4, 0
	s_mov_b32 s21, s11
	s_cselect_b32 s10, ttmp9, s3
	s_lshr_b64 s[2:3], s[14:15], 9
	s_lshl_b32 s20, s10, 9
	s_delay_alu instid0(SALU_CYCLE_1)
	s_lshl_b64 s[4:5], s[20:21], 1
	s_cmp_lg_u64 s[2:3], s[10:11]
	s_add_nc_u64 s[6:7], s[16:17], s[4:5]
	s_add_nc_u64 s[8:9], s[18:19], s[4:5]
	;; [unrolled: 1-line block ×3, first 2 shown]
	s_cbranch_scc0 .LBB307_52
; %bb.19:
	s_wait_dscnt 0x2
	s_clause 0x2
	global_load_u16 v1, v0, s[6:7] offset:256 scale_offset
	global_load_u16 v2, v0, s[8:9] offset:256 scale_offset
	global_load_u16 v3, v0, s[6:7] scale_offset
	s_wait_dscnt 0x1
	global_load_u16 v4, v0, s[8:9] scale_offset
	s_wait_dscnt 0x0
	s_clause 0x3
	global_load_u16 v5, v0, s[6:7] offset:512 scale_offset
	global_load_u16 v6, v0, s[8:9] offset:512 scale_offset
	;; [unrolled: 1-line block ×4, first 2 shown]
	v_mov_b32_e32 v7, 0x80
	s_wait_loadcnt 0x6
	v_cmp_ne_u16_e32 vcc_lo, v1, v2
	v_mov_b32_e32 v1, 0
	s_wait_loadcnt 0x4
	v_cmp_ne_u16_e64 s2, v3, v4
	s_wait_loadcnt 0x2
	v_cmp_ne_u16_e64 s3, v5, v6
	v_cndmask_b32_e32 v2, 0x100, v7, vcc_lo
	s_delay_alu instid0(VALU_DEP_1) | instskip(SKIP_3) | instid1(VALU_DEP_2)
	v_cndmask_b32_e64 v4, v2, 0, s2
	s_or_b32 s2, s2, vcc_lo
	v_add_nc_u64_e32 v[2:3], s[4:5], v[0:1]
	s_or_b32 vcc_lo, s2, s3
	v_dual_mov_b32 v5, v1 :: v_dual_cndmask_b32 v4, 0x180, v4
	s_wait_loadcnt 0x0
	v_cmp_ne_u16_e64 s2, v9, v8
	s_delay_alu instid0(VALU_DEP_2) | instskip(SKIP_3) | instid1(VALU_DEP_2)
	v_add_nc_u64_e32 v[2:3], v[2:3], v[4:5]
	s_or_b32 vcc_lo, vcc_lo, s2
	s_mov_b32 s2, exec_lo
	v_cndmask_b32_e64 v8, 0, 1, vcc_lo
	v_mov_b32_dpp v4, v2 quad_perm:[1,0,3,2] row_mask:0xf bank_mask:0xf
	s_delay_alu instid0(VALU_DEP_3) | instskip(NEXT) | instid1(VALU_DEP_3)
	v_mov_b32_dpp v5, v3 quad_perm:[1,0,3,2] row_mask:0xf bank_mask:0xf
	v_mov_b32_dpp v9, v8 quad_perm:[1,0,3,2] row_mask:0xf bank_mask:0xf
	s_delay_alu instid0(VALU_DEP_2) | instskip(NEXT) | instid1(VALU_DEP_1)
	v_min_i64 v[6:7], v[2:3], v[4:5]
	v_dual_cndmask_b32 v5, v5, v7, vcc_lo :: v_dual_bitop2_b32 v9, 1, v9 bitop3:0x40
	s_delay_alu instid0(VALU_DEP_2) | instskip(NEXT) | instid1(VALU_DEP_2)
	v_cndmask_b32_e32 v4, v4, v6, vcc_lo
	v_cmp_eq_u32_e32 vcc_lo, 1, v9
	s_delay_alu instid0(VALU_DEP_2) | instskip(SKIP_1) | instid1(VALU_DEP_2)
	v_dual_cndmask_b32 v3, v3, v5 :: v_dual_cndmask_b32 v2, v2, v4
	v_cndmask_b32_e64 v8, v8, 1, vcc_lo
	v_mov_b32_dpp v5, v3 quad_perm:[2,3,0,1] row_mask:0xf bank_mask:0xf
	s_delay_alu instid0(VALU_DEP_3) | instskip(NEXT) | instid1(VALU_DEP_3)
	v_mov_b32_dpp v4, v2 quad_perm:[2,3,0,1] row_mask:0xf bank_mask:0xf
	v_mov_b32_dpp v10, v8 quad_perm:[2,3,0,1] row_mask:0xf bank_mask:0xf
	s_delay_alu instid0(VALU_DEP_2) | instskip(SKIP_1) | instid1(VALU_DEP_1)
	v_min_i64 v[6:7], v[2:3], v[4:5]
	v_and_b32_e32 v9, 1, v8
	v_cmp_eq_u32_e32 vcc_lo, 1, v9
	s_delay_alu instid0(VALU_DEP_3) | instskip(NEXT) | instid1(VALU_DEP_4)
	v_dual_cndmask_b32 v5, v5, v7, vcc_lo :: v_dual_bitop2_b32 v9, 1, v10 bitop3:0x40
	v_cndmask_b32_e32 v4, v4, v6, vcc_lo
	s_delay_alu instid0(VALU_DEP_2) | instskip(NEXT) | instid1(VALU_DEP_2)
	v_cmp_eq_u32_e32 vcc_lo, 1, v9
	v_dual_cndmask_b32 v3, v3, v5 :: v_dual_cndmask_b32 v2, v2, v4
	v_cndmask_b32_e64 v8, v8, 1, vcc_lo
	s_delay_alu instid0(VALU_DEP_2) | instskip(NEXT) | instid1(VALU_DEP_3)
	v_mov_b32_dpp v5, v3 row_ror:4 row_mask:0xf bank_mask:0xf
	v_mov_b32_dpp v4, v2 row_ror:4 row_mask:0xf bank_mask:0xf
	s_delay_alu instid0(VALU_DEP_3) | instskip(NEXT) | instid1(VALU_DEP_2)
	v_mov_b32_dpp v10, v8 row_ror:4 row_mask:0xf bank_mask:0xf
	v_min_i64 v[6:7], v[2:3], v[4:5]
	v_and_b32_e32 v9, 1, v8
	s_delay_alu instid0(VALU_DEP_1) | instskip(NEXT) | instid1(VALU_DEP_3)
	v_cmp_eq_u32_e32 vcc_lo, 1, v9
	v_dual_cndmask_b32 v5, v5, v7, vcc_lo :: v_dual_bitop2_b32 v9, 1, v10 bitop3:0x40
	s_delay_alu instid0(VALU_DEP_4) | instskip(NEXT) | instid1(VALU_DEP_2)
	v_cndmask_b32_e32 v4, v4, v6, vcc_lo
	v_cmp_eq_u32_e32 vcc_lo, 1, v9
	s_delay_alu instid0(VALU_DEP_2) | instskip(SKIP_1) | instid1(VALU_DEP_2)
	v_dual_cndmask_b32 v3, v3, v5 :: v_dual_cndmask_b32 v2, v2, v4
	v_cndmask_b32_e64 v8, v8, 1, vcc_lo
	v_mov_b32_dpp v5, v3 row_ror:8 row_mask:0xf bank_mask:0xf
	s_delay_alu instid0(VALU_DEP_3) | instskip(NEXT) | instid1(VALU_DEP_3)
	v_mov_b32_dpp v4, v2 row_ror:8 row_mask:0xf bank_mask:0xf
	v_mov_b32_dpp v10, v8 row_ror:8 row_mask:0xf bank_mask:0xf
	s_delay_alu instid0(VALU_DEP_2) | instskip(SKIP_1) | instid1(VALU_DEP_1)
	v_min_i64 v[6:7], v[2:3], v[4:5]
	v_and_b32_e32 v9, 1, v8
	v_cmp_eq_u32_e32 vcc_lo, 1, v9
	s_delay_alu instid0(VALU_DEP_3) | instskip(NEXT) | instid1(VALU_DEP_4)
	v_dual_cndmask_b32 v5, v5, v7, vcc_lo :: v_dual_bitop2_b32 v9, 1, v10 bitop3:0x40
	v_cndmask_b32_e32 v4, v4, v6, vcc_lo
	s_delay_alu instid0(VALU_DEP_2) | instskip(NEXT) | instid1(VALU_DEP_2)
	v_cmp_eq_u32_e32 vcc_lo, 1, v9
	v_dual_cndmask_b32 v3, v3, v5 :: v_dual_cndmask_b32 v2, v2, v4
	v_cndmask_b32_e64 v8, v8, 1, vcc_lo
	ds_swizzle_b32 v5, v3 offset:swizzle(BROADCAST,32,15)
	ds_swizzle_b32 v4, v2 offset:swizzle(BROADCAST,32,15)
	;; [unrolled: 1-line block ×3, first 2 shown]
	s_wait_dscnt 0x1
	v_min_i64 v[6:7], v[2:3], v[4:5]
	v_and_b32_e32 v10, 1, v8
	s_delay_alu instid0(VALU_DEP_1) | instskip(SKIP_1) | instid1(VALU_DEP_3)
	v_cmp_eq_u32_e32 vcc_lo, 1, v10
	s_wait_dscnt 0x0
	v_dual_cndmask_b32 v5, v5, v7, vcc_lo :: v_dual_bitop2_b32 v9, 1, v9 bitop3:0x40
	s_delay_alu instid0(VALU_DEP_4) | instskip(NEXT) | instid1(VALU_DEP_2)
	v_cndmask_b32_e32 v4, v4, v6, vcc_lo
	v_cmp_eq_u32_e32 vcc_lo, 1, v9
	s_delay_alu instid0(VALU_DEP_2)
	v_dual_cndmask_b32 v3, v3, v5 :: v_dual_cndmask_b32 v2, v2, v4
	v_cndmask_b32_e64 v5, v8, 1, vcc_lo
	ds_bpermute_b32 v3, v1, v3 offset:124
	ds_bpermute_b32 v2, v1, v2 offset:124
	;; [unrolled: 1-line block ×3, first 2 shown]
	v_mbcnt_lo_u32_b32 v1, -1, 0
	s_delay_alu instid0(VALU_DEP_1)
	v_cmpx_eq_u32_e32 0, v1
	s_cbranch_execz .LBB307_21
; %bb.20:
	v_lshrrev_b32_e32 v4, 1, v0
	s_delay_alu instid0(VALU_DEP_1)
	v_and_b32_e32 v4, 48, v4
	s_wait_dscnt 0x0
	ds_store_b8 v4, v20 offset:128
	ds_store_b64 v4, v[2:3] offset:136
.LBB307_21:
	s_or_b32 exec_lo, exec_lo, s2
	s_delay_alu instid0(SALU_CYCLE_1)
	s_mov_b32 s2, exec_lo
	s_wait_dscnt 0x0
	s_barrier_signal -1
	s_barrier_wait -1
	v_cmpx_gt_u32_e32 32, v0
	s_cbranch_execz .LBB307_27
; %bb.22:
	v_and_b32_e32 v2, 3, v1
	s_delay_alu instid0(VALU_DEP_1) | instskip(SKIP_2) | instid1(VALU_DEP_1)
	v_cmp_ne_u32_e32 vcc_lo, 3, v2
	v_lshlrev_b32_e32 v3, 4, v2
	v_add_co_ci_u32_e64 v2, null, 0, v1, vcc_lo
	v_lshlrev_b32_e32 v2, 2, v2
	ds_load_u8 v8, v3 offset:128
	ds_load_b64 v[4:5], v3 offset:136
	s_wait_dscnt 0x1
	v_and_b32_e32 v3, 0xff, v8
	s_wait_dscnt 0x0
	ds_bpermute_b32 v6, v2, v4
	ds_bpermute_b32 v7, v2, v5
	;; [unrolled: 1-line block ×3, first 2 shown]
	s_wait_dscnt 0x0
	v_and_b32_e32 v2, v8, v9
	s_delay_alu instid0(VALU_DEP_1) | instskip(NEXT) | instid1(VALU_DEP_1)
	v_and_b32_e32 v2, 1, v2
	v_cmp_eq_u32_e32 vcc_lo, 1, v2
                                        ; implicit-def: $vgpr2_vgpr3
	s_and_saveexec_b32 s3, vcc_lo
	s_delay_alu instid0(SALU_CYCLE_1)
	s_xor_b32 s3, exec_lo, s3
; %bb.23:
	v_min_i64 v[2:3], v[6:7], v[4:5]
                                        ; implicit-def: $vgpr8
                                        ; implicit-def: $vgpr6_vgpr7
                                        ; implicit-def: $vgpr4_vgpr5
                                        ; implicit-def: $vgpr9
; %bb.24:
	s_or_saveexec_b32 s3, s3
	v_dual_mov_b32 v10, 1 :: v_dual_lshlrev_b32 v1, 2, v1
	s_xor_b32 exec_lo, exec_lo, s3
; %bb.25:
	v_and_b32_e32 v2, 1, v8
	v_and_b32_e32 v8, 0xff, v9
	s_delay_alu instid0(VALU_DEP_2) | instskip(SKIP_1) | instid1(VALU_DEP_3)
	v_cmp_eq_u32_e32 vcc_lo, 1, v2
	v_dual_cndmask_b32 v3, v7, v5 :: v_dual_cndmask_b32 v2, v6, v4
	v_cndmask_b32_e64 v10, v8, 1, vcc_lo
; %bb.26:
	s_or_b32 exec_lo, exec_lo, s3
	s_delay_alu instid0(VALU_DEP_1) | instskip(NEXT) | instid1(VALU_DEP_1)
	v_and_b32_e32 v8, 1, v10
	v_cmp_eq_u32_e32 vcc_lo, 1, v8
	v_or_b32_e32 v1, 8, v1
	ds_bpermute_b32 v4, v1, v2
	ds_bpermute_b32 v5, v1, v3
	s_wait_dscnt 0x0
	v_min_i64 v[6:7], v[4:5], v[2:3]
	v_cndmask_b32_e32 v2, v4, v2, vcc_lo
	ds_bpermute_b32 v1, v1, v10
	v_cndmask_b32_e32 v3, v5, v3, vcc_lo
	s_wait_dscnt 0x0
	v_bitop3_b32 v8, v10, 1, v1 bitop3:0x80
	v_cndmask_b32_e64 v1, v1, 1, vcc_lo
	s_delay_alu instid0(VALU_DEP_2) | instskip(NEXT) | instid1(VALU_DEP_2)
	v_cmp_eq_u32_e32 vcc_lo, 0, v8
	v_dual_cndmask_b32 v20, 1, v1 :: v_dual_cndmask_b32 v3, v7, v3
	v_cndmask_b32_e32 v2, v6, v2, vcc_lo
.LBB307_27:
	s_or_b32 exec_lo, exec_lo, s2
	s_branch .LBB307_154
.LBB307_28:
                                        ; implicit-def: $sgpr10_sgpr11
                                        ; implicit-def: $vgpr2_vgpr3
                                        ; implicit-def: $vgpr20
	s_branch .LBB307_211
.LBB307_29:
                                        ; implicit-def: $vgpr2_vgpr3
                                        ; implicit-def: $vgpr20
	s_cbranch_execz .LBB307_13
; %bb.30:
	v_mov_b64_e32 v[16:17], 0
	v_mov_b64_e32 v[2:3], 0
	v_dual_mov_b32 v26, 0 :: v_dual_mov_b32 v20, 0
	s_sub_co_i32 s26, s14, s6
	s_mov_b32 s2, exec_lo
	v_cmpx_gt_u32_e64 s26, v0
	s_cbranch_execz .LBB307_32
; %bb.31:
	s_clause 0x1
	global_load_u16 v4, v0, s[8:9] scale_offset
	global_load_u16 v5, v0, s[22:23] scale_offset
	v_mov_b32_e32 v1, 0
	s_delay_alu instid0(VALU_DEP_1)
	v_add_nc_u64_e32 v[2:3], s[20:21], v[0:1]
	s_wait_loadcnt 0x0
	v_cmp_ne_u16_e32 vcc_lo, v4, v5
	v_cndmask_b32_e64 v20, 0, 1, vcc_lo
.LBB307_32:
	s_or_b32 exec_lo, exec_lo, s2
	v_or_b32_e32 v4, 0x80, v0
	s_delay_alu instid0(VALU_DEP_1)
	v_cmp_gt_u32_e64 s7, s26, v4
	s_and_saveexec_b32 s2, s7
	s_cbranch_execz .LBB307_34
; %bb.33:
	s_clause 0x1
	global_load_u16 v1, v0, s[8:9] offset:256 scale_offset
	global_load_u16 v6, v0, s[22:23] offset:256 scale_offset
	v_mov_b32_e32 v5, 0
	s_delay_alu instid0(VALU_DEP_1)
	v_add_nc_u64_e32 v[16:17], s[20:21], v[4:5]
	s_wait_loadcnt 0x0
	v_cmp_ne_u16_e32 vcc_lo, v1, v6
	v_cndmask_b32_e64 v26, 0, 1, vcc_lo
.LBB307_34:
	s_or_b32 exec_lo, exec_lo, s2
	v_or_b32_e32 v4, 0x100, v0
	v_mov_b64_e32 v[12:13], 0
	v_mov_b64_e32 v[14:15], 0
	v_dual_mov_b32 v24, 0 :: v_dual_mov_b32 v25, 0
	s_delay_alu instid0(VALU_DEP_4)
	v_cmp_gt_u32_e64 s6, s26, v4
	s_and_saveexec_b32 s2, s6
	s_cbranch_execz .LBB307_36
; %bb.35:
	s_clause 0x1
	global_load_u16 v1, v0, s[8:9] offset:512 scale_offset
	global_load_u16 v6, v0, s[22:23] offset:512 scale_offset
	v_mov_b32_e32 v5, 0
	s_delay_alu instid0(VALU_DEP_1)
	v_add_nc_u64_e32 v[14:15], s[20:21], v[4:5]
	s_wait_loadcnt 0x0
	v_cmp_ne_u16_e32 vcc_lo, v1, v6
	v_cndmask_b32_e64 v25, 0, 1, vcc_lo
.LBB307_36:
	s_or_b32 exec_lo, exec_lo, s2
	v_or_b32_e32 v4, 0x180, v0
	s_delay_alu instid0(VALU_DEP_1)
	v_cmp_gt_u32_e64 s5, s26, v4
	s_and_saveexec_b32 s2, s5
	s_cbranch_execz .LBB307_38
; %bb.37:
	s_clause 0x1
	global_load_u16 v1, v0, s[8:9] offset:768 scale_offset
	global_load_u16 v6, v0, s[22:23] offset:768 scale_offset
	v_mov_b32_e32 v5, 0
	s_delay_alu instid0(VALU_DEP_1)
	v_add_nc_u64_e32 v[12:13], s[20:21], v[4:5]
	s_wait_loadcnt 0x0
	v_cmp_ne_u16_e32 vcc_lo, v1, v6
	v_cndmask_b32_e64 v24, 0, 1, vcc_lo
.LBB307_38:
	s_or_b32 exec_lo, exec_lo, s2
	v_or_b32_e32 v4, 0x200, v0
	v_mov_b64_e32 v[8:9], 0
	v_mov_b64_e32 v[10:11], 0
	v_dual_mov_b32 v22, 0 :: v_dual_mov_b32 v23, 0
	s_delay_alu instid0(VALU_DEP_4)
	v_cmp_gt_u32_e64 s4, s26, v4
	s_and_saveexec_b32 s2, s4
	s_cbranch_execz .LBB307_40
; %bb.39:
	s_clause 0x1
	global_load_u16 v1, v0, s[8:9] offset:1024 scale_offset
	global_load_u16 v6, v0, s[22:23] offset:1024 scale_offset
	v_mov_b32_e32 v5, 0
	s_delay_alu instid0(VALU_DEP_1)
	v_add_nc_u64_e32 v[10:11], s[20:21], v[4:5]
	s_wait_loadcnt 0x0
	v_cmp_ne_u16_e32 vcc_lo, v1, v6
	v_cndmask_b32_e64 v23, 0, 1, vcc_lo
.LBB307_40:
	;; [unrolled: 37-line block ×3, first 2 shown]
	s_or_b32 exec_lo, exec_lo, s27
	v_or_b32_e32 v18, 0x380, v0
	s_delay_alu instid0(VALU_DEP_1)
	v_cmp_gt_u32_e32 vcc_lo, s26, v18
	s_and_saveexec_b32 s27, vcc_lo
	s_cbranch_execnz .LBB307_63
; %bb.45:
	s_or_b32 exec_lo, exec_lo, s27
	s_and_saveexec_b32 s9, s7
	s_cbranch_execnz .LBB307_64
.LBB307_46:
	s_or_b32 exec_lo, exec_lo, s9
	s_and_saveexec_b32 s8, s6
	s_cbranch_execnz .LBB307_69
.LBB307_47:
	s_or_b32 exec_lo, exec_lo, s8
	s_and_saveexec_b32 s7, s5
	s_cbranch_execnz .LBB307_74
.LBB307_48:
	s_or_b32 exec_lo, exec_lo, s7
	s_and_saveexec_b32 s6, s4
	s_cbranch_execnz .LBB307_79
.LBB307_49:
	s_or_b32 exec_lo, exec_lo, s6
	s_and_saveexec_b32 s5, s3
	s_cbranch_execnz .LBB307_84
.LBB307_50:
	s_or_b32 exec_lo, exec_lo, s5
	s_and_saveexec_b32 s4, s2
	s_cbranch_execnz .LBB307_89
.LBB307_51:
	s_or_b32 exec_lo, exec_lo, s4
	s_and_saveexec_b32 s3, vcc_lo
	s_cbranch_execnz .LBB307_94
	s_branch .LBB307_99
.LBB307_52:
                                        ; implicit-def: $vgpr2_vgpr3
                                        ; implicit-def: $vgpr20
	s_cbranch_execz .LBB307_154
; %bb.53:
	v_mov_b64_e32 v[8:9], 0
	v_mov_b64_e32 v[2:3], 0
	v_dual_mov_b32 v13, 0 :: v_dual_mov_b32 v20, 0
	s_sub_co_i32 s20, s14, s20
	s_mov_b32 s2, exec_lo
	v_cmpx_gt_u32_e64 s20, v0
	s_cbranch_execz .LBB307_55
; %bb.54:
	s_wait_dscnt 0x1
	global_load_u16 v4, v0, s[6:7] scale_offset
	s_wait_dscnt 0x0
	global_load_u16 v5, v0, s[8:9] scale_offset
	v_mov_b32_e32 v1, 0
	s_delay_alu instid0(VALU_DEP_1)
	v_add_nc_u64_e32 v[2:3], s[4:5], v[0:1]
	s_wait_loadcnt 0x0
	v_cmp_ne_u16_e32 vcc_lo, v4, v5
	v_cndmask_b32_e64 v20, 0, 1, vcc_lo
.LBB307_55:
	s_or_b32 exec_lo, exec_lo, s2
	s_wait_dscnt 0x1
	v_or_b32_e32 v4, 0x80, v0
	s_delay_alu instid0(VALU_DEP_1)
	v_cmp_gt_u32_e64 s3, s20, v4
	s_and_saveexec_b32 s2, s3
	s_cbranch_execz .LBB307_57
; %bb.56:
	s_clause 0x1
	global_load_u16 v1, v0, s[6:7] offset:256 scale_offset
	global_load_u16 v6, v0, s[8:9] offset:256 scale_offset
	s_wait_dscnt 0x0
	v_mov_b32_e32 v5, 0
	s_delay_alu instid0(VALU_DEP_1)
	v_add_nc_u64_e32 v[8:9], s[4:5], v[4:5]
	s_wait_loadcnt 0x0
	v_cmp_ne_u16_e32 vcc_lo, v1, v6
	v_cndmask_b32_e64 v13, 0, 1, vcc_lo
.LBB307_57:
	s_or_b32 exec_lo, exec_lo, s2
	v_or_b32_e32 v10, 0x100, v0
	s_wait_dscnt 0x0
	v_mov_b64_e32 v[4:5], 0
	v_mov_b64_e32 v[6:7], 0
	v_dual_mov_b32 v1, 0 :: v_dual_mov_b32 v12, 0
	v_cmp_gt_u32_e64 s2, s20, v10
	s_and_saveexec_b32 s21, s2
	s_cbranch_execz .LBB307_59
; %bb.58:
	s_clause 0x1
	global_load_u16 v12, v0, s[6:7] offset:512 scale_offset
	global_load_u16 v14, v0, s[8:9] offset:512 scale_offset
	v_mov_b32_e32 v11, 0
	s_delay_alu instid0(VALU_DEP_1)
	v_add_nc_u64_e32 v[6:7], s[4:5], v[10:11]
	s_wait_loadcnt 0x0
	v_cmp_ne_u16_e32 vcc_lo, v12, v14
	v_cndmask_b32_e64 v12, 0, 1, vcc_lo
.LBB307_59:
	s_or_b32 exec_lo, exec_lo, s21
	v_or_b32_e32 v10, 0x180, v0
	s_delay_alu instid0(VALU_DEP_1)
	v_cmp_gt_u32_e32 vcc_lo, s20, v10
	s_and_saveexec_b32 s21, vcc_lo
	s_cbranch_execnz .LBB307_119
; %bb.60:
	s_or_b32 exec_lo, exec_lo, s21
	s_and_saveexec_b32 s5, s3
	s_cbranch_execnz .LBB307_120
.LBB307_61:
	s_or_b32 exec_lo, exec_lo, s5
	s_and_saveexec_b32 s4, s2
	s_cbranch_execnz .LBB307_125
.LBB307_62:
	s_or_b32 exec_lo, exec_lo, s4
	s_and_saveexec_b32 s3, vcc_lo
	s_cbranch_execnz .LBB307_130
	s_branch .LBB307_135
.LBB307_63:
	s_clause 0x1
	global_load_u16 v1, v0, s[8:9] offset:1792 scale_offset
	global_load_u16 v27, v0, s[22:23] offset:1792 scale_offset
	v_mov_b32_e32 v19, 0
	s_delay_alu instid0(VALU_DEP_1) | instskip(SKIP_2) | instid1(VALU_DEP_1)
	v_add_nc_u64_e32 v[4:5], s[20:21], v[18:19]
	s_wait_loadcnt 0x0
	v_cmp_ne_u16_e64 s8, v1, v27
	v_cndmask_b32_e64 v1, 0, 1, s8
	s_or_b32 exec_lo, exec_lo, s27
	s_and_saveexec_b32 s9, s7
	s_cbranch_execz .LBB307_46
.LBB307_64:
	v_and_b32_e32 v18, 1, v20
	v_and_b32_e32 v19, 1, v26
                                        ; implicit-def: $vgpr20
	s_delay_alu instid0(VALU_DEP_2) | instskip(NEXT) | instid1(VALU_DEP_2)
	v_cmp_eq_u32_e64 s7, 1, v18
	v_cmp_eq_u32_e64 s8, 1, v19
	s_and_b32 s8, s7, s8
	s_delay_alu instid0(SALU_CYCLE_1) | instskip(NEXT) | instid1(SALU_CYCLE_1)
	s_xor_b32 s8, s8, -1
	s_and_saveexec_b32 s20, s8
	s_delay_alu instid0(SALU_CYCLE_1)
	s_xor_b32 s8, exec_lo, s20
; %bb.65:
	v_and_b32_e32 v18, 0xffff, v26
	v_dual_cndmask_b32 v3, v17, v3, s7 :: v_dual_cndmask_b32 v2, v16, v2, s7
                                        ; implicit-def: $vgpr16_vgpr17
	s_delay_alu instid0(VALU_DEP_2)
	v_cndmask_b32_e64 v20, v18, 1, s7
; %bb.66:
	s_and_not1_saveexec_b32 s7, s8
	s_cbranch_execz .LBB307_68
; %bb.67:
	s_delay_alu instid0(VALU_DEP_2)
	v_min_i64 v[2:3], v[16:17], v[2:3]
	v_mov_b32_e32 v20, 1
.LBB307_68:
	s_or_b32 exec_lo, exec_lo, s7
	s_delay_alu instid0(SALU_CYCLE_1)
	s_or_b32 exec_lo, exec_lo, s9
	s_and_saveexec_b32 s8, s6
	s_cbranch_execz .LBB307_47
.LBB307_69:
	v_and_b32_e32 v16, 1, v20
	v_and_b32_e32 v17, 1, v25
                                        ; implicit-def: $vgpr20
	s_delay_alu instid0(VALU_DEP_2) | instskip(NEXT) | instid1(VALU_DEP_2)
	v_cmp_eq_u32_e64 s6, 1, v16
	v_cmp_eq_u32_e64 s7, 1, v17
	s_and_b32 s7, s6, s7
	s_delay_alu instid0(SALU_CYCLE_1) | instskip(NEXT) | instid1(SALU_CYCLE_1)
	s_xor_b32 s7, s7, -1
	s_and_saveexec_b32 s9, s7
	s_delay_alu instid0(SALU_CYCLE_1)
	s_xor_b32 s7, exec_lo, s9
; %bb.70:
	v_and_b32_e32 v16, 0xffff, v25
	v_dual_cndmask_b32 v3, v15, v3, s6 :: v_dual_cndmask_b32 v2, v14, v2, s6
                                        ; implicit-def: $vgpr14_vgpr15
	s_delay_alu instid0(VALU_DEP_2)
	v_cndmask_b32_e64 v20, v16, 1, s6
; %bb.71:
	s_and_not1_saveexec_b32 s6, s7
	s_cbranch_execz .LBB307_73
; %bb.72:
	s_delay_alu instid0(VALU_DEP_2)
	v_min_i64 v[2:3], v[14:15], v[2:3]
	v_mov_b32_e32 v20, 1
.LBB307_73:
	s_or_b32 exec_lo, exec_lo, s6
	s_delay_alu instid0(SALU_CYCLE_1)
	s_or_b32 exec_lo, exec_lo, s8
	s_and_saveexec_b32 s7, s5
	s_cbranch_execz .LBB307_48
.LBB307_74:
	v_and_b32_e32 v14, 1, v20
	v_and_b32_e32 v15, 1, v24
                                        ; implicit-def: $vgpr20
	s_delay_alu instid0(VALU_DEP_2) | instskip(NEXT) | instid1(VALU_DEP_2)
	v_cmp_eq_u32_e64 s5, 1, v14
	v_cmp_eq_u32_e64 s6, 1, v15
	s_and_b32 s6, s5, s6
	s_delay_alu instid0(SALU_CYCLE_1) | instskip(NEXT) | instid1(SALU_CYCLE_1)
	s_xor_b32 s6, s6, -1
	s_and_saveexec_b32 s8, s6
	s_delay_alu instid0(SALU_CYCLE_1)
	s_xor_b32 s6, exec_lo, s8
; %bb.75:
	v_and_b32_e32 v14, 0xffff, v24
	v_dual_cndmask_b32 v3, v13, v3, s5 :: v_dual_cndmask_b32 v2, v12, v2, s5
                                        ; implicit-def: $vgpr12_vgpr13
	s_delay_alu instid0(VALU_DEP_2)
	v_cndmask_b32_e64 v20, v14, 1, s5
; %bb.76:
	s_and_not1_saveexec_b32 s5, s6
	s_cbranch_execz .LBB307_78
; %bb.77:
	s_delay_alu instid0(VALU_DEP_2)
	v_min_i64 v[2:3], v[12:13], v[2:3]
	v_mov_b32_e32 v20, 1
.LBB307_78:
	s_or_b32 exec_lo, exec_lo, s5
	s_delay_alu instid0(SALU_CYCLE_1)
	s_or_b32 exec_lo, exec_lo, s7
	s_and_saveexec_b32 s6, s4
	s_cbranch_execz .LBB307_49
.LBB307_79:
	v_and_b32_e32 v12, 1, v20
	v_and_b32_e32 v13, 1, v23
                                        ; implicit-def: $vgpr20
	s_delay_alu instid0(VALU_DEP_2) | instskip(NEXT) | instid1(VALU_DEP_2)
	v_cmp_eq_u32_e64 s4, 1, v12
	v_cmp_eq_u32_e64 s5, 1, v13
	s_and_b32 s5, s4, s5
	s_delay_alu instid0(SALU_CYCLE_1) | instskip(NEXT) | instid1(SALU_CYCLE_1)
	s_xor_b32 s5, s5, -1
	s_and_saveexec_b32 s7, s5
	s_delay_alu instid0(SALU_CYCLE_1)
	s_xor_b32 s5, exec_lo, s7
; %bb.80:
	v_and_b32_e32 v12, 0xffff, v23
	v_dual_cndmask_b32 v3, v11, v3, s4 :: v_dual_cndmask_b32 v2, v10, v2, s4
                                        ; implicit-def: $vgpr10_vgpr11
	s_delay_alu instid0(VALU_DEP_2)
	v_cndmask_b32_e64 v20, v12, 1, s4
; %bb.81:
	s_and_not1_saveexec_b32 s4, s5
	s_cbranch_execz .LBB307_83
; %bb.82:
	s_delay_alu instid0(VALU_DEP_2)
	v_min_i64 v[2:3], v[10:11], v[2:3]
	v_mov_b32_e32 v20, 1
.LBB307_83:
	s_or_b32 exec_lo, exec_lo, s4
	s_delay_alu instid0(SALU_CYCLE_1)
	s_or_b32 exec_lo, exec_lo, s6
	s_and_saveexec_b32 s5, s3
	s_cbranch_execz .LBB307_50
.LBB307_84:
	v_and_b32_e32 v10, 1, v20
	v_and_b32_e32 v11, 1, v22
                                        ; implicit-def: $vgpr20
	s_delay_alu instid0(VALU_DEP_2) | instskip(NEXT) | instid1(VALU_DEP_2)
	v_cmp_eq_u32_e64 s3, 1, v10
	v_cmp_eq_u32_e64 s4, 1, v11
	s_and_b32 s4, s3, s4
	s_delay_alu instid0(SALU_CYCLE_1) | instskip(NEXT) | instid1(SALU_CYCLE_1)
	s_xor_b32 s4, s4, -1
	s_and_saveexec_b32 s6, s4
	s_delay_alu instid0(SALU_CYCLE_1)
	s_xor_b32 s4, exec_lo, s6
; %bb.85:
	v_and_b32_e32 v10, 0xffff, v22
	v_dual_cndmask_b32 v3, v9, v3, s3 :: v_dual_cndmask_b32 v2, v8, v2, s3
                                        ; implicit-def: $vgpr8_vgpr9
	s_delay_alu instid0(VALU_DEP_2)
	v_cndmask_b32_e64 v20, v10, 1, s3
; %bb.86:
	s_and_not1_saveexec_b32 s3, s4
	s_cbranch_execz .LBB307_88
; %bb.87:
	s_delay_alu instid0(VALU_DEP_2)
	v_min_i64 v[2:3], v[8:9], v[2:3]
	v_mov_b32_e32 v20, 1
.LBB307_88:
	s_or_b32 exec_lo, exec_lo, s3
	s_delay_alu instid0(SALU_CYCLE_1)
	s_or_b32 exec_lo, exec_lo, s5
	s_and_saveexec_b32 s4, s2
	s_cbranch_execz .LBB307_51
.LBB307_89:
	v_and_b32_e32 v8, 1, v20
	v_and_b32_e32 v9, 1, v21
                                        ; implicit-def: $vgpr20
	s_delay_alu instid0(VALU_DEP_2) | instskip(NEXT) | instid1(VALU_DEP_2)
	v_cmp_eq_u32_e64 s2, 1, v8
	v_cmp_eq_u32_e64 s3, 1, v9
	s_and_b32 s3, s2, s3
	s_delay_alu instid0(SALU_CYCLE_1) | instskip(NEXT) | instid1(SALU_CYCLE_1)
	s_xor_b32 s3, s3, -1
	s_and_saveexec_b32 s5, s3
	s_delay_alu instid0(SALU_CYCLE_1)
	s_xor_b32 s3, exec_lo, s5
; %bb.90:
	v_and_b32_e32 v8, 0xffff, v21
	v_dual_cndmask_b32 v3, v7, v3, s2 :: v_dual_cndmask_b32 v2, v6, v2, s2
                                        ; implicit-def: $vgpr6_vgpr7
	s_delay_alu instid0(VALU_DEP_2)
	v_cndmask_b32_e64 v20, v8, 1, s2
; %bb.91:
	s_and_not1_saveexec_b32 s2, s3
	s_cbranch_execz .LBB307_93
; %bb.92:
	s_delay_alu instid0(VALU_DEP_2)
	v_min_i64 v[2:3], v[6:7], v[2:3]
	v_mov_b32_e32 v20, 1
.LBB307_93:
	s_or_b32 exec_lo, exec_lo, s2
	s_delay_alu instid0(SALU_CYCLE_1)
	s_or_b32 exec_lo, exec_lo, s4
	s_and_saveexec_b32 s3, vcc_lo
	s_cbranch_execz .LBB307_99
.LBB307_94:
	v_and_b32_e32 v6, 1, v20
	v_and_b32_e32 v7, 1, v1
                                        ; implicit-def: $vgpr20
	s_delay_alu instid0(VALU_DEP_2) | instskip(NEXT) | instid1(VALU_DEP_2)
	v_cmp_eq_u32_e32 vcc_lo, 1, v6
	v_cmp_eq_u32_e64 s2, 1, v7
	s_and_b32 s2, vcc_lo, s2
	s_delay_alu instid0(SALU_CYCLE_1) | instskip(NEXT) | instid1(SALU_CYCLE_1)
	s_xor_b32 s2, s2, -1
	s_and_saveexec_b32 s4, s2
	s_delay_alu instid0(SALU_CYCLE_1)
	s_xor_b32 s2, exec_lo, s4
; %bb.95:
	v_and_b32_e32 v1, 0xffff, v1
	v_dual_cndmask_b32 v3, v5, v3 :: v_dual_cndmask_b32 v2, v4, v2
                                        ; implicit-def: $vgpr4_vgpr5
	s_delay_alu instid0(VALU_DEP_2)
	v_cndmask_b32_e64 v20, v1, 1, vcc_lo
; %bb.96:
	s_and_not1_saveexec_b32 s2, s2
	s_cbranch_execz .LBB307_98
; %bb.97:
	s_delay_alu instid0(VALU_DEP_2)
	v_min_i64 v[2:3], v[4:5], v[2:3]
	v_mov_b32_e32 v20, 1
.LBB307_98:
	s_or_b32 exec_lo, exec_lo, s2
.LBB307_99:
	s_delay_alu instid0(SALU_CYCLE_1) | instskip(SKIP_4) | instid1(VALU_DEP_2)
	s_or_b32 exec_lo, exec_lo, s3
	v_mbcnt_lo_u32_b32 v1, -1, 0
	v_and_b32_e32 v6, 0x60, v0
	s_min_u32 s3, s26, 0x80
	s_mov_b32 s2, exec_lo
	v_cmp_ne_u32_e32 vcc_lo, 31, v1
	s_delay_alu instid0(VALU_DEP_2) | instskip(SKIP_2) | instid1(VALU_DEP_1)
	v_sub_nc_u32_e64 v6, s3, v6 clamp
	v_add_nc_u32_e32 v8, 1, v1
	v_add_co_ci_u32_e64 v4, null, 0, v1, vcc_lo
	v_lshlrev_b32_e32 v5, 2, v4
	ds_bpermute_b32 v7, v5, v20
	ds_bpermute_b32 v4, v5, v2
	ds_bpermute_b32 v5, v5, v3
	v_cmpx_lt_u32_e64 v8, v6
	s_xor_b32 s4, exec_lo, s2
	s_cbranch_execz .LBB307_101
; %bb.100:
	s_wait_dscnt 0x0
	v_min_i64 v[8:9], v[4:5], v[2:3]
	v_and_b32_e32 v10, 1, v20
	s_delay_alu instid0(VALU_DEP_1) | instskip(SKIP_3) | instid1(VALU_DEP_3)
	v_cmp_eq_u32_e32 vcc_lo, 1, v10
	v_and_b32_e32 v10, v7, v20
	v_and_b32_e32 v7, 0xff, v7
	v_dual_cndmask_b32 v2, v4, v2 :: v_dual_cndmask_b32 v3, v5, v3
	v_cmp_eq_u32_e64 s2, 0, v10
	s_delay_alu instid0(VALU_DEP_3) | instskip(NEXT) | instid1(VALU_DEP_1)
	v_cndmask_b32_e64 v4, v7, 1, vcc_lo
	v_dual_cndmask_b32 v20, 1, v4, s2 :: v_dual_cndmask_b32 v3, v9, v3, s2
	s_delay_alu instid0(VALU_DEP_4)
	v_cndmask_b32_e64 v2, v8, v2, s2
.LBB307_101:
	s_or_b32 exec_lo, exec_lo, s4
	v_cmp_gt_u32_e32 vcc_lo, 30, v1
	v_add_nc_u32_e32 v8, 2, v1
	s_mov_b32 s4, exec_lo
	s_wait_dscnt 0x1
	v_cndmask_b32_e64 v4, 0, 2, vcc_lo
	s_wait_dscnt 0x0
	s_delay_alu instid0(VALU_DEP_1)
	v_add_lshl_u32 v5, v4, v1, 2
	ds_bpermute_b32 v7, v5, v20
	ds_bpermute_b32 v4, v5, v2
	ds_bpermute_b32 v5, v5, v3
	v_cmpx_lt_u32_e64 v8, v6
	s_cbranch_execz .LBB307_103
; %bb.102:
	s_wait_dscnt 0x0
	v_min_i64 v[8:9], v[4:5], v[2:3]
	v_and_b32_e32 v10, 1, v20
	s_delay_alu instid0(VALU_DEP_1) | instskip(SKIP_3) | instid1(VALU_DEP_3)
	v_cmp_eq_u32_e32 vcc_lo, 1, v10
	v_bitop3_b32 v10, v20, 1, v7 bitop3:0x80
	v_and_b32_e32 v7, 0xff, v7
	v_cndmask_b32_e32 v2, v4, v2, vcc_lo
	v_cmp_eq_u32_e64 s2, 0, v10
	v_cndmask_b32_e32 v3, v5, v3, vcc_lo
	s_delay_alu instid0(VALU_DEP_4) | instskip(NEXT) | instid1(VALU_DEP_1)
	v_cndmask_b32_e64 v4, v7, 1, vcc_lo
	v_dual_cndmask_b32 v20, 1, v4, s2 :: v_dual_cndmask_b32 v2, v8, v2, s2
	s_delay_alu instid0(VALU_DEP_3)
	v_cndmask_b32_e64 v3, v9, v3, s2
.LBB307_103:
	s_or_b32 exec_lo, exec_lo, s4
	v_cmp_gt_u32_e32 vcc_lo, 28, v1
	v_add_nc_u32_e32 v8, 4, v1
	s_mov_b32 s4, exec_lo
	s_wait_dscnt 0x1
	v_cndmask_b32_e64 v4, 0, 4, vcc_lo
	s_wait_dscnt 0x0
	s_delay_alu instid0(VALU_DEP_1)
	v_add_lshl_u32 v5, v4, v1, 2
	ds_bpermute_b32 v7, v5, v20
	ds_bpermute_b32 v4, v5, v2
	ds_bpermute_b32 v5, v5, v3
	v_cmpx_lt_u32_e64 v8, v6
	s_cbranch_execz .LBB307_105
; %bb.104:
	s_wait_dscnt 0x0
	v_min_i64 v[8:9], v[4:5], v[2:3]
	v_and_b32_e32 v10, 1, v20
	s_delay_alu instid0(VALU_DEP_1) | instskip(SKIP_3) | instid1(VALU_DEP_3)
	v_cmp_eq_u32_e32 vcc_lo, 1, v10
	v_bitop3_b32 v10, v20, 1, v7 bitop3:0x80
	v_and_b32_e32 v7, 0xff, v7
	v_cndmask_b32_e32 v2, v4, v2, vcc_lo
	v_cmp_eq_u32_e64 s2, 0, v10
	v_cndmask_b32_e32 v3, v5, v3, vcc_lo
	s_delay_alu instid0(VALU_DEP_4) | instskip(NEXT) | instid1(VALU_DEP_1)
	v_cndmask_b32_e64 v4, v7, 1, vcc_lo
	v_dual_cndmask_b32 v20, 1, v4, s2 :: v_dual_cndmask_b32 v2, v8, v2, s2
	s_delay_alu instid0(VALU_DEP_3)
	v_cndmask_b32_e64 v3, v9, v3, s2
.LBB307_105:
	s_or_b32 exec_lo, exec_lo, s4
	v_cmp_gt_u32_e32 vcc_lo, 24, v1
	v_add_nc_u32_e32 v8, 8, v1
	s_mov_b32 s4, exec_lo
	s_wait_dscnt 0x1
	v_cndmask_b32_e64 v4, 0, 8, vcc_lo
	s_wait_dscnt 0x0
	s_delay_alu instid0(VALU_DEP_1)
	v_add_lshl_u32 v5, v4, v1, 2
	ds_bpermute_b32 v7, v5, v20
	ds_bpermute_b32 v4, v5, v2
	ds_bpermute_b32 v5, v5, v3
	v_cmpx_lt_u32_e64 v8, v6
	s_cbranch_execz .LBB307_107
; %bb.106:
	s_wait_dscnt 0x0
	v_min_i64 v[8:9], v[4:5], v[2:3]
	v_and_b32_e32 v10, 1, v20
	s_delay_alu instid0(VALU_DEP_1) | instskip(SKIP_3) | instid1(VALU_DEP_3)
	v_cmp_eq_u32_e32 vcc_lo, 1, v10
	v_bitop3_b32 v10, v20, 1, v7 bitop3:0x80
	v_and_b32_e32 v7, 0xff, v7
	v_cndmask_b32_e32 v2, v4, v2, vcc_lo
	v_cmp_eq_u32_e64 s2, 0, v10
	v_cndmask_b32_e32 v3, v5, v3, vcc_lo
	s_delay_alu instid0(VALU_DEP_4) | instskip(NEXT) | instid1(VALU_DEP_1)
	v_cndmask_b32_e64 v4, v7, 1, vcc_lo
	v_dual_cndmask_b32 v20, 1, v4, s2 :: v_dual_cndmask_b32 v2, v8, v2, s2
	s_delay_alu instid0(VALU_DEP_3)
	v_cndmask_b32_e64 v3, v9, v3, s2
.LBB307_107:
	s_or_b32 exec_lo, exec_lo, s4
	s_wait_dscnt 0x2
	v_dual_lshlrev_b32 v7, 2, v1 :: v_dual_add_nc_u32 v9, 16, v1
	s_wait_dscnt 0x0
	s_delay_alu instid0(VALU_DEP_1) | instskip(NEXT) | instid1(VALU_DEP_2)
	v_or_b32_e32 v5, 64, v7
	v_cmp_lt_u32_e32 vcc_lo, v9, v6
	v_mov_b32_e32 v6, v20
	ds_bpermute_b32 v8, v5, v20
	ds_bpermute_b32 v4, v5, v2
	;; [unrolled: 1-line block ×3, first 2 shown]
	s_and_saveexec_b32 s4, vcc_lo
	s_cbranch_execz .LBB307_109
; %bb.108:
	s_wait_dscnt 0x0
	v_min_i64 v[10:11], v[4:5], v[2:3]
	v_and_b32_e32 v6, 1, v20
	v_bitop3_b32 v9, v20, 1, v8 bitop3:0x80
	s_delay_alu instid0(VALU_DEP_2) | instskip(NEXT) | instid1(VALU_DEP_2)
	v_cmp_eq_u32_e32 vcc_lo, 1, v6
	v_cmp_eq_u32_e64 s2, 0, v9
	v_cndmask_b32_e64 v6, v8, 1, vcc_lo
	v_dual_cndmask_b32 v3, v5, v3 :: v_dual_cndmask_b32 v2, v4, v2
	s_delay_alu instid0(VALU_DEP_2) | instskip(NEXT) | instid1(VALU_DEP_1)
	v_cndmask_b32_e64 v6, 1, v6, s2
	v_and_b32_e32 v20, 0xff, v6
	s_delay_alu instid0(VALU_DEP_3)
	v_dual_cndmask_b32 v3, v11, v3, s2 :: v_dual_cndmask_b32 v2, v10, v2, s2
.LBB307_109:
	s_or_b32 exec_lo, exec_lo, s4
	s_delay_alu instid0(SALU_CYCLE_1)
	s_mov_b32 s2, exec_lo
	v_cmpx_eq_u32_e32 0, v1
	s_cbranch_execz .LBB307_111
; %bb.110:
	s_wait_dscnt 0x1
	v_lshrrev_b32_e32 v4, 1, v0
	s_delay_alu instid0(VALU_DEP_1)
	v_and_b32_e32 v4, 48, v4
	ds_store_b8 v4, v6 offset:256
	ds_store_b64 v4, v[2:3] offset:264
.LBB307_111:
	s_or_b32 exec_lo, exec_lo, s2
	s_delay_alu instid0(SALU_CYCLE_1)
	s_mov_b32 s4, exec_lo
	s_wait_dscnt 0x0
	s_barrier_signal -1
	s_barrier_wait -1
	v_cmpx_gt_u32_e32 4, v0
	s_cbranch_execz .LBB307_117
; %bb.112:
	v_dual_lshlrev_b32 v2, 4, v1 :: v_dual_bitop2_b32 v6, 3, v1 bitop3:0x40
	s_add_co_i32 s3, s3, 31
	s_mov_b32 s5, exec_lo
	s_lshr_b32 s3, s3, 5
	ds_load_u8 v8, v2 offset:256
	ds_load_b64 v[2:3], v2 offset:264
	v_cmp_ne_u32_e32 vcc_lo, 3, v6
	v_add_nc_u32_e32 v9, 1, v6
	v_add_co_ci_u32_e64 v1, null, 0, v1, vcc_lo
	s_delay_alu instid0(VALU_DEP_1)
	v_lshlrev_b32_e32 v5, 2, v1
	s_wait_dscnt 0x1
	v_and_b32_e32 v20, 0xff, v8
	s_wait_dscnt 0x0
	ds_bpermute_b32 v4, v5, v2
	ds_bpermute_b32 v1, v5, v20
	;; [unrolled: 1-line block ×3, first 2 shown]
	v_cmpx_gt_u32_e64 s3, v9
	s_cbranch_execz .LBB307_114
; %bb.113:
	s_wait_dscnt 0x0
	v_min_i64 v[10:11], v[4:5], v[2:3]
	v_and_b32_e32 v8, 1, v8
	s_delay_alu instid0(VALU_DEP_1) | instskip(SKIP_3) | instid1(VALU_DEP_3)
	v_cmp_eq_u32_e32 vcc_lo, 1, v8
	v_bitop3_b32 v8, v20, 1, v1 bitop3:0x80
	v_and_b32_e32 v1, 0xff, v1
	v_cndmask_b32_e32 v2, v4, v2, vcc_lo
	v_cmp_eq_u32_e64 s2, 0, v8
	v_cndmask_b32_e32 v3, v5, v3, vcc_lo
	s_delay_alu instid0(VALU_DEP_4) | instskip(NEXT) | instid1(VALU_DEP_1)
	v_cndmask_b32_e64 v1, v1, 1, vcc_lo
	v_dual_cndmask_b32 v20, 1, v1, s2 :: v_dual_cndmask_b32 v2, v10, v2, s2
	s_delay_alu instid0(VALU_DEP_3)
	v_cndmask_b32_e64 v3, v11, v3, s2
.LBB307_114:
	s_or_b32 exec_lo, exec_lo, s5
	s_wait_dscnt 0x0
	v_dual_add_nc_u32 v6, 2, v6 :: v_dual_bitop2_b32 v5, 8, v7 bitop3:0x54
	ds_bpermute_b32 v1, v5, v20
	ds_bpermute_b32 v4, v5, v2
	;; [unrolled: 1-line block ×3, first 2 shown]
	v_cmp_gt_u32_e32 vcc_lo, s3, v6
	s_and_saveexec_b32 s3, vcc_lo
	s_cbranch_execz .LBB307_116
; %bb.115:
	s_wait_dscnt 0x0
	v_min_i64 v[6:7], v[4:5], v[2:3]
	v_and_b32_e32 v8, 1, v20
	s_delay_alu instid0(VALU_DEP_1) | instskip(SKIP_2) | instid1(VALU_DEP_2)
	v_cmp_eq_u32_e32 vcc_lo, 1, v8
	v_bitop3_b32 v8, v20, 1, v1 bitop3:0x80
	v_cndmask_b32_e32 v2, v4, v2, vcc_lo
	v_cmp_eq_u32_e64 s2, 0, v8
	v_cndmask_b32_e32 v3, v5, v3, vcc_lo
	v_cndmask_b32_e64 v1, v1, 1, vcc_lo
	s_delay_alu instid0(VALU_DEP_1) | instskip(NEXT) | instid1(VALU_DEP_3)
	v_dual_cndmask_b32 v20, 1, v1, s2 :: v_dual_cndmask_b32 v2, v6, v2, s2
	v_cndmask_b32_e64 v3, v7, v3, s2
.LBB307_116:
	s_or_b32 exec_lo, exec_lo, s3
.LBB307_117:
	s_delay_alu instid0(SALU_CYCLE_1)
	s_or_b32 exec_lo, exec_lo, s4
	v_cmp_eq_u32_e64 s2, 0, v0
	s_and_b32 vcc_lo, exec_lo, s25
	s_cbranch_vccnz .LBB307_17
.LBB307_118:
	s_branch .LBB307_211
.LBB307_119:
	s_clause 0x1
	global_load_u16 v1, v0, s[6:7] offset:768 scale_offset
	global_load_u16 v14, v0, s[8:9] offset:768 scale_offset
	v_mov_b32_e32 v11, 0
	s_delay_alu instid0(VALU_DEP_1) | instskip(SKIP_2) | instid1(VALU_DEP_1)
	v_add_nc_u64_e32 v[4:5], s[4:5], v[10:11]
	s_wait_loadcnt 0x0
	v_cmp_ne_u16_e64 s4, v1, v14
	v_cndmask_b32_e64 v1, 0, 1, s4
	s_or_b32 exec_lo, exec_lo, s21
	s_and_saveexec_b32 s5, s3
	s_cbranch_execz .LBB307_61
.LBB307_120:
	v_and_b32_e32 v10, 1, v20
	v_and_b32_e32 v11, 1, v13
                                        ; implicit-def: $vgpr20
	s_delay_alu instid0(VALU_DEP_2) | instskip(NEXT) | instid1(VALU_DEP_2)
	v_cmp_eq_u32_e64 s3, 1, v10
	v_cmp_eq_u32_e64 s4, 1, v11
	s_and_b32 s4, s3, s4
	s_delay_alu instid0(SALU_CYCLE_1) | instskip(NEXT) | instid1(SALU_CYCLE_1)
	s_xor_b32 s4, s4, -1
	s_and_saveexec_b32 s6, s4
	s_delay_alu instid0(SALU_CYCLE_1)
	s_xor_b32 s4, exec_lo, s6
; %bb.121:
	v_and_b32_e32 v10, 0xffff, v13
	v_dual_cndmask_b32 v3, v9, v3, s3 :: v_dual_cndmask_b32 v2, v8, v2, s3
                                        ; implicit-def: $vgpr8_vgpr9
	s_delay_alu instid0(VALU_DEP_2)
	v_cndmask_b32_e64 v20, v10, 1, s3
; %bb.122:
	s_and_not1_saveexec_b32 s3, s4
	s_cbranch_execz .LBB307_124
; %bb.123:
	s_delay_alu instid0(VALU_DEP_2)
	v_min_i64 v[2:3], v[8:9], v[2:3]
	v_mov_b32_e32 v20, 1
.LBB307_124:
	s_or_b32 exec_lo, exec_lo, s3
	s_delay_alu instid0(SALU_CYCLE_1)
	s_or_b32 exec_lo, exec_lo, s5
	s_and_saveexec_b32 s4, s2
	s_cbranch_execz .LBB307_62
.LBB307_125:
	v_and_b32_e32 v8, 1, v20
	v_and_b32_e32 v9, 1, v12
                                        ; implicit-def: $vgpr20
	s_delay_alu instid0(VALU_DEP_2) | instskip(NEXT) | instid1(VALU_DEP_2)
	v_cmp_eq_u32_e64 s2, 1, v8
	v_cmp_eq_u32_e64 s3, 1, v9
	s_and_b32 s3, s2, s3
	s_delay_alu instid0(SALU_CYCLE_1) | instskip(NEXT) | instid1(SALU_CYCLE_1)
	s_xor_b32 s3, s3, -1
	s_and_saveexec_b32 s5, s3
	s_delay_alu instid0(SALU_CYCLE_1)
	s_xor_b32 s3, exec_lo, s5
; %bb.126:
	v_and_b32_e32 v8, 0xffff, v12
	v_dual_cndmask_b32 v3, v7, v3, s2 :: v_dual_cndmask_b32 v2, v6, v2, s2
                                        ; implicit-def: $vgpr6_vgpr7
	s_delay_alu instid0(VALU_DEP_2)
	v_cndmask_b32_e64 v20, v8, 1, s2
; %bb.127:
	s_and_not1_saveexec_b32 s2, s3
	s_cbranch_execz .LBB307_129
; %bb.128:
	s_delay_alu instid0(VALU_DEP_2)
	v_min_i64 v[2:3], v[6:7], v[2:3]
	v_mov_b32_e32 v20, 1
.LBB307_129:
	s_or_b32 exec_lo, exec_lo, s2
	s_delay_alu instid0(SALU_CYCLE_1)
	s_or_b32 exec_lo, exec_lo, s4
	s_and_saveexec_b32 s3, vcc_lo
	s_cbranch_execz .LBB307_135
.LBB307_130:
	v_and_b32_e32 v6, 1, v20
	v_and_b32_e32 v7, 1, v1
                                        ; implicit-def: $vgpr20
	s_delay_alu instid0(VALU_DEP_2) | instskip(NEXT) | instid1(VALU_DEP_2)
	v_cmp_eq_u32_e32 vcc_lo, 1, v6
	v_cmp_eq_u32_e64 s2, 1, v7
	s_and_b32 s2, vcc_lo, s2
	s_delay_alu instid0(SALU_CYCLE_1) | instskip(NEXT) | instid1(SALU_CYCLE_1)
	s_xor_b32 s2, s2, -1
	s_and_saveexec_b32 s4, s2
	s_delay_alu instid0(SALU_CYCLE_1)
	s_xor_b32 s2, exec_lo, s4
; %bb.131:
	v_and_b32_e32 v1, 0xffff, v1
	v_dual_cndmask_b32 v3, v5, v3 :: v_dual_cndmask_b32 v2, v4, v2
                                        ; implicit-def: $vgpr4_vgpr5
	s_delay_alu instid0(VALU_DEP_2)
	v_cndmask_b32_e64 v20, v1, 1, vcc_lo
; %bb.132:
	s_and_not1_saveexec_b32 s2, s2
	s_cbranch_execz .LBB307_134
; %bb.133:
	s_delay_alu instid0(VALU_DEP_2)
	v_min_i64 v[2:3], v[4:5], v[2:3]
	v_mov_b32_e32 v20, 1
.LBB307_134:
	s_or_b32 exec_lo, exec_lo, s2
.LBB307_135:
	s_delay_alu instid0(SALU_CYCLE_1) | instskip(SKIP_4) | instid1(VALU_DEP_2)
	s_or_b32 exec_lo, exec_lo, s3
	v_mbcnt_lo_u32_b32 v1, -1, 0
	v_and_b32_e32 v6, 0x60, v0
	s_min_u32 s3, s20, 0x80
	s_mov_b32 s2, exec_lo
	v_cmp_ne_u32_e32 vcc_lo, 31, v1
	s_delay_alu instid0(VALU_DEP_2) | instskip(SKIP_2) | instid1(VALU_DEP_1)
	v_sub_nc_u32_e64 v6, s3, v6 clamp
	v_add_nc_u32_e32 v8, 1, v1
	v_add_co_ci_u32_e64 v4, null, 0, v1, vcc_lo
	v_lshlrev_b32_e32 v5, 2, v4
	ds_bpermute_b32 v7, v5, v20
	ds_bpermute_b32 v4, v5, v2
	;; [unrolled: 1-line block ×3, first 2 shown]
	v_cmpx_lt_u32_e64 v8, v6
	s_xor_b32 s4, exec_lo, s2
	s_cbranch_execz .LBB307_137
; %bb.136:
	s_wait_dscnt 0x0
	v_min_i64 v[8:9], v[4:5], v[2:3]
	v_and_b32_e32 v10, 1, v20
	s_delay_alu instid0(VALU_DEP_1) | instskip(SKIP_3) | instid1(VALU_DEP_3)
	v_cmp_eq_u32_e32 vcc_lo, 1, v10
	v_and_b32_e32 v10, v7, v20
	v_and_b32_e32 v7, 0xff, v7
	v_dual_cndmask_b32 v2, v4, v2 :: v_dual_cndmask_b32 v3, v5, v3
	v_cmp_eq_u32_e64 s2, 0, v10
	s_delay_alu instid0(VALU_DEP_3) | instskip(NEXT) | instid1(VALU_DEP_1)
	v_cndmask_b32_e64 v4, v7, 1, vcc_lo
	v_dual_cndmask_b32 v20, 1, v4, s2 :: v_dual_cndmask_b32 v3, v9, v3, s2
	s_delay_alu instid0(VALU_DEP_4)
	v_cndmask_b32_e64 v2, v8, v2, s2
.LBB307_137:
	s_or_b32 exec_lo, exec_lo, s4
	v_cmp_gt_u32_e32 vcc_lo, 30, v1
	v_add_nc_u32_e32 v8, 2, v1
	s_mov_b32 s4, exec_lo
	s_wait_dscnt 0x1
	v_cndmask_b32_e64 v4, 0, 2, vcc_lo
	s_wait_dscnt 0x0
	s_delay_alu instid0(VALU_DEP_1)
	v_add_lshl_u32 v5, v4, v1, 2
	ds_bpermute_b32 v7, v5, v20
	ds_bpermute_b32 v4, v5, v2
	ds_bpermute_b32 v5, v5, v3
	v_cmpx_lt_u32_e64 v8, v6
	s_cbranch_execz .LBB307_139
; %bb.138:
	s_wait_dscnt 0x0
	v_min_i64 v[8:9], v[4:5], v[2:3]
	v_and_b32_e32 v10, 1, v20
	s_delay_alu instid0(VALU_DEP_1) | instskip(SKIP_3) | instid1(VALU_DEP_3)
	v_cmp_eq_u32_e32 vcc_lo, 1, v10
	v_bitop3_b32 v10, v20, 1, v7 bitop3:0x80
	v_and_b32_e32 v7, 0xff, v7
	v_cndmask_b32_e32 v2, v4, v2, vcc_lo
	v_cmp_eq_u32_e64 s2, 0, v10
	v_cndmask_b32_e32 v3, v5, v3, vcc_lo
	s_delay_alu instid0(VALU_DEP_4) | instskip(NEXT) | instid1(VALU_DEP_1)
	v_cndmask_b32_e64 v4, v7, 1, vcc_lo
	v_dual_cndmask_b32 v20, 1, v4, s2 :: v_dual_cndmask_b32 v2, v8, v2, s2
	s_delay_alu instid0(VALU_DEP_3)
	v_cndmask_b32_e64 v3, v9, v3, s2
.LBB307_139:
	s_or_b32 exec_lo, exec_lo, s4
	v_cmp_gt_u32_e32 vcc_lo, 28, v1
	v_add_nc_u32_e32 v8, 4, v1
	s_mov_b32 s4, exec_lo
	s_wait_dscnt 0x1
	v_cndmask_b32_e64 v4, 0, 4, vcc_lo
	s_wait_dscnt 0x0
	s_delay_alu instid0(VALU_DEP_1)
	v_add_lshl_u32 v5, v4, v1, 2
	ds_bpermute_b32 v7, v5, v20
	ds_bpermute_b32 v4, v5, v2
	ds_bpermute_b32 v5, v5, v3
	v_cmpx_lt_u32_e64 v8, v6
	s_cbranch_execz .LBB307_141
; %bb.140:
	s_wait_dscnt 0x0
	v_min_i64 v[8:9], v[4:5], v[2:3]
	v_and_b32_e32 v10, 1, v20
	s_delay_alu instid0(VALU_DEP_1) | instskip(SKIP_3) | instid1(VALU_DEP_3)
	v_cmp_eq_u32_e32 vcc_lo, 1, v10
	v_bitop3_b32 v10, v20, 1, v7 bitop3:0x80
	v_and_b32_e32 v7, 0xff, v7
	v_cndmask_b32_e32 v2, v4, v2, vcc_lo
	v_cmp_eq_u32_e64 s2, 0, v10
	v_cndmask_b32_e32 v3, v5, v3, vcc_lo
	s_delay_alu instid0(VALU_DEP_4) | instskip(NEXT) | instid1(VALU_DEP_1)
	v_cndmask_b32_e64 v4, v7, 1, vcc_lo
	v_dual_cndmask_b32 v20, 1, v4, s2 :: v_dual_cndmask_b32 v2, v8, v2, s2
	s_delay_alu instid0(VALU_DEP_3)
	v_cndmask_b32_e64 v3, v9, v3, s2
.LBB307_141:
	;; [unrolled: 31-line block ×3, first 2 shown]
	s_or_b32 exec_lo, exec_lo, s4
	s_wait_dscnt 0x2
	v_dual_lshlrev_b32 v7, 2, v1 :: v_dual_add_nc_u32 v9, 16, v1
	s_wait_dscnt 0x0
	s_delay_alu instid0(VALU_DEP_1) | instskip(NEXT) | instid1(VALU_DEP_2)
	v_or_b32_e32 v5, 64, v7
	v_cmp_lt_u32_e32 vcc_lo, v9, v6
	v_mov_b32_e32 v6, v20
	ds_bpermute_b32 v8, v5, v20
	ds_bpermute_b32 v4, v5, v2
	;; [unrolled: 1-line block ×3, first 2 shown]
	s_and_saveexec_b32 s4, vcc_lo
	s_cbranch_execz .LBB307_145
; %bb.144:
	s_wait_dscnt 0x0
	v_min_i64 v[10:11], v[4:5], v[2:3]
	v_and_b32_e32 v6, 1, v20
	v_bitop3_b32 v9, v20, 1, v8 bitop3:0x80
	s_delay_alu instid0(VALU_DEP_2) | instskip(NEXT) | instid1(VALU_DEP_2)
	v_cmp_eq_u32_e32 vcc_lo, 1, v6
	v_cmp_eq_u32_e64 s2, 0, v9
	v_cndmask_b32_e64 v6, v8, 1, vcc_lo
	v_dual_cndmask_b32 v3, v5, v3 :: v_dual_cndmask_b32 v2, v4, v2
	s_delay_alu instid0(VALU_DEP_2) | instskip(NEXT) | instid1(VALU_DEP_1)
	v_cndmask_b32_e64 v6, 1, v6, s2
	v_and_b32_e32 v20, 0xff, v6
	s_delay_alu instid0(VALU_DEP_3)
	v_dual_cndmask_b32 v3, v11, v3, s2 :: v_dual_cndmask_b32 v2, v10, v2, s2
.LBB307_145:
	s_or_b32 exec_lo, exec_lo, s4
	s_delay_alu instid0(SALU_CYCLE_1)
	s_mov_b32 s2, exec_lo
	v_cmpx_eq_u32_e32 0, v1
	s_cbranch_execz .LBB307_147
; %bb.146:
	s_wait_dscnt 0x1
	v_lshrrev_b32_e32 v4, 1, v0
	s_delay_alu instid0(VALU_DEP_1)
	v_and_b32_e32 v4, 48, v4
	ds_store_b8 v4, v6 offset:256
	ds_store_b64 v4, v[2:3] offset:264
.LBB307_147:
	s_or_b32 exec_lo, exec_lo, s2
	s_delay_alu instid0(SALU_CYCLE_1)
	s_mov_b32 s4, exec_lo
	s_wait_dscnt 0x0
	s_barrier_signal -1
	s_barrier_wait -1
	v_cmpx_gt_u32_e32 4, v0
	s_cbranch_execz .LBB307_153
; %bb.148:
	v_dual_lshlrev_b32 v2, 4, v1 :: v_dual_bitop2_b32 v6, 3, v1 bitop3:0x40
	s_add_co_i32 s3, s3, 31
	s_mov_b32 s5, exec_lo
	s_lshr_b32 s3, s3, 5
	ds_load_u8 v8, v2 offset:256
	ds_load_b64 v[2:3], v2 offset:264
	v_cmp_ne_u32_e32 vcc_lo, 3, v6
	v_add_nc_u32_e32 v9, 1, v6
	v_add_co_ci_u32_e64 v1, null, 0, v1, vcc_lo
	s_delay_alu instid0(VALU_DEP_1)
	v_lshlrev_b32_e32 v5, 2, v1
	s_wait_dscnt 0x1
	v_and_b32_e32 v20, 0xff, v8
	s_wait_dscnt 0x0
	ds_bpermute_b32 v4, v5, v2
	ds_bpermute_b32 v1, v5, v20
	;; [unrolled: 1-line block ×3, first 2 shown]
	v_cmpx_gt_u32_e64 s3, v9
	s_cbranch_execz .LBB307_150
; %bb.149:
	s_wait_dscnt 0x0
	v_min_i64 v[10:11], v[4:5], v[2:3]
	v_and_b32_e32 v8, 1, v8
	s_delay_alu instid0(VALU_DEP_1) | instskip(SKIP_3) | instid1(VALU_DEP_3)
	v_cmp_eq_u32_e32 vcc_lo, 1, v8
	v_bitop3_b32 v8, v20, 1, v1 bitop3:0x80
	v_and_b32_e32 v1, 0xff, v1
	v_cndmask_b32_e32 v2, v4, v2, vcc_lo
	v_cmp_eq_u32_e64 s2, 0, v8
	v_cndmask_b32_e32 v3, v5, v3, vcc_lo
	s_delay_alu instid0(VALU_DEP_4) | instskip(NEXT) | instid1(VALU_DEP_1)
	v_cndmask_b32_e64 v1, v1, 1, vcc_lo
	v_dual_cndmask_b32 v20, 1, v1, s2 :: v_dual_cndmask_b32 v2, v10, v2, s2
	s_delay_alu instid0(VALU_DEP_3)
	v_cndmask_b32_e64 v3, v11, v3, s2
.LBB307_150:
	s_or_b32 exec_lo, exec_lo, s5
	s_wait_dscnt 0x0
	v_dual_add_nc_u32 v6, 2, v6 :: v_dual_bitop2_b32 v5, 8, v7 bitop3:0x54
	ds_bpermute_b32 v1, v5, v20
	ds_bpermute_b32 v4, v5, v2
	;; [unrolled: 1-line block ×3, first 2 shown]
	v_cmp_gt_u32_e32 vcc_lo, s3, v6
	s_and_saveexec_b32 s3, vcc_lo
	s_cbranch_execz .LBB307_152
; %bb.151:
	s_wait_dscnt 0x0
	v_min_i64 v[6:7], v[4:5], v[2:3]
	v_and_b32_e32 v8, 1, v20
	s_delay_alu instid0(VALU_DEP_1) | instskip(SKIP_2) | instid1(VALU_DEP_2)
	v_cmp_eq_u32_e32 vcc_lo, 1, v8
	v_bitop3_b32 v8, v20, 1, v1 bitop3:0x80
	v_cndmask_b32_e32 v2, v4, v2, vcc_lo
	v_cmp_eq_u32_e64 s2, 0, v8
	v_cndmask_b32_e32 v3, v5, v3, vcc_lo
	v_cndmask_b32_e64 v1, v1, 1, vcc_lo
	s_delay_alu instid0(VALU_DEP_1) | instskip(NEXT) | instid1(VALU_DEP_3)
	v_dual_cndmask_b32 v20, 1, v1, s2 :: v_dual_cndmask_b32 v2, v6, v2, s2
	v_cndmask_b32_e64 v3, v7, v3, s2
.LBB307_152:
	s_or_b32 exec_lo, exec_lo, s3
.LBB307_153:
	s_delay_alu instid0(SALU_CYCLE_1)
	s_or_b32 exec_lo, exec_lo, s4
.LBB307_154:
	v_cmp_eq_u32_e64 s2, 0, v0
	s_branch .LBB307_211
.LBB307_155:
	s_cmp_gt_i32 s24, 1
	s_cbranch_scc0 .LBB307_167
; %bb.156:
	s_cmp_eq_u32 s24, 2
	s_cbranch_scc0 .LBB307_168
; %bb.157:
	s_bfe_u32 s2, ttmp6, 0x4000c
	s_and_b32 s3, ttmp6, 15
	s_add_co_i32 s2, s2, 1
	s_getreg_b32 s4, hwreg(HW_REG_IB_STS2, 6, 4)
	s_mul_i32 s2, ttmp9, s2
	s_mov_b32 s11, 0
	s_add_co_i32 s3, s3, s2
	s_cmp_eq_u32 s4, 0
	s_mov_b32 s21, s11
	s_cselect_b32 s10, ttmp9, s3
	s_lshr_b64 s[2:3], s[14:15], 8
	s_lshl_b32 s20, s10, 8
	s_delay_alu instid0(SALU_CYCLE_1)
	s_lshl_b64 s[6:7], s[20:21], 1
	s_cmp_lg_u64 s[2:3], s[10:11]
	s_add_nc_u64 s[4:5], s[16:17], s[6:7]
	s_add_nc_u64 s[8:9], s[18:19], s[6:7]
	;; [unrolled: 1-line block ×3, first 2 shown]
	s_cbranch_scc0 .LBB307_169
; %bb.158:
	s_clause 0x3
	global_load_u16 v6, v0, s[4:5] scale_offset
	global_load_u16 v7, v0, s[8:9] scale_offset
	global_load_u16 v8, v0, s[8:9] offset:256 scale_offset
	global_load_u16 v9, v0, s[4:5] offset:256 scale_offset
	s_wait_loadcnt 0x2
	v_cmp_ne_u16_e32 vcc_lo, v6, v7
	s_wait_dscnt 0x2
	v_mov_b32_e32 v1, 0
	s_wait_loadcnt 0x0
	v_cmp_ne_u16_e64 s2, v9, v8
	s_delay_alu instid0(VALU_DEP_2) | instskip(SKIP_1) | instid1(VALU_DEP_1)
	v_add_nc_u64_e32 v[2:3], s[6:7], v[0:1]
	s_wait_dscnt 0x0
	v_add_nc_u64_e32 v[4:5], 0x80, v[2:3]
	s_delay_alu instid0(VALU_DEP_1) | instskip(SKIP_3) | instid1(VALU_DEP_2)
	v_dual_cndmask_b32 v3, v5, v3 :: v_dual_cndmask_b32 v2, v4, v2
	s_or_b32 vcc_lo, vcc_lo, s2
	s_mov_b32 s2, exec_lo
	v_cndmask_b32_e64 v8, 0, 1, vcc_lo
	v_mov_b32_dpp v5, v3 quad_perm:[1,0,3,2] row_mask:0xf bank_mask:0xf
	s_delay_alu instid0(VALU_DEP_2) | instskip(NEXT) | instid1(VALU_DEP_1)
	v_mov_b32_dpp v9, v8 quad_perm:[1,0,3,2] row_mask:0xf bank_mask:0xf
	v_and_b32_e32 v9, 1, v9
	v_mov_b32_dpp v4, v2 quad_perm:[1,0,3,2] row_mask:0xf bank_mask:0xf
	s_delay_alu instid0(VALU_DEP_1) | instskip(NEXT) | instid1(VALU_DEP_1)
	v_min_i64 v[6:7], v[2:3], v[4:5]
	v_dual_cndmask_b32 v4, v4, v6 :: v_dual_cndmask_b32 v5, v5, v7
	s_delay_alu instid0(VALU_DEP_4) | instskip(NEXT) | instid1(VALU_DEP_2)
	v_cmp_eq_u32_e32 vcc_lo, 1, v9
	v_dual_cndmask_b32 v3, v3, v5 :: v_dual_cndmask_b32 v2, v2, v4
	v_cndmask_b32_e64 v8, v8, 1, vcc_lo
	s_delay_alu instid0(VALU_DEP_2) | instskip(NEXT) | instid1(VALU_DEP_3)
	v_mov_b32_dpp v5, v3 quad_perm:[2,3,0,1] row_mask:0xf bank_mask:0xf
	v_mov_b32_dpp v4, v2 quad_perm:[2,3,0,1] row_mask:0xf bank_mask:0xf
	s_delay_alu instid0(VALU_DEP_3) | instskip(NEXT) | instid1(VALU_DEP_2)
	v_mov_b32_dpp v10, v8 quad_perm:[2,3,0,1] row_mask:0xf bank_mask:0xf
	v_min_i64 v[6:7], v[2:3], v[4:5]
	v_and_b32_e32 v9, 1, v8
	s_delay_alu instid0(VALU_DEP_1) | instskip(NEXT) | instid1(VALU_DEP_3)
	v_cmp_eq_u32_e32 vcc_lo, 1, v9
	v_dual_cndmask_b32 v5, v5, v7, vcc_lo :: v_dual_bitop2_b32 v9, 1, v10 bitop3:0x40
	s_delay_alu instid0(VALU_DEP_4) | instskip(NEXT) | instid1(VALU_DEP_2)
	v_cndmask_b32_e32 v4, v4, v6, vcc_lo
	v_cmp_eq_u32_e32 vcc_lo, 1, v9
	s_delay_alu instid0(VALU_DEP_2) | instskip(SKIP_1) | instid1(VALU_DEP_2)
	v_dual_cndmask_b32 v3, v3, v5 :: v_dual_cndmask_b32 v2, v2, v4
	v_cndmask_b32_e64 v8, v8, 1, vcc_lo
	v_mov_b32_dpp v5, v3 row_ror:4 row_mask:0xf bank_mask:0xf
	s_delay_alu instid0(VALU_DEP_3) | instskip(NEXT) | instid1(VALU_DEP_3)
	v_mov_b32_dpp v4, v2 row_ror:4 row_mask:0xf bank_mask:0xf
	v_mov_b32_dpp v10, v8 row_ror:4 row_mask:0xf bank_mask:0xf
	s_delay_alu instid0(VALU_DEP_2) | instskip(SKIP_1) | instid1(VALU_DEP_1)
	v_min_i64 v[6:7], v[2:3], v[4:5]
	v_and_b32_e32 v9, 1, v8
	v_cmp_eq_u32_e32 vcc_lo, 1, v9
	s_delay_alu instid0(VALU_DEP_3) | instskip(NEXT) | instid1(VALU_DEP_4)
	v_dual_cndmask_b32 v5, v5, v7, vcc_lo :: v_dual_bitop2_b32 v9, 1, v10 bitop3:0x40
	v_cndmask_b32_e32 v4, v4, v6, vcc_lo
	s_delay_alu instid0(VALU_DEP_2) | instskip(NEXT) | instid1(VALU_DEP_2)
	v_cmp_eq_u32_e32 vcc_lo, 1, v9
	v_dual_cndmask_b32 v3, v3, v5 :: v_dual_cndmask_b32 v2, v2, v4
	v_cndmask_b32_e64 v8, v8, 1, vcc_lo
	s_delay_alu instid0(VALU_DEP_2) | instskip(NEXT) | instid1(VALU_DEP_3)
	v_mov_b32_dpp v5, v3 row_ror:8 row_mask:0xf bank_mask:0xf
	v_mov_b32_dpp v4, v2 row_ror:8 row_mask:0xf bank_mask:0xf
	s_delay_alu instid0(VALU_DEP_3) | instskip(NEXT) | instid1(VALU_DEP_2)
	v_mov_b32_dpp v10, v8 row_ror:8 row_mask:0xf bank_mask:0xf
	v_min_i64 v[6:7], v[2:3], v[4:5]
	v_and_b32_e32 v9, 1, v8
	s_delay_alu instid0(VALU_DEP_1) | instskip(NEXT) | instid1(VALU_DEP_3)
	v_cmp_eq_u32_e32 vcc_lo, 1, v9
	v_dual_cndmask_b32 v5, v5, v7, vcc_lo :: v_dual_bitop2_b32 v9, 1, v10 bitop3:0x40
	s_delay_alu instid0(VALU_DEP_4) | instskip(NEXT) | instid1(VALU_DEP_2)
	v_cndmask_b32_e32 v4, v4, v6, vcc_lo
	v_cmp_eq_u32_e32 vcc_lo, 1, v9
	s_delay_alu instid0(VALU_DEP_2)
	v_dual_cndmask_b32 v3, v3, v5 :: v_dual_cndmask_b32 v2, v2, v4
	v_cndmask_b32_e64 v8, v8, 1, vcc_lo
	ds_swizzle_b32 v5, v3 offset:swizzle(BROADCAST,32,15)
	ds_swizzle_b32 v4, v2 offset:swizzle(BROADCAST,32,15)
	;; [unrolled: 1-line block ×3, first 2 shown]
	s_wait_dscnt 0x1
	v_min_i64 v[6:7], v[2:3], v[4:5]
	v_and_b32_e32 v10, 1, v8
	s_delay_alu instid0(VALU_DEP_1) | instskip(SKIP_1) | instid1(VALU_DEP_3)
	v_cmp_eq_u32_e32 vcc_lo, 1, v10
	s_wait_dscnt 0x0
	v_dual_cndmask_b32 v5, v5, v7, vcc_lo :: v_dual_bitop2_b32 v9, 1, v9 bitop3:0x40
	s_delay_alu instid0(VALU_DEP_4) | instskip(NEXT) | instid1(VALU_DEP_2)
	v_cndmask_b32_e32 v4, v4, v6, vcc_lo
	v_cmp_eq_u32_e32 vcc_lo, 1, v9
	s_delay_alu instid0(VALU_DEP_2)
	v_dual_cndmask_b32 v3, v3, v5 :: v_dual_cndmask_b32 v2, v2, v4
	v_cndmask_b32_e64 v5, v8, 1, vcc_lo
	ds_bpermute_b32 v3, v1, v3 offset:124
	ds_bpermute_b32 v2, v1, v2 offset:124
	;; [unrolled: 1-line block ×3, first 2 shown]
	v_mbcnt_lo_u32_b32 v1, -1, 0
	s_delay_alu instid0(VALU_DEP_1)
	v_cmpx_eq_u32_e32 0, v1
	s_cbranch_execz .LBB307_160
; %bb.159:
	v_lshrrev_b32_e32 v4, 1, v0
	s_delay_alu instid0(VALU_DEP_1)
	v_and_b32_e32 v4, 48, v4
	s_wait_dscnt 0x0
	ds_store_b8 v4, v20 offset:64
	ds_store_b64 v4, v[2:3] offset:72
.LBB307_160:
	s_or_b32 exec_lo, exec_lo, s2
	s_delay_alu instid0(SALU_CYCLE_1)
	s_mov_b32 s2, exec_lo
	s_wait_dscnt 0x0
	s_barrier_signal -1
	s_barrier_wait -1
	v_cmpx_gt_u32_e32 32, v0
	s_cbranch_execz .LBB307_166
; %bb.161:
	v_and_b32_e32 v2, 3, v1
	s_delay_alu instid0(VALU_DEP_1) | instskip(SKIP_2) | instid1(VALU_DEP_1)
	v_cmp_ne_u32_e32 vcc_lo, 3, v2
	v_lshlrev_b32_e32 v3, 4, v2
	v_add_co_ci_u32_e64 v2, null, 0, v1, vcc_lo
	v_lshlrev_b32_e32 v2, 2, v2
	ds_load_u8 v8, v3 offset:64
	ds_load_b64 v[4:5], v3 offset:72
	s_wait_dscnt 0x1
	v_and_b32_e32 v3, 0xff, v8
	s_wait_dscnt 0x0
	ds_bpermute_b32 v6, v2, v4
	ds_bpermute_b32 v7, v2, v5
	;; [unrolled: 1-line block ×3, first 2 shown]
	s_wait_dscnt 0x0
	v_and_b32_e32 v2, v8, v9
	s_delay_alu instid0(VALU_DEP_1) | instskip(NEXT) | instid1(VALU_DEP_1)
	v_and_b32_e32 v2, 1, v2
	v_cmp_eq_u32_e32 vcc_lo, 1, v2
                                        ; implicit-def: $vgpr2_vgpr3
	s_and_saveexec_b32 s3, vcc_lo
	s_delay_alu instid0(SALU_CYCLE_1)
	s_xor_b32 s3, exec_lo, s3
; %bb.162:
	v_min_i64 v[2:3], v[6:7], v[4:5]
                                        ; implicit-def: $vgpr8
                                        ; implicit-def: $vgpr6_vgpr7
                                        ; implicit-def: $vgpr4_vgpr5
                                        ; implicit-def: $vgpr9
; %bb.163:
	s_or_saveexec_b32 s3, s3
	v_dual_mov_b32 v10, 1 :: v_dual_lshlrev_b32 v1, 2, v1
	s_xor_b32 exec_lo, exec_lo, s3
; %bb.164:
	v_and_b32_e32 v2, 1, v8
	v_and_b32_e32 v8, 0xff, v9
	s_delay_alu instid0(VALU_DEP_2) | instskip(SKIP_1) | instid1(VALU_DEP_3)
	v_cmp_eq_u32_e32 vcc_lo, 1, v2
	v_dual_cndmask_b32 v3, v7, v5 :: v_dual_cndmask_b32 v2, v6, v4
	v_cndmask_b32_e64 v10, v8, 1, vcc_lo
; %bb.165:
	s_or_b32 exec_lo, exec_lo, s3
	s_delay_alu instid0(VALU_DEP_1) | instskip(NEXT) | instid1(VALU_DEP_1)
	v_and_b32_e32 v8, 1, v10
	v_cmp_eq_u32_e32 vcc_lo, 1, v8
	v_or_b32_e32 v1, 8, v1
	ds_bpermute_b32 v4, v1, v2
	ds_bpermute_b32 v5, v1, v3
	s_wait_dscnt 0x0
	v_min_i64 v[6:7], v[4:5], v[2:3]
	v_cndmask_b32_e32 v2, v4, v2, vcc_lo
	ds_bpermute_b32 v1, v1, v10
	v_cndmask_b32_e32 v3, v5, v3, vcc_lo
	s_wait_dscnt 0x0
	v_bitop3_b32 v8, v10, 1, v1 bitop3:0x80
	v_cndmask_b32_e64 v1, v1, 1, vcc_lo
	s_delay_alu instid0(VALU_DEP_2) | instskip(NEXT) | instid1(VALU_DEP_2)
	v_cmp_eq_u32_e32 vcc_lo, 0, v8
	v_dual_cndmask_b32 v20, 1, v1 :: v_dual_cndmask_b32 v3, v7, v3
	v_cndmask_b32_e32 v2, v6, v2, vcc_lo
.LBB307_166:
	s_or_b32 exec_lo, exec_lo, s2
	s_branch .LBB307_193
.LBB307_167:
                                        ; implicit-def: $sgpr10_sgpr11
                                        ; implicit-def: $vgpr2_vgpr3
                                        ; implicit-def: $vgpr20
	s_cbranch_execnz .LBB307_194
	s_branch .LBB307_211
.LBB307_168:
                                        ; implicit-def: $sgpr10_sgpr11
                                        ; implicit-def: $vgpr2_vgpr3
                                        ; implicit-def: $vgpr20
	s_branch .LBB307_211
.LBB307_169:
                                        ; implicit-def: $vgpr2_vgpr3
                                        ; implicit-def: $vgpr20
	s_cbranch_execz .LBB307_193
; %bb.170:
	s_wait_dscnt 0x0
	v_mov_b64_e32 v[4:5], 0
	v_mov_b64_e32 v[2:3], 0
	v_dual_mov_b32 v7, 0 :: v_dual_mov_b32 v1, 0
	s_sub_co_i32 s20, s14, s20
	s_mov_b32 s2, exec_lo
	v_cmpx_gt_u32_e64 s20, v0
	s_cbranch_execz .LBB307_172
; %bb.171:
	s_clause 0x1
	global_load_u16 v6, v0, s[4:5] scale_offset
	global_load_u16 v8, v0, s[8:9] scale_offset
	v_mov_b32_e32 v1, 0
	s_delay_alu instid0(VALU_DEP_1)
	v_add_nc_u64_e32 v[2:3], s[6:7], v[0:1]
	s_wait_loadcnt 0x0
	v_cmp_ne_u16_e32 vcc_lo, v6, v8
	v_cndmask_b32_e64 v1, 0, 1, vcc_lo
.LBB307_172:
	s_or_b32 exec_lo, exec_lo, s2
	v_or_b32_e32 v6, 0x80, v0
	s_delay_alu instid0(VALU_DEP_1)
	v_cmp_gt_u32_e32 vcc_lo, s20, v6
	s_and_saveexec_b32 s3, vcc_lo
	s_cbranch_execz .LBB307_174
; %bb.173:
	s_clause 0x1
	global_load_u16 v8, v0, s[4:5] offset:256 scale_offset
	global_load_u16 v9, v0, s[8:9] offset:256 scale_offset
	v_mov_b32_e32 v7, 0
	s_delay_alu instid0(VALU_DEP_1) | instskip(SKIP_2) | instid1(VALU_DEP_1)
	v_add_nc_u64_e32 v[4:5], s[6:7], v[6:7]
	s_wait_loadcnt 0x0
	v_cmp_ne_u16_e64 s2, v8, v9
	v_cndmask_b32_e64 v7, 0, 1, s2
.LBB307_174:
	s_or_b32 exec_lo, exec_lo, s3
	s_delay_alu instid0(VALU_DEP_3) | instskip(NEXT) | instid1(VALU_DEP_2)
	v_min_i64 v[8:9], v[4:5], v[2:3]
	v_and_b32_e32 v6, 1, v7
	v_and_b32_e32 v10, 0xffff, v1
	;; [unrolled: 1-line block ×3, first 2 shown]
	s_mov_b32 s4, exec_lo
	s_delay_alu instid0(VALU_DEP_3) | instskip(SKIP_2) | instid1(VALU_DEP_1)
	v_cmp_eq_u32_e64 s2, 1, v6
	v_and_b32_e32 v6, 1, v1
	v_mbcnt_lo_u32_b32 v1, -1, 0
	v_cmp_ne_u32_e64 s3, 31, v1
	s_delay_alu instid0(VALU_DEP_4) | instskip(NEXT) | instid1(VALU_DEP_4)
	v_dual_cndmask_b32 v9, v3, v9, s2 :: v_dual_cndmask_b32 v8, v2, v8, s2
	v_cmp_eq_u32_e64 s2, 1, v6
	s_delay_alu instid0(VALU_DEP_1) | instskip(NEXT) | instid1(VALU_DEP_4)
	v_cndmask_b32_e64 v6, v7, 1, s2
	v_add_co_ci_u32_e64 v7, null, 0, v1, s3
	s_delay_alu instid0(VALU_DEP_4) | instskip(NEXT) | instid1(VALU_DEP_2)
	v_dual_cndmask_b32 v4, v4, v8, s2 :: v_dual_cndmask_b32 v5, v5, v9, s2
	v_dual_cndmask_b32 v20, v10, v6, vcc_lo :: v_dual_lshlrev_b32 v6, 2, v7
	s_min_u32 s3, s20, 0x80
	s_delay_alu instid0(VALU_DEP_2)
	v_dual_cndmask_b32 v2, v2, v4 :: v_dual_cndmask_b32 v3, v3, v5
	v_add_nc_u32_e32 v8, 1, v1
	ds_bpermute_b32 v7, v6, v20
	ds_bpermute_b32 v4, v6, v2
	;; [unrolled: 1-line block ×3, first 2 shown]
	v_and_b32_e32 v6, 0x60, v0
	s_delay_alu instid0(VALU_DEP_1) | instskip(NEXT) | instid1(VALU_DEP_1)
	v_sub_nc_u32_e64 v6, s3, v6 clamp
	v_cmpx_lt_u32_e64 v8, v6
	s_cbranch_execz .LBB307_176
; %bb.175:
	s_wait_dscnt 0x0
	v_min_i64 v[8:9], v[4:5], v[2:3]
	v_and_b32_e32 v10, 1, v20
	s_delay_alu instid0(VALU_DEP_1) | instskip(SKIP_3) | instid1(VALU_DEP_3)
	v_cmp_eq_u32_e32 vcc_lo, 1, v10
	v_and_b32_e32 v10, v20, v7
	v_and_b32_e32 v7, 0xff, v7
	v_cndmask_b32_e32 v2, v4, v2, vcc_lo
	v_cmp_eq_u32_e64 s2, 0, v10
	v_cndmask_b32_e32 v3, v5, v3, vcc_lo
	s_delay_alu instid0(VALU_DEP_4) | instskip(NEXT) | instid1(VALU_DEP_1)
	v_cndmask_b32_e64 v4, v7, 1, vcc_lo
	v_dual_cndmask_b32 v20, 1, v4, s2 :: v_dual_cndmask_b32 v2, v8, v2, s2
	s_delay_alu instid0(VALU_DEP_3)
	v_cndmask_b32_e64 v3, v9, v3, s2
.LBB307_176:
	s_or_b32 exec_lo, exec_lo, s4
	v_cmp_gt_u32_e32 vcc_lo, 30, v1
	v_add_nc_u32_e32 v8, 2, v1
	s_mov_b32 s4, exec_lo
	s_wait_dscnt 0x1
	v_cndmask_b32_e64 v4, 0, 2, vcc_lo
	s_wait_dscnt 0x0
	s_delay_alu instid0(VALU_DEP_1)
	v_add_lshl_u32 v5, v4, v1, 2
	ds_bpermute_b32 v7, v5, v20
	ds_bpermute_b32 v4, v5, v2
	ds_bpermute_b32 v5, v5, v3
	v_cmpx_lt_u32_e64 v8, v6
	s_cbranch_execz .LBB307_178
; %bb.177:
	s_wait_dscnt 0x0
	v_min_i64 v[8:9], v[4:5], v[2:3]
	v_and_b32_e32 v10, 1, v20
	s_delay_alu instid0(VALU_DEP_1) | instskip(SKIP_3) | instid1(VALU_DEP_3)
	v_cmp_eq_u32_e32 vcc_lo, 1, v10
	v_bitop3_b32 v10, v20, 1, v7 bitop3:0x80
	v_and_b32_e32 v7, 0xff, v7
	v_cndmask_b32_e32 v2, v4, v2, vcc_lo
	v_cmp_eq_u32_e64 s2, 0, v10
	v_cndmask_b32_e32 v3, v5, v3, vcc_lo
	s_delay_alu instid0(VALU_DEP_4) | instskip(NEXT) | instid1(VALU_DEP_1)
	v_cndmask_b32_e64 v4, v7, 1, vcc_lo
	v_dual_cndmask_b32 v20, 1, v4, s2 :: v_dual_cndmask_b32 v2, v8, v2, s2
	s_delay_alu instid0(VALU_DEP_3)
	v_cndmask_b32_e64 v3, v9, v3, s2
.LBB307_178:
	s_or_b32 exec_lo, exec_lo, s4
	v_cmp_gt_u32_e32 vcc_lo, 28, v1
	v_add_nc_u32_e32 v8, 4, v1
	s_mov_b32 s4, exec_lo
	s_wait_dscnt 0x1
	v_cndmask_b32_e64 v4, 0, 4, vcc_lo
	s_wait_dscnt 0x0
	s_delay_alu instid0(VALU_DEP_1)
	v_add_lshl_u32 v5, v4, v1, 2
	ds_bpermute_b32 v7, v5, v20
	ds_bpermute_b32 v4, v5, v2
	ds_bpermute_b32 v5, v5, v3
	v_cmpx_lt_u32_e64 v8, v6
	s_cbranch_execz .LBB307_180
; %bb.179:
	s_wait_dscnt 0x0
	v_min_i64 v[8:9], v[4:5], v[2:3]
	v_and_b32_e32 v10, 1, v20
	s_delay_alu instid0(VALU_DEP_1) | instskip(SKIP_3) | instid1(VALU_DEP_3)
	v_cmp_eq_u32_e32 vcc_lo, 1, v10
	v_bitop3_b32 v10, v20, 1, v7 bitop3:0x80
	v_and_b32_e32 v7, 0xff, v7
	v_cndmask_b32_e32 v2, v4, v2, vcc_lo
	v_cmp_eq_u32_e64 s2, 0, v10
	v_cndmask_b32_e32 v3, v5, v3, vcc_lo
	s_delay_alu instid0(VALU_DEP_4) | instskip(NEXT) | instid1(VALU_DEP_1)
	v_cndmask_b32_e64 v4, v7, 1, vcc_lo
	v_dual_cndmask_b32 v20, 1, v4, s2 :: v_dual_cndmask_b32 v2, v8, v2, s2
	s_delay_alu instid0(VALU_DEP_3)
	v_cndmask_b32_e64 v3, v9, v3, s2
.LBB307_180:
	;; [unrolled: 31-line block ×3, first 2 shown]
	s_or_b32 exec_lo, exec_lo, s4
	s_wait_dscnt 0x2
	v_dual_lshlrev_b32 v7, 2, v1 :: v_dual_add_nc_u32 v9, 16, v1
	s_wait_dscnt 0x0
	s_delay_alu instid0(VALU_DEP_1) | instskip(NEXT) | instid1(VALU_DEP_2)
	v_or_b32_e32 v5, 64, v7
	v_cmp_lt_u32_e32 vcc_lo, v9, v6
	v_mov_b32_e32 v6, v20
	ds_bpermute_b32 v8, v5, v20
	ds_bpermute_b32 v4, v5, v2
	;; [unrolled: 1-line block ×3, first 2 shown]
	s_and_saveexec_b32 s4, vcc_lo
	s_cbranch_execz .LBB307_184
; %bb.183:
	s_wait_dscnt 0x0
	v_min_i64 v[10:11], v[4:5], v[2:3]
	v_and_b32_e32 v6, 1, v20
	v_bitop3_b32 v9, v20, 1, v8 bitop3:0x80
	s_delay_alu instid0(VALU_DEP_2) | instskip(NEXT) | instid1(VALU_DEP_2)
	v_cmp_eq_u32_e32 vcc_lo, 1, v6
	v_cmp_eq_u32_e64 s2, 0, v9
	v_cndmask_b32_e64 v6, v8, 1, vcc_lo
	v_dual_cndmask_b32 v3, v5, v3 :: v_dual_cndmask_b32 v2, v4, v2
	s_delay_alu instid0(VALU_DEP_2) | instskip(NEXT) | instid1(VALU_DEP_1)
	v_cndmask_b32_e64 v6, 1, v6, s2
	v_and_b32_e32 v20, 0xff, v6
	s_delay_alu instid0(VALU_DEP_3)
	v_dual_cndmask_b32 v3, v11, v3, s2 :: v_dual_cndmask_b32 v2, v10, v2, s2
.LBB307_184:
	s_or_b32 exec_lo, exec_lo, s4
	s_delay_alu instid0(SALU_CYCLE_1)
	s_mov_b32 s2, exec_lo
	v_cmpx_eq_u32_e32 0, v1
	s_cbranch_execz .LBB307_186
; %bb.185:
	s_wait_dscnt 0x1
	v_lshrrev_b32_e32 v4, 1, v0
	s_delay_alu instid0(VALU_DEP_1)
	v_and_b32_e32 v4, 48, v4
	ds_store_b8 v4, v6 offset:256
	ds_store_b64 v4, v[2:3] offset:264
.LBB307_186:
	s_or_b32 exec_lo, exec_lo, s2
	s_delay_alu instid0(SALU_CYCLE_1)
	s_mov_b32 s4, exec_lo
	s_wait_dscnt 0x0
	s_barrier_signal -1
	s_barrier_wait -1
	v_cmpx_gt_u32_e32 4, v0
	s_cbranch_execz .LBB307_192
; %bb.187:
	v_dual_lshlrev_b32 v2, 4, v1 :: v_dual_bitop2_b32 v6, 3, v1 bitop3:0x40
	s_add_co_i32 s3, s3, 31
	s_mov_b32 s5, exec_lo
	s_lshr_b32 s3, s3, 5
	ds_load_u8 v8, v2 offset:256
	ds_load_b64 v[2:3], v2 offset:264
	v_cmp_ne_u32_e32 vcc_lo, 3, v6
	v_add_nc_u32_e32 v9, 1, v6
	v_add_co_ci_u32_e64 v1, null, 0, v1, vcc_lo
	s_delay_alu instid0(VALU_DEP_1)
	v_lshlrev_b32_e32 v5, 2, v1
	s_wait_dscnt 0x1
	v_and_b32_e32 v20, 0xff, v8
	s_wait_dscnt 0x0
	ds_bpermute_b32 v4, v5, v2
	ds_bpermute_b32 v1, v5, v20
	;; [unrolled: 1-line block ×3, first 2 shown]
	v_cmpx_gt_u32_e64 s3, v9
	s_cbranch_execz .LBB307_189
; %bb.188:
	s_wait_dscnt 0x0
	v_min_i64 v[10:11], v[4:5], v[2:3]
	v_and_b32_e32 v8, 1, v8
	s_delay_alu instid0(VALU_DEP_1) | instskip(SKIP_3) | instid1(VALU_DEP_3)
	v_cmp_eq_u32_e32 vcc_lo, 1, v8
	v_bitop3_b32 v8, v20, 1, v1 bitop3:0x80
	v_and_b32_e32 v1, 0xff, v1
	v_cndmask_b32_e32 v2, v4, v2, vcc_lo
	v_cmp_eq_u32_e64 s2, 0, v8
	v_cndmask_b32_e32 v3, v5, v3, vcc_lo
	s_delay_alu instid0(VALU_DEP_4) | instskip(NEXT) | instid1(VALU_DEP_1)
	v_cndmask_b32_e64 v1, v1, 1, vcc_lo
	v_dual_cndmask_b32 v20, 1, v1, s2 :: v_dual_cndmask_b32 v2, v10, v2, s2
	s_delay_alu instid0(VALU_DEP_3)
	v_cndmask_b32_e64 v3, v11, v3, s2
.LBB307_189:
	s_or_b32 exec_lo, exec_lo, s5
	s_wait_dscnt 0x0
	v_dual_add_nc_u32 v6, 2, v6 :: v_dual_bitop2_b32 v5, 8, v7 bitop3:0x54
	ds_bpermute_b32 v1, v5, v20
	ds_bpermute_b32 v4, v5, v2
	;; [unrolled: 1-line block ×3, first 2 shown]
	v_cmp_gt_u32_e32 vcc_lo, s3, v6
	s_and_saveexec_b32 s3, vcc_lo
	s_cbranch_execz .LBB307_191
; %bb.190:
	s_wait_dscnt 0x0
	v_min_i64 v[6:7], v[4:5], v[2:3]
	v_and_b32_e32 v8, 1, v20
	s_delay_alu instid0(VALU_DEP_1) | instskip(SKIP_2) | instid1(VALU_DEP_2)
	v_cmp_eq_u32_e32 vcc_lo, 1, v8
	v_bitop3_b32 v8, v20, 1, v1 bitop3:0x80
	v_cndmask_b32_e32 v2, v4, v2, vcc_lo
	v_cmp_eq_u32_e64 s2, 0, v8
	v_cndmask_b32_e32 v3, v5, v3, vcc_lo
	v_cndmask_b32_e64 v1, v1, 1, vcc_lo
	s_delay_alu instid0(VALU_DEP_1) | instskip(NEXT) | instid1(VALU_DEP_3)
	v_dual_cndmask_b32 v20, 1, v1, s2 :: v_dual_cndmask_b32 v2, v6, v2, s2
	v_cndmask_b32_e64 v3, v7, v3, s2
.LBB307_191:
	s_or_b32 exec_lo, exec_lo, s3
.LBB307_192:
	s_delay_alu instid0(SALU_CYCLE_1)
	s_or_b32 exec_lo, exec_lo, s4
.LBB307_193:
	v_cmp_eq_u32_e64 s2, 0, v0
	s_branch .LBB307_211
.LBB307_194:
	s_cmp_eq_u32 s24, 1
	s_cbranch_scc0 .LBB307_210
; %bb.195:
	s_bfe_u32 s2, ttmp6, 0x4000c
	s_and_b32 s3, ttmp6, 15
	s_add_co_i32 s2, s2, 1
	s_getreg_b32 s4, hwreg(HW_REG_IB_STS2, 6, 4)
	s_mul_i32 s2, ttmp9, s2
	s_mov_b32 s5, 0
	s_add_co_i32 s3, s3, s2
	s_cmp_eq_u32 s4, 0
	v_mbcnt_lo_u32_b32 v8, -1, 0
	s_cselect_b32 s10, ttmp9, s3
	s_mov_b32 s11, s5
	s_lshr_b64 s[2:3], s[14:15], 7
	s_lshl_b32 s4, s10, 7
	s_cmp_lg_u64 s[2:3], s[10:11]
	s_cbranch_scc0 .LBB307_214
; %bb.196:
	s_lshl_b64 s[2:3], s[4:5], 1
	s_delay_alu instid0(SALU_CYCLE_1)
	s_add_nc_u64 s[6:7], s[16:17], s[2:3]
	s_add_nc_u64 s[2:3], s[18:19], s[2:3]
	s_clause 0x1
	global_load_u16 v9, v0, s[6:7] scale_offset
	global_load_u16 v10, v0, s[2:3] scale_offset
	s_wait_xcnt 0x0
	s_add_nc_u64 s[2:3], s[12:13], s[4:5]
	s_wait_loadcnt 0x0
	v_cmp_ne_u16_e32 vcc_lo, v9, v10
	v_cndmask_b32_e64 v9, 0, 1, vcc_lo
	s_delay_alu instid0(VALU_DEP_1) | instskip(SKIP_1) | instid1(VALU_DEP_1)
	v_mov_b32_dpp v9, v9 quad_perm:[1,0,3,2] row_mask:0xf bank_mask:0xf
	s_wait_dscnt 0x2
	v_dual_mov_b32 v1, 0 :: v_dual_bitop2_b32 v9, 1, v9 bitop3:0x40
	s_delay_alu instid0(VALU_DEP_1) | instskip(NEXT) | instid1(VALU_DEP_2)
	v_add_nc_u64_e32 v[2:3], s[2:3], v[0:1]
	v_cmp_eq_u32_e64 s2, 1, v9
	s_wait_dscnt 0x1
	s_delay_alu instid0(VALU_DEP_2) | instskip(SKIP_1) | instid1(VALU_DEP_3)
	v_mov_b32_dpp v4, v2 quad_perm:[1,0,3,2] row_mask:0xf bank_mask:0xf
	s_wait_dscnt 0x0
	v_mov_b32_dpp v5, v3 quad_perm:[1,0,3,2] row_mask:0xf bank_mask:0xf
	s_delay_alu instid0(VALU_DEP_1) | instskip(NEXT) | instid1(VALU_DEP_1)
	v_min_i64 v[6:7], v[2:3], v[4:5]
	v_dual_cndmask_b32 v4, v4, v6 :: v_dual_cndmask_b32 v5, v5, v7
	s_or_b32 vcc_lo, s2, vcc_lo
	s_delay_alu instid0(SALU_CYCLE_1) | instskip(NEXT) | instid1(VALU_DEP_2)
	v_cndmask_b32_e64 v9, 0, 1, vcc_lo
	v_dual_cndmask_b32 v2, v2, v4, s2 :: v_dual_cndmask_b32 v3, v3, v5, s2
	s_delay_alu instid0(VALU_DEP_2) | instskip(NEXT) | instid1(VALU_DEP_2)
	v_mov_b32_dpp v9, v9 quad_perm:[2,3,0,1] row_mask:0xf bank_mask:0xf
	v_mov_b32_dpp v4, v2 quad_perm:[2,3,0,1] row_mask:0xf bank_mask:0xf
	s_delay_alu instid0(VALU_DEP_3) | instskip(NEXT) | instid1(VALU_DEP_1)
	v_mov_b32_dpp v5, v3 quad_perm:[2,3,0,1] row_mask:0xf bank_mask:0xf
	v_min_i64 v[6:7], v[2:3], v[4:5]
	s_delay_alu instid0(VALU_DEP_1) | instskip(NEXT) | instid1(VALU_DEP_1)
	v_dual_cndmask_b32 v4, v4, v6, vcc_lo :: v_dual_bitop2_b32 v9, 1, v9 bitop3:0x40
	v_cmp_eq_u32_e64 s2, 1, v9
	s_delay_alu instid0(VALU_DEP_1) | instskip(SKIP_1) | instid1(SALU_CYCLE_1)
	v_dual_cndmask_b32 v5, v5, v7, vcc_lo :: v_dual_cndmask_b32 v2, v2, v4, s2
	s_or_b32 vcc_lo, s2, vcc_lo
	v_cndmask_b32_e64 v9, 0, 1, vcc_lo
	s_delay_alu instid0(VALU_DEP_2) | instskip(NEXT) | instid1(VALU_DEP_3)
	v_mov_b32_dpp v4, v2 row_ror:4 row_mask:0xf bank_mask:0xf
	v_cndmask_b32_e64 v3, v3, v5, s2
	s_delay_alu instid0(VALU_DEP_3) | instskip(NEXT) | instid1(VALU_DEP_2)
	v_mov_b32_dpp v9, v9 row_ror:4 row_mask:0xf bank_mask:0xf
	v_mov_b32_dpp v5, v3 row_ror:4 row_mask:0xf bank_mask:0xf
	s_delay_alu instid0(VALU_DEP_1) | instskip(NEXT) | instid1(VALU_DEP_1)
	v_min_i64 v[6:7], v[2:3], v[4:5]
	v_dual_cndmask_b32 v5, v5, v7, vcc_lo :: v_dual_bitop2_b32 v9, 1, v9 bitop3:0x40
	s_delay_alu instid0(VALU_DEP_2) | instskip(NEXT) | instid1(VALU_DEP_2)
	v_cndmask_b32_e32 v4, v4, v6, vcc_lo
	v_cmp_eq_u32_e64 s2, 1, v9
	s_delay_alu instid0(VALU_DEP_1) | instskip(SKIP_1) | instid1(SALU_CYCLE_1)
	v_dual_cndmask_b32 v3, v3, v5, s2 :: v_dual_cndmask_b32 v2, v2, v4, s2
	s_or_b32 vcc_lo, s2, vcc_lo
	v_cndmask_b32_e64 v9, 0, 1, vcc_lo
	s_delay_alu instid0(VALU_DEP_2) | instskip(NEXT) | instid1(VALU_DEP_3)
	v_mov_b32_dpp v5, v3 row_ror:8 row_mask:0xf bank_mask:0xf
	v_mov_b32_dpp v4, v2 row_ror:8 row_mask:0xf bank_mask:0xf
	s_delay_alu instid0(VALU_DEP_3) | instskip(NEXT) | instid1(VALU_DEP_2)
	v_mov_b32_dpp v9, v9 row_ror:8 row_mask:0xf bank_mask:0xf
	v_min_i64 v[6:7], v[2:3], v[4:5]
	s_delay_alu instid0(VALU_DEP_1) | instskip(NEXT) | instid1(VALU_DEP_1)
	v_dual_cndmask_b32 v4, v4, v6, vcc_lo :: v_dual_bitop2_b32 v9, 1, v9 bitop3:0x40
	v_cmp_eq_u32_e64 s2, 1, v9
	s_delay_alu instid0(VALU_DEP_1) | instskip(SKIP_1) | instid1(VALU_DEP_1)
	v_dual_cndmask_b32 v5, v5, v7, vcc_lo :: v_dual_cndmask_b32 v2, v2, v4, s2
	s_or_b32 vcc_lo, s2, vcc_lo
	v_cndmask_b32_e64 v3, v3, v5, s2
	v_cndmask_b32_e64 v9, 0, 1, vcc_lo
	ds_swizzle_b32 v4, v2 offset:swizzle(BROADCAST,32,15)
	ds_swizzle_b32 v5, v3 offset:swizzle(BROADCAST,32,15)
	;; [unrolled: 1-line block ×3, first 2 shown]
	s_wait_dscnt 0x1
	v_min_i64 v[6:7], v[2:3], v[4:5]
	s_wait_dscnt 0x0
	s_delay_alu instid0(VALU_DEP_1) | instskip(NEXT) | instid1(VALU_DEP_1)
	v_dual_cndmask_b32 v4, v4, v6, vcc_lo :: v_dual_bitop2_b32 v9, 1, v9 bitop3:0x40
	v_cmp_eq_u32_e64 s2, 1, v9
	s_delay_alu instid0(VALU_DEP_3) | instskip(SKIP_1) | instid1(VALU_DEP_1)
	v_cndmask_b32_e32 v5, v5, v7, vcc_lo
	s_or_b32 s3, s2, vcc_lo
	v_dual_cndmask_b32 v3, v3, v5, s2 :: v_dual_cndmask_b32 v2, v2, v4, s2
	v_cndmask_b32_e64 v5, 0, 1, s3
	s_mov_b32 s2, exec_lo
	ds_bpermute_b32 v3, v1, v3 offset:124
	ds_bpermute_b32 v2, v1, v2 offset:124
	;; [unrolled: 1-line block ×3, first 2 shown]
	v_cmpx_eq_u32_e32 0, v8
	s_cbranch_execz .LBB307_198
; %bb.197:
	v_lshrrev_b32_e32 v1, 1, v0
	s_delay_alu instid0(VALU_DEP_1)
	v_and_b32_e32 v1, 48, v1
	s_wait_dscnt 0x0
	ds_store_b8 v1, v20
	ds_store_b64 v1, v[2:3] offset:8
.LBB307_198:
	s_or_b32 exec_lo, exec_lo, s2
	s_delay_alu instid0(SALU_CYCLE_1)
	s_mov_b32 s2, exec_lo
	s_wait_dscnt 0x0
	s_barrier_signal -1
	s_barrier_wait -1
	v_cmpx_gt_u32_e32 32, v0
	s_cbranch_execz .LBB307_208
; %bb.199:
	v_and_b32_e32 v1, 3, v8
	s_mov_b32 s3, exec_lo
	s_delay_alu instid0(VALU_DEP_1) | instskip(SKIP_2) | instid1(VALU_DEP_1)
	v_cmp_ne_u32_e32 vcc_lo, 3, v1
	v_lshlrev_b32_e32 v2, 4, v1
	v_add_co_ci_u32_e64 v1, null, 0, v8, vcc_lo
	v_lshlrev_b32_e32 v1, 2, v1
	ds_load_u8 v9, v2
	ds_load_b64 v[2:3], v2 offset:8
	s_wait_dscnt 0x1
	v_and_b32_e32 v4, 0xff, v9
	s_wait_dscnt 0x0
	ds_bpermute_b32 v6, v1, v2
	ds_bpermute_b32 v7, v1, v3
	;; [unrolled: 1-line block ×3, first 2 shown]
                                        ; implicit-def: $vgpr4_vgpr5
	s_wait_dscnt 0x0
	v_and_b32_e32 v1, v9, v10
	s_delay_alu instid0(VALU_DEP_1) | instskip(NEXT) | instid1(VALU_DEP_1)
	v_and_b32_e32 v1, 1, v1
	v_cmpx_eq_u32_e32 1, v1
	s_xor_b32 s3, exec_lo, s3
; %bb.200:
	v_min_i64 v[4:5], v[6:7], v[2:3]
                                        ; implicit-def: $vgpr9
                                        ; implicit-def: $vgpr6_vgpr7
                                        ; implicit-def: $vgpr2_vgpr3
                                        ; implicit-def: $vgpr10
; %bb.201:
	s_or_saveexec_b32 s3, s3
	v_dual_lshlrev_b32 v11, 2, v8 :: v_dual_mov_b32 v1, 1
	s_xor_b32 exec_lo, exec_lo, s3
; %bb.202:
	v_and_b32_e32 v1, 1, v9
	s_delay_alu instid0(VALU_DEP_1) | instskip(SKIP_2) | instid1(VALU_DEP_2)
	v_cmp_eq_u32_e32 vcc_lo, 1, v1
	v_and_b32_e32 v1, 0xff, v10
	v_dual_cndmask_b32 v5, v7, v3 :: v_dual_cndmask_b32 v4, v6, v2
	v_cndmask_b32_e64 v1, v1, 1, vcc_lo
; %bb.203:
	s_or_b32 exec_lo, exec_lo, s3
	v_or_b32_e32 v2, 8, v11
	ds_bpermute_b32 v9, v2, v1
	ds_bpermute_b32 v6, v2, v4
	;; [unrolled: 1-line block ×3, first 2 shown]
	s_wait_dscnt 0x2
	v_and_b32_e32 v2, v1, v9
	s_delay_alu instid0(VALU_DEP_1) | instskip(NEXT) | instid1(VALU_DEP_1)
	v_and_b32_e32 v2, 1, v2
	v_cmp_eq_u32_e32 vcc_lo, 1, v2
                                        ; implicit-def: $vgpr2_vgpr3
	s_and_saveexec_b32 s3, vcc_lo
	s_delay_alu instid0(SALU_CYCLE_1)
	s_xor_b32 s3, exec_lo, s3
	s_cbranch_execz .LBB307_205
; %bb.204:
	s_wait_dscnt 0x0
	v_min_i64 v[2:3], v[6:7], v[4:5]
                                        ; implicit-def: $vgpr1
                                        ; implicit-def: $vgpr6_vgpr7
                                        ; implicit-def: $vgpr4_vgpr5
                                        ; implicit-def: $vgpr9
.LBB307_205:
	s_or_saveexec_b32 s3, s3
	v_mov_b32_e32 v20, 1
	s_xor_b32 exec_lo, exec_lo, s3
	s_cbranch_execz .LBB307_207
; %bb.206:
	v_and_b32_e32 v1, 1, v1
	s_delay_alu instid0(VALU_DEP_1)
	v_cmp_eq_u32_e32 vcc_lo, 1, v1
	s_wait_dscnt 0x0
	v_dual_cndmask_b32 v3, v7, v5 :: v_dual_cndmask_b32 v2, v6, v4
	v_cndmask_b32_e64 v20, v9, 1, vcc_lo
.LBB307_207:
	s_or_b32 exec_lo, exec_lo, s3
.LBB307_208:
	s_delay_alu instid0(SALU_CYCLE_1)
	s_or_b32 exec_lo, exec_lo, s2
.LBB307_209:
	v_cmp_eq_u32_e64 s2, 0, v0
	s_and_saveexec_b32 s3, s2
	s_cbranch_execnz .LBB307_212
	s_branch .LBB307_213
.LBB307_210:
                                        ; implicit-def: $sgpr10_sgpr11
                                        ; implicit-def: $vgpr2_vgpr3
                                        ; implicit-def: $vgpr20
.LBB307_211:
	s_delay_alu instid0(VALU_DEP_1)
	s_and_saveexec_b32 s3, s2
	s_cbranch_execz .LBB307_213
.LBB307_212:
	s_clause 0x1
	s_load_b64 s[2:3], s[0:1], 0x48
	s_load_b96 s[4:6], s[0:1], 0x38
	s_cmp_eq_u64 s[14:15], 0
	s_wait_xcnt 0x0
	s_cselect_b32 s0, -1, 0
	s_wait_dscnt 0x2
	s_wait_kmcnt 0x0
	v_min_i64 v[0:1], v[2:3], s[2:3]
	s_wait_dscnt 0x1
	v_and_b32_e32 v4, 1, v20
	s_bitcmp1_b32 s6, 0
	s_delay_alu instid0(VALU_DEP_1) | instskip(NEXT) | instid1(VALU_DEP_3)
	v_cmp_eq_u32_e32 vcc_lo, 1, v4
	v_cndmask_b32_e32 v1, s3, v1, vcc_lo
	s_delay_alu instid0(VALU_DEP_4) | instskip(SKIP_1) | instid1(SALU_CYCLE_1)
	v_cndmask_b32_e32 v0, s2, v0, vcc_lo
	s_cselect_b32 vcc_lo, -1, 0
	v_cndmask_b32_e64 v4, v20, 1, vcc_lo
	s_delay_alu instid0(VALU_DEP_2) | instskip(SKIP_1) | instid1(VALU_DEP_3)
	v_dual_cndmask_b32 v1, v3, v1 :: v_dual_cndmask_b32 v0, v2, v0
	v_mov_b32_e32 v2, 0
	v_cndmask_b32_e64 v3, v4, s6, s0
	s_delay_alu instid0(VALU_DEP_3) | instskip(NEXT) | instid1(VALU_DEP_4)
	v_cndmask_b32_e64 v1, v1, s3, s0
	v_cndmask_b32_e64 v0, v0, s2, s0
	s_lshl_b64 s[0:1], s[10:11], 4
	s_delay_alu instid0(SALU_CYCLE_1)
	s_add_nc_u64 s[0:1], s[4:5], s[0:1]
	s_clause 0x1
	global_store_b8 v2, v3, s[0:1]
	global_store_b64 v2, v[0:1], s[0:1] offset:8
.LBB307_213:
	s_endpgm
.LBB307_214:
                                        ; implicit-def: $vgpr2_vgpr3
                                        ; implicit-def: $vgpr20
	s_cbranch_execz .LBB307_209
; %bb.215:
	v_mov_b64_e32 v[2:3], 0
	s_wait_dscnt 0x1
	v_mov_b32_e32 v6, 0
	s_sub_co_i32 s2, s14, s4
	s_mov_b32 s3, exec_lo
	v_cmpx_gt_u32_e64 s2, v0
	s_cbranch_execz .LBB307_217
; %bb.216:
	s_lshl_b64 s[6:7], s[4:5], 1
	v_mov_b32_e32 v1, 0
	s_add_nc_u64 s[8:9], s[16:17], s[6:7]
	s_add_nc_u64 s[6:7], s[18:19], s[6:7]
	global_load_u16 v4, v0, s[8:9] scale_offset
	s_wait_dscnt 0x0
	global_load_u16 v5, v0, s[6:7] scale_offset
	s_add_nc_u64 s[4:5], s[12:13], s[4:5]
	s_delay_alu instid0(SALU_CYCLE_1)
	v_add_nc_u64_e32 v[2:3], s[4:5], v[0:1]
	s_wait_loadcnt 0x0
	v_cmp_ne_u16_e32 vcc_lo, v4, v5
	v_cndmask_b32_e64 v6, 0, 1, vcc_lo
.LBB307_217:
	s_or_b32 exec_lo, exec_lo, s3
	v_cmp_ne_u32_e32 vcc_lo, 31, v8
	s_delay_alu instid0(VALU_DEP_2) | instskip(SKIP_4) | instid1(VALU_DEP_1)
	v_and_b32_e32 v20, 0xffff, v6
	s_min_u32 s3, s2, 0x80
	s_mov_b32 s4, exec_lo
	v_add_nc_u32_e32 v9, 1, v8
	v_add_co_ci_u32_e64 v1, null, 0, v8, vcc_lo
	v_lshlrev_b32_e32 v1, 2, v1
	s_wait_dscnt 0x0
	ds_bpermute_b32 v7, v1, v20
	ds_bpermute_b32 v4, v1, v2
	;; [unrolled: 1-line block ×3, first 2 shown]
	v_and_b32_e32 v1, 0x60, v0
	s_delay_alu instid0(VALU_DEP_1) | instskip(NEXT) | instid1(VALU_DEP_1)
	v_sub_nc_u32_e64 v1, s3, v1 clamp
	v_cmpx_lt_u32_e64 v9, v1
	s_cbranch_execz .LBB307_219
; %bb.218:
	s_wait_dscnt 0x0
	v_min_i64 v[10:11], v[4:5], v[2:3]
	v_and_b32_e32 v6, 1, v6
	s_delay_alu instid0(VALU_DEP_1) | instskip(SKIP_3) | instid1(VALU_DEP_3)
	v_cmp_eq_u32_e32 vcc_lo, 1, v6
	v_and_b32_e32 v6, v7, v20
	v_and_b32_e32 v7, 0xff, v7
	v_dual_cndmask_b32 v2, v4, v2 :: v_dual_cndmask_b32 v3, v5, v3
	v_cmp_eq_u32_e64 s2, 0, v6
	s_delay_alu instid0(VALU_DEP_3) | instskip(NEXT) | instid1(VALU_DEP_1)
	v_cndmask_b32_e64 v4, v7, 1, vcc_lo
	v_dual_cndmask_b32 v20, 1, v4, s2 :: v_dual_cndmask_b32 v3, v11, v3, s2
	s_delay_alu instid0(VALU_DEP_4)
	v_cndmask_b32_e64 v2, v10, v2, s2
.LBB307_219:
	s_or_b32 exec_lo, exec_lo, s4
	v_cmp_gt_u32_e32 vcc_lo, 30, v8
	s_wait_dscnt 0x2
	v_add_nc_u32_e32 v7, 2, v8
	s_mov_b32 s4, exec_lo
	s_wait_dscnt 0x1
	v_cndmask_b32_e64 v4, 0, 2, vcc_lo
	s_wait_dscnt 0x0
	s_delay_alu instid0(VALU_DEP_1)
	v_add_lshl_u32 v5, v4, v8, 2
	ds_bpermute_b32 v6, v5, v20
	ds_bpermute_b32 v4, v5, v2
	;; [unrolled: 1-line block ×3, first 2 shown]
	v_cmpx_lt_u32_e64 v7, v1
	s_cbranch_execz .LBB307_221
; %bb.220:
	s_wait_dscnt 0x0
	v_min_i64 v[10:11], v[4:5], v[2:3]
	v_and_b32_e32 v7, 1, v20
	s_delay_alu instid0(VALU_DEP_1) | instskip(SKIP_3) | instid1(VALU_DEP_3)
	v_cmp_eq_u32_e32 vcc_lo, 1, v7
	v_bitop3_b32 v7, v20, 1, v6 bitop3:0x80
	v_and_b32_e32 v6, 0xff, v6
	v_cndmask_b32_e32 v2, v4, v2, vcc_lo
	v_cmp_eq_u32_e64 s2, 0, v7
	v_cndmask_b32_e32 v3, v5, v3, vcc_lo
	s_delay_alu instid0(VALU_DEP_4) | instskip(NEXT) | instid1(VALU_DEP_1)
	v_cndmask_b32_e64 v4, v6, 1, vcc_lo
	v_dual_cndmask_b32 v20, 1, v4, s2 :: v_dual_cndmask_b32 v2, v10, v2, s2
	s_delay_alu instid0(VALU_DEP_3)
	v_cndmask_b32_e64 v3, v11, v3, s2
.LBB307_221:
	s_or_b32 exec_lo, exec_lo, s4
	v_cmp_gt_u32_e32 vcc_lo, 28, v8
	v_add_nc_u32_e32 v7, 4, v8
	s_mov_b32 s4, exec_lo
	s_wait_dscnt 0x1
	v_cndmask_b32_e64 v4, 0, 4, vcc_lo
	s_wait_dscnt 0x0
	s_delay_alu instid0(VALU_DEP_1)
	v_add_lshl_u32 v5, v4, v8, 2
	ds_bpermute_b32 v6, v5, v20
	ds_bpermute_b32 v4, v5, v2
	;; [unrolled: 1-line block ×3, first 2 shown]
	v_cmpx_lt_u32_e64 v7, v1
	s_cbranch_execz .LBB307_223
; %bb.222:
	s_wait_dscnt 0x0
	v_min_i64 v[10:11], v[4:5], v[2:3]
	v_and_b32_e32 v7, 1, v20
	s_delay_alu instid0(VALU_DEP_1) | instskip(SKIP_3) | instid1(VALU_DEP_3)
	v_cmp_eq_u32_e32 vcc_lo, 1, v7
	v_bitop3_b32 v7, v20, 1, v6 bitop3:0x80
	v_and_b32_e32 v6, 0xff, v6
	v_cndmask_b32_e32 v2, v4, v2, vcc_lo
	v_cmp_eq_u32_e64 s2, 0, v7
	v_cndmask_b32_e32 v3, v5, v3, vcc_lo
	s_delay_alu instid0(VALU_DEP_4) | instskip(NEXT) | instid1(VALU_DEP_1)
	v_cndmask_b32_e64 v4, v6, 1, vcc_lo
	v_dual_cndmask_b32 v20, 1, v4, s2 :: v_dual_cndmask_b32 v2, v10, v2, s2
	s_delay_alu instid0(VALU_DEP_3)
	v_cndmask_b32_e64 v3, v11, v3, s2
.LBB307_223:
	s_or_b32 exec_lo, exec_lo, s4
	v_cmp_gt_u32_e32 vcc_lo, 24, v8
	v_add_nc_u32_e32 v7, 8, v8
	s_mov_b32 s4, exec_lo
	s_wait_dscnt 0x1
	v_cndmask_b32_e64 v4, 0, 8, vcc_lo
	s_wait_dscnt 0x0
	s_delay_alu instid0(VALU_DEP_1)
	v_add_lshl_u32 v5, v4, v8, 2
	ds_bpermute_b32 v6, v5, v20
	ds_bpermute_b32 v4, v5, v2
	;; [unrolled: 1-line block ×3, first 2 shown]
	v_cmpx_lt_u32_e64 v7, v1
	s_cbranch_execz .LBB307_225
; %bb.224:
	s_wait_dscnt 0x0
	v_min_i64 v[10:11], v[4:5], v[2:3]
	v_and_b32_e32 v7, 1, v20
	s_delay_alu instid0(VALU_DEP_1) | instskip(SKIP_3) | instid1(VALU_DEP_3)
	v_cmp_eq_u32_e32 vcc_lo, 1, v7
	v_bitop3_b32 v7, v20, 1, v6 bitop3:0x80
	v_and_b32_e32 v6, 0xff, v6
	v_cndmask_b32_e32 v2, v4, v2, vcc_lo
	v_cmp_eq_u32_e64 s2, 0, v7
	v_cndmask_b32_e32 v3, v5, v3, vcc_lo
	s_delay_alu instid0(VALU_DEP_4) | instskip(NEXT) | instid1(VALU_DEP_1)
	v_cndmask_b32_e64 v4, v6, 1, vcc_lo
	v_dual_cndmask_b32 v20, 1, v4, s2 :: v_dual_cndmask_b32 v2, v10, v2, s2
	s_delay_alu instid0(VALU_DEP_3)
	v_cndmask_b32_e64 v3, v11, v3, s2
.LBB307_225:
	s_or_b32 exec_lo, exec_lo, s4
	s_wait_dscnt 0x2
	v_dual_lshlrev_b32 v6, 2, v8 :: v_dual_add_nc_u32 v9, 16, v8
	s_wait_dscnt 0x0
	s_delay_alu instid0(VALU_DEP_1) | instskip(NEXT) | instid1(VALU_DEP_2)
	v_or_b32_e32 v5, 64, v6
	v_cmp_lt_u32_e32 vcc_lo, v9, v1
	v_mov_b32_e32 v1, v20
	ds_bpermute_b32 v7, v5, v20
	ds_bpermute_b32 v4, v5, v2
	;; [unrolled: 1-line block ×3, first 2 shown]
	s_and_saveexec_b32 s4, vcc_lo
	s_cbranch_execz .LBB307_227
; %bb.226:
	s_wait_dscnt 0x0
	v_min_i64 v[10:11], v[4:5], v[2:3]
	v_and_b32_e32 v1, 1, v20
	v_bitop3_b32 v9, v20, 1, v7 bitop3:0x80
	s_delay_alu instid0(VALU_DEP_2) | instskip(NEXT) | instid1(VALU_DEP_2)
	v_cmp_eq_u32_e32 vcc_lo, 1, v1
	v_cmp_eq_u32_e64 s2, 0, v9
	v_cndmask_b32_e64 v1, v7, 1, vcc_lo
	v_dual_cndmask_b32 v3, v5, v3 :: v_dual_cndmask_b32 v2, v4, v2
	s_delay_alu instid0(VALU_DEP_2) | instskip(NEXT) | instid1(VALU_DEP_1)
	v_cndmask_b32_e64 v1, 1, v1, s2
	v_and_b32_e32 v20, 0xff, v1
	s_delay_alu instid0(VALU_DEP_3)
	v_dual_cndmask_b32 v3, v11, v3, s2 :: v_dual_cndmask_b32 v2, v10, v2, s2
.LBB307_227:
	s_or_b32 exec_lo, exec_lo, s4
	s_delay_alu instid0(SALU_CYCLE_1)
	s_mov_b32 s2, exec_lo
	v_cmpx_eq_u32_e32 0, v8
	s_cbranch_execz .LBB307_229
; %bb.228:
	s_wait_dscnt 0x1
	v_lshrrev_b32_e32 v4, 1, v0
	s_delay_alu instid0(VALU_DEP_1)
	v_and_b32_e32 v4, 48, v4
	ds_store_b8 v4, v1 offset:256
	ds_store_b64 v4, v[2:3] offset:264
.LBB307_229:
	s_or_b32 exec_lo, exec_lo, s2
	s_delay_alu instid0(SALU_CYCLE_1)
	s_mov_b32 s4, exec_lo
	s_wait_dscnt 0x0
	s_barrier_signal -1
	s_barrier_wait -1
	v_cmpx_gt_u32_e32 4, v0
	s_cbranch_execz .LBB307_235
; %bb.230:
	v_lshlrev_b32_e32 v1, 4, v8
	s_add_co_i32 s3, s3, 31
	s_mov_b32 s5, exec_lo
	s_lshr_b32 s3, s3, 5
	ds_load_u8 v7, v1 offset:256
	ds_load_b64 v[2:3], v1 offset:264
	v_and_b32_e32 v1, 3, v8
	s_delay_alu instid0(VALU_DEP_1) | instskip(SKIP_2) | instid1(VALU_DEP_1)
	v_cmp_ne_u32_e32 vcc_lo, 3, v1
	v_add_nc_u32_e32 v9, 1, v1
	v_add_co_ci_u32_e64 v4, null, 0, v8, vcc_lo
	v_lshlrev_b32_e32 v5, 2, v4
	s_wait_dscnt 0x1
	v_and_b32_e32 v20, 0xff, v7
	s_wait_dscnt 0x0
	ds_bpermute_b32 v4, v5, v2
	ds_bpermute_b32 v8, v5, v20
	;; [unrolled: 1-line block ×3, first 2 shown]
	v_cmpx_gt_u32_e64 s3, v9
	s_cbranch_execz .LBB307_232
; %bb.231:
	s_wait_dscnt 0x0
	v_min_i64 v[10:11], v[4:5], v[2:3]
	v_and_b32_e32 v7, 1, v7
	s_delay_alu instid0(VALU_DEP_1) | instskip(SKIP_3) | instid1(VALU_DEP_3)
	v_cmp_eq_u32_e32 vcc_lo, 1, v7
	v_bitop3_b32 v7, v20, 1, v8 bitop3:0x80
	v_and_b32_e32 v8, 0xff, v8
	v_cndmask_b32_e32 v2, v4, v2, vcc_lo
	v_cmp_eq_u32_e64 s2, 0, v7
	v_cndmask_b32_e32 v3, v5, v3, vcc_lo
	s_delay_alu instid0(VALU_DEP_4) | instskip(NEXT) | instid1(VALU_DEP_1)
	v_cndmask_b32_e64 v4, v8, 1, vcc_lo
	v_dual_cndmask_b32 v20, 1, v4, s2 :: v_dual_cndmask_b32 v2, v10, v2, s2
	s_delay_alu instid0(VALU_DEP_3)
	v_cndmask_b32_e64 v3, v11, v3, s2
.LBB307_232:
	s_or_b32 exec_lo, exec_lo, s5
	s_wait_dscnt 0x0
	v_dual_add_nc_u32 v1, 2, v1 :: v_dual_bitop2_b32 v5, 8, v6 bitop3:0x54
	ds_bpermute_b32 v6, v5, v20
	ds_bpermute_b32 v4, v5, v2
	;; [unrolled: 1-line block ×3, first 2 shown]
	v_cmp_gt_u32_e32 vcc_lo, s3, v1
	s_and_saveexec_b32 s3, vcc_lo
	s_cbranch_execz .LBB307_234
; %bb.233:
	s_wait_dscnt 0x0
	v_min_i64 v[8:9], v[4:5], v[2:3]
	v_and_b32_e32 v1, 1, v20
	s_delay_alu instid0(VALU_DEP_1) | instskip(SKIP_2) | instid1(VALU_DEP_2)
	v_cmp_eq_u32_e32 vcc_lo, 1, v1
	v_bitop3_b32 v1, v20, 1, v6 bitop3:0x80
	v_cndmask_b32_e32 v2, v4, v2, vcc_lo
	v_cmp_eq_u32_e64 s2, 0, v1
	v_cndmask_b32_e32 v3, v5, v3, vcc_lo
	v_cndmask_b32_e64 v1, v6, 1, vcc_lo
	s_delay_alu instid0(VALU_DEP_1) | instskip(NEXT) | instid1(VALU_DEP_3)
	v_dual_cndmask_b32 v20, 1, v1, s2 :: v_dual_cndmask_b32 v2, v8, v2, s2
	v_cndmask_b32_e64 v3, v9, v3, s2
.LBB307_234:
	s_or_b32 exec_lo, exec_lo, s3
.LBB307_235:
	s_delay_alu instid0(SALU_CYCLE_1)
	s_or_b32 exec_lo, exec_lo, s4
	v_cmp_eq_u32_e64 s2, 0, v0
	s_and_saveexec_b32 s3, s2
	s_cbranch_execnz .LBB307_212
	s_branch .LBB307_213
	.section	.rodata,"a",@progbits
	.p2align	6, 0x0
	.amdhsa_kernel _ZN7rocprim17ROCPRIM_400000_NS6detail17trampoline_kernelINS0_14default_configENS1_22reduce_config_selectorIN6thrust23THRUST_200600_302600_NS5tupleIblNS6_9null_typeES8_S8_S8_S8_S8_S8_S8_EEEEZNS1_11reduce_implILb1ES3_NS6_12zip_iteratorINS7_INS6_11hip_rocprim26transform_input_iterator_tIbNSD_35transform_pair_of_input_iterators_tIbNS6_6detail15normal_iteratorINS6_10device_ptrIKsEEEESL_NS6_8equal_toIsEEEENSG_9not_fun_tINSD_8identityEEEEENSD_19counting_iterator_tIlEES8_S8_S8_S8_S8_S8_S8_S8_EEEEPS9_S9_NSD_9__find_if7functorIS9_EEEE10hipError_tPvRmT1_T2_T3_mT4_P12ihipStream_tbEUlT_E1_NS1_11comp_targetILNS1_3genE0ELNS1_11target_archE4294967295ELNS1_3gpuE0ELNS1_3repE0EEENS1_30default_config_static_selectorELNS0_4arch9wavefront6targetE0EEEvS14_
		.amdhsa_group_segment_fixed_size 320
		.amdhsa_private_segment_fixed_size 0
		.amdhsa_kernarg_size 88
		.amdhsa_user_sgpr_count 2
		.amdhsa_user_sgpr_dispatch_ptr 0
		.amdhsa_user_sgpr_queue_ptr 0
		.amdhsa_user_sgpr_kernarg_segment_ptr 1
		.amdhsa_user_sgpr_dispatch_id 0
		.amdhsa_user_sgpr_kernarg_preload_length 0
		.amdhsa_user_sgpr_kernarg_preload_offset 0
		.amdhsa_user_sgpr_private_segment_size 0
		.amdhsa_wavefront_size32 1
		.amdhsa_uses_dynamic_stack 0
		.amdhsa_enable_private_segment 0
		.amdhsa_system_sgpr_workgroup_id_x 1
		.amdhsa_system_sgpr_workgroup_id_y 0
		.amdhsa_system_sgpr_workgroup_id_z 0
		.amdhsa_system_sgpr_workgroup_info 0
		.amdhsa_system_vgpr_workitem_id 0
		.amdhsa_next_free_vgpr 28
		.amdhsa_next_free_sgpr 28
		.amdhsa_named_barrier_count 0
		.amdhsa_reserve_vcc 1
		.amdhsa_float_round_mode_32 0
		.amdhsa_float_round_mode_16_64 0
		.amdhsa_float_denorm_mode_32 3
		.amdhsa_float_denorm_mode_16_64 3
		.amdhsa_fp16_overflow 0
		.amdhsa_memory_ordered 1
		.amdhsa_forward_progress 1
		.amdhsa_inst_pref_size 104
		.amdhsa_round_robin_scheduling 0
		.amdhsa_exception_fp_ieee_invalid_op 0
		.amdhsa_exception_fp_denorm_src 0
		.amdhsa_exception_fp_ieee_div_zero 0
		.amdhsa_exception_fp_ieee_overflow 0
		.amdhsa_exception_fp_ieee_underflow 0
		.amdhsa_exception_fp_ieee_inexact 0
		.amdhsa_exception_int_div_zero 0
	.end_amdhsa_kernel
	.section	.text._ZN7rocprim17ROCPRIM_400000_NS6detail17trampoline_kernelINS0_14default_configENS1_22reduce_config_selectorIN6thrust23THRUST_200600_302600_NS5tupleIblNS6_9null_typeES8_S8_S8_S8_S8_S8_S8_EEEEZNS1_11reduce_implILb1ES3_NS6_12zip_iteratorINS7_INS6_11hip_rocprim26transform_input_iterator_tIbNSD_35transform_pair_of_input_iterators_tIbNS6_6detail15normal_iteratorINS6_10device_ptrIKsEEEESL_NS6_8equal_toIsEEEENSG_9not_fun_tINSD_8identityEEEEENSD_19counting_iterator_tIlEES8_S8_S8_S8_S8_S8_S8_S8_EEEEPS9_S9_NSD_9__find_if7functorIS9_EEEE10hipError_tPvRmT1_T2_T3_mT4_P12ihipStream_tbEUlT_E1_NS1_11comp_targetILNS1_3genE0ELNS1_11target_archE4294967295ELNS1_3gpuE0ELNS1_3repE0EEENS1_30default_config_static_selectorELNS0_4arch9wavefront6targetE0EEEvS14_,"axG",@progbits,_ZN7rocprim17ROCPRIM_400000_NS6detail17trampoline_kernelINS0_14default_configENS1_22reduce_config_selectorIN6thrust23THRUST_200600_302600_NS5tupleIblNS6_9null_typeES8_S8_S8_S8_S8_S8_S8_EEEEZNS1_11reduce_implILb1ES3_NS6_12zip_iteratorINS7_INS6_11hip_rocprim26transform_input_iterator_tIbNSD_35transform_pair_of_input_iterators_tIbNS6_6detail15normal_iteratorINS6_10device_ptrIKsEEEESL_NS6_8equal_toIsEEEENSG_9not_fun_tINSD_8identityEEEEENSD_19counting_iterator_tIlEES8_S8_S8_S8_S8_S8_S8_S8_EEEEPS9_S9_NSD_9__find_if7functorIS9_EEEE10hipError_tPvRmT1_T2_T3_mT4_P12ihipStream_tbEUlT_E1_NS1_11comp_targetILNS1_3genE0ELNS1_11target_archE4294967295ELNS1_3gpuE0ELNS1_3repE0EEENS1_30default_config_static_selectorELNS0_4arch9wavefront6targetE0EEEvS14_,comdat
.Lfunc_end307:
	.size	_ZN7rocprim17ROCPRIM_400000_NS6detail17trampoline_kernelINS0_14default_configENS1_22reduce_config_selectorIN6thrust23THRUST_200600_302600_NS5tupleIblNS6_9null_typeES8_S8_S8_S8_S8_S8_S8_EEEEZNS1_11reduce_implILb1ES3_NS6_12zip_iteratorINS7_INS6_11hip_rocprim26transform_input_iterator_tIbNSD_35transform_pair_of_input_iterators_tIbNS6_6detail15normal_iteratorINS6_10device_ptrIKsEEEESL_NS6_8equal_toIsEEEENSG_9not_fun_tINSD_8identityEEEEENSD_19counting_iterator_tIlEES8_S8_S8_S8_S8_S8_S8_S8_EEEEPS9_S9_NSD_9__find_if7functorIS9_EEEE10hipError_tPvRmT1_T2_T3_mT4_P12ihipStream_tbEUlT_E1_NS1_11comp_targetILNS1_3genE0ELNS1_11target_archE4294967295ELNS1_3gpuE0ELNS1_3repE0EEENS1_30default_config_static_selectorELNS0_4arch9wavefront6targetE0EEEvS14_, .Lfunc_end307-_ZN7rocprim17ROCPRIM_400000_NS6detail17trampoline_kernelINS0_14default_configENS1_22reduce_config_selectorIN6thrust23THRUST_200600_302600_NS5tupleIblNS6_9null_typeES8_S8_S8_S8_S8_S8_S8_EEEEZNS1_11reduce_implILb1ES3_NS6_12zip_iteratorINS7_INS6_11hip_rocprim26transform_input_iterator_tIbNSD_35transform_pair_of_input_iterators_tIbNS6_6detail15normal_iteratorINS6_10device_ptrIKsEEEESL_NS6_8equal_toIsEEEENSG_9not_fun_tINSD_8identityEEEEENSD_19counting_iterator_tIlEES8_S8_S8_S8_S8_S8_S8_S8_EEEEPS9_S9_NSD_9__find_if7functorIS9_EEEE10hipError_tPvRmT1_T2_T3_mT4_P12ihipStream_tbEUlT_E1_NS1_11comp_targetILNS1_3genE0ELNS1_11target_archE4294967295ELNS1_3gpuE0ELNS1_3repE0EEENS1_30default_config_static_selectorELNS0_4arch9wavefront6targetE0EEEvS14_
                                        ; -- End function
	.set _ZN7rocprim17ROCPRIM_400000_NS6detail17trampoline_kernelINS0_14default_configENS1_22reduce_config_selectorIN6thrust23THRUST_200600_302600_NS5tupleIblNS6_9null_typeES8_S8_S8_S8_S8_S8_S8_EEEEZNS1_11reduce_implILb1ES3_NS6_12zip_iteratorINS7_INS6_11hip_rocprim26transform_input_iterator_tIbNSD_35transform_pair_of_input_iterators_tIbNS6_6detail15normal_iteratorINS6_10device_ptrIKsEEEESL_NS6_8equal_toIsEEEENSG_9not_fun_tINSD_8identityEEEEENSD_19counting_iterator_tIlEES8_S8_S8_S8_S8_S8_S8_S8_EEEEPS9_S9_NSD_9__find_if7functorIS9_EEEE10hipError_tPvRmT1_T2_T3_mT4_P12ihipStream_tbEUlT_E1_NS1_11comp_targetILNS1_3genE0ELNS1_11target_archE4294967295ELNS1_3gpuE0ELNS1_3repE0EEENS1_30default_config_static_selectorELNS0_4arch9wavefront6targetE0EEEvS14_.num_vgpr, 28
	.set _ZN7rocprim17ROCPRIM_400000_NS6detail17trampoline_kernelINS0_14default_configENS1_22reduce_config_selectorIN6thrust23THRUST_200600_302600_NS5tupleIblNS6_9null_typeES8_S8_S8_S8_S8_S8_S8_EEEEZNS1_11reduce_implILb1ES3_NS6_12zip_iteratorINS7_INS6_11hip_rocprim26transform_input_iterator_tIbNSD_35transform_pair_of_input_iterators_tIbNS6_6detail15normal_iteratorINS6_10device_ptrIKsEEEESL_NS6_8equal_toIsEEEENSG_9not_fun_tINSD_8identityEEEEENSD_19counting_iterator_tIlEES8_S8_S8_S8_S8_S8_S8_S8_EEEEPS9_S9_NSD_9__find_if7functorIS9_EEEE10hipError_tPvRmT1_T2_T3_mT4_P12ihipStream_tbEUlT_E1_NS1_11comp_targetILNS1_3genE0ELNS1_11target_archE4294967295ELNS1_3gpuE0ELNS1_3repE0EEENS1_30default_config_static_selectorELNS0_4arch9wavefront6targetE0EEEvS14_.num_agpr, 0
	.set _ZN7rocprim17ROCPRIM_400000_NS6detail17trampoline_kernelINS0_14default_configENS1_22reduce_config_selectorIN6thrust23THRUST_200600_302600_NS5tupleIblNS6_9null_typeES8_S8_S8_S8_S8_S8_S8_EEEEZNS1_11reduce_implILb1ES3_NS6_12zip_iteratorINS7_INS6_11hip_rocprim26transform_input_iterator_tIbNSD_35transform_pair_of_input_iterators_tIbNS6_6detail15normal_iteratorINS6_10device_ptrIKsEEEESL_NS6_8equal_toIsEEEENSG_9not_fun_tINSD_8identityEEEEENSD_19counting_iterator_tIlEES8_S8_S8_S8_S8_S8_S8_S8_EEEEPS9_S9_NSD_9__find_if7functorIS9_EEEE10hipError_tPvRmT1_T2_T3_mT4_P12ihipStream_tbEUlT_E1_NS1_11comp_targetILNS1_3genE0ELNS1_11target_archE4294967295ELNS1_3gpuE0ELNS1_3repE0EEENS1_30default_config_static_selectorELNS0_4arch9wavefront6targetE0EEEvS14_.numbered_sgpr, 28
	.set _ZN7rocprim17ROCPRIM_400000_NS6detail17trampoline_kernelINS0_14default_configENS1_22reduce_config_selectorIN6thrust23THRUST_200600_302600_NS5tupleIblNS6_9null_typeES8_S8_S8_S8_S8_S8_S8_EEEEZNS1_11reduce_implILb1ES3_NS6_12zip_iteratorINS7_INS6_11hip_rocprim26transform_input_iterator_tIbNSD_35transform_pair_of_input_iterators_tIbNS6_6detail15normal_iteratorINS6_10device_ptrIKsEEEESL_NS6_8equal_toIsEEEENSG_9not_fun_tINSD_8identityEEEEENSD_19counting_iterator_tIlEES8_S8_S8_S8_S8_S8_S8_S8_EEEEPS9_S9_NSD_9__find_if7functorIS9_EEEE10hipError_tPvRmT1_T2_T3_mT4_P12ihipStream_tbEUlT_E1_NS1_11comp_targetILNS1_3genE0ELNS1_11target_archE4294967295ELNS1_3gpuE0ELNS1_3repE0EEENS1_30default_config_static_selectorELNS0_4arch9wavefront6targetE0EEEvS14_.num_named_barrier, 0
	.set _ZN7rocprim17ROCPRIM_400000_NS6detail17trampoline_kernelINS0_14default_configENS1_22reduce_config_selectorIN6thrust23THRUST_200600_302600_NS5tupleIblNS6_9null_typeES8_S8_S8_S8_S8_S8_S8_EEEEZNS1_11reduce_implILb1ES3_NS6_12zip_iteratorINS7_INS6_11hip_rocprim26transform_input_iterator_tIbNSD_35transform_pair_of_input_iterators_tIbNS6_6detail15normal_iteratorINS6_10device_ptrIKsEEEESL_NS6_8equal_toIsEEEENSG_9not_fun_tINSD_8identityEEEEENSD_19counting_iterator_tIlEES8_S8_S8_S8_S8_S8_S8_S8_EEEEPS9_S9_NSD_9__find_if7functorIS9_EEEE10hipError_tPvRmT1_T2_T3_mT4_P12ihipStream_tbEUlT_E1_NS1_11comp_targetILNS1_3genE0ELNS1_11target_archE4294967295ELNS1_3gpuE0ELNS1_3repE0EEENS1_30default_config_static_selectorELNS0_4arch9wavefront6targetE0EEEvS14_.private_seg_size, 0
	.set _ZN7rocprim17ROCPRIM_400000_NS6detail17trampoline_kernelINS0_14default_configENS1_22reduce_config_selectorIN6thrust23THRUST_200600_302600_NS5tupleIblNS6_9null_typeES8_S8_S8_S8_S8_S8_S8_EEEEZNS1_11reduce_implILb1ES3_NS6_12zip_iteratorINS7_INS6_11hip_rocprim26transform_input_iterator_tIbNSD_35transform_pair_of_input_iterators_tIbNS6_6detail15normal_iteratorINS6_10device_ptrIKsEEEESL_NS6_8equal_toIsEEEENSG_9not_fun_tINSD_8identityEEEEENSD_19counting_iterator_tIlEES8_S8_S8_S8_S8_S8_S8_S8_EEEEPS9_S9_NSD_9__find_if7functorIS9_EEEE10hipError_tPvRmT1_T2_T3_mT4_P12ihipStream_tbEUlT_E1_NS1_11comp_targetILNS1_3genE0ELNS1_11target_archE4294967295ELNS1_3gpuE0ELNS1_3repE0EEENS1_30default_config_static_selectorELNS0_4arch9wavefront6targetE0EEEvS14_.uses_vcc, 1
	.set _ZN7rocprim17ROCPRIM_400000_NS6detail17trampoline_kernelINS0_14default_configENS1_22reduce_config_selectorIN6thrust23THRUST_200600_302600_NS5tupleIblNS6_9null_typeES8_S8_S8_S8_S8_S8_S8_EEEEZNS1_11reduce_implILb1ES3_NS6_12zip_iteratorINS7_INS6_11hip_rocprim26transform_input_iterator_tIbNSD_35transform_pair_of_input_iterators_tIbNS6_6detail15normal_iteratorINS6_10device_ptrIKsEEEESL_NS6_8equal_toIsEEEENSG_9not_fun_tINSD_8identityEEEEENSD_19counting_iterator_tIlEES8_S8_S8_S8_S8_S8_S8_S8_EEEEPS9_S9_NSD_9__find_if7functorIS9_EEEE10hipError_tPvRmT1_T2_T3_mT4_P12ihipStream_tbEUlT_E1_NS1_11comp_targetILNS1_3genE0ELNS1_11target_archE4294967295ELNS1_3gpuE0ELNS1_3repE0EEENS1_30default_config_static_selectorELNS0_4arch9wavefront6targetE0EEEvS14_.uses_flat_scratch, 0
	.set _ZN7rocprim17ROCPRIM_400000_NS6detail17trampoline_kernelINS0_14default_configENS1_22reduce_config_selectorIN6thrust23THRUST_200600_302600_NS5tupleIblNS6_9null_typeES8_S8_S8_S8_S8_S8_S8_EEEEZNS1_11reduce_implILb1ES3_NS6_12zip_iteratorINS7_INS6_11hip_rocprim26transform_input_iterator_tIbNSD_35transform_pair_of_input_iterators_tIbNS6_6detail15normal_iteratorINS6_10device_ptrIKsEEEESL_NS6_8equal_toIsEEEENSG_9not_fun_tINSD_8identityEEEEENSD_19counting_iterator_tIlEES8_S8_S8_S8_S8_S8_S8_S8_EEEEPS9_S9_NSD_9__find_if7functorIS9_EEEE10hipError_tPvRmT1_T2_T3_mT4_P12ihipStream_tbEUlT_E1_NS1_11comp_targetILNS1_3genE0ELNS1_11target_archE4294967295ELNS1_3gpuE0ELNS1_3repE0EEENS1_30default_config_static_selectorELNS0_4arch9wavefront6targetE0EEEvS14_.has_dyn_sized_stack, 0
	.set _ZN7rocprim17ROCPRIM_400000_NS6detail17trampoline_kernelINS0_14default_configENS1_22reduce_config_selectorIN6thrust23THRUST_200600_302600_NS5tupleIblNS6_9null_typeES8_S8_S8_S8_S8_S8_S8_EEEEZNS1_11reduce_implILb1ES3_NS6_12zip_iteratorINS7_INS6_11hip_rocprim26transform_input_iterator_tIbNSD_35transform_pair_of_input_iterators_tIbNS6_6detail15normal_iteratorINS6_10device_ptrIKsEEEESL_NS6_8equal_toIsEEEENSG_9not_fun_tINSD_8identityEEEEENSD_19counting_iterator_tIlEES8_S8_S8_S8_S8_S8_S8_S8_EEEEPS9_S9_NSD_9__find_if7functorIS9_EEEE10hipError_tPvRmT1_T2_T3_mT4_P12ihipStream_tbEUlT_E1_NS1_11comp_targetILNS1_3genE0ELNS1_11target_archE4294967295ELNS1_3gpuE0ELNS1_3repE0EEENS1_30default_config_static_selectorELNS0_4arch9wavefront6targetE0EEEvS14_.has_recursion, 0
	.set _ZN7rocprim17ROCPRIM_400000_NS6detail17trampoline_kernelINS0_14default_configENS1_22reduce_config_selectorIN6thrust23THRUST_200600_302600_NS5tupleIblNS6_9null_typeES8_S8_S8_S8_S8_S8_S8_EEEEZNS1_11reduce_implILb1ES3_NS6_12zip_iteratorINS7_INS6_11hip_rocprim26transform_input_iterator_tIbNSD_35transform_pair_of_input_iterators_tIbNS6_6detail15normal_iteratorINS6_10device_ptrIKsEEEESL_NS6_8equal_toIsEEEENSG_9not_fun_tINSD_8identityEEEEENSD_19counting_iterator_tIlEES8_S8_S8_S8_S8_S8_S8_S8_EEEEPS9_S9_NSD_9__find_if7functorIS9_EEEE10hipError_tPvRmT1_T2_T3_mT4_P12ihipStream_tbEUlT_E1_NS1_11comp_targetILNS1_3genE0ELNS1_11target_archE4294967295ELNS1_3gpuE0ELNS1_3repE0EEENS1_30default_config_static_selectorELNS0_4arch9wavefront6targetE0EEEvS14_.has_indirect_call, 0
	.section	.AMDGPU.csdata,"",@progbits
; Kernel info:
; codeLenInByte = 13312
; TotalNumSgprs: 30
; NumVgprs: 28
; ScratchSize: 0
; MemoryBound: 0
; FloatMode: 240
; IeeeMode: 1
; LDSByteSize: 320 bytes/workgroup (compile time only)
; SGPRBlocks: 0
; VGPRBlocks: 1
; NumSGPRsForWavesPerEU: 30
; NumVGPRsForWavesPerEU: 28
; NamedBarCnt: 0
; Occupancy: 16
; WaveLimiterHint : 0
; COMPUTE_PGM_RSRC2:SCRATCH_EN: 0
; COMPUTE_PGM_RSRC2:USER_SGPR: 2
; COMPUTE_PGM_RSRC2:TRAP_HANDLER: 0
; COMPUTE_PGM_RSRC2:TGID_X_EN: 1
; COMPUTE_PGM_RSRC2:TGID_Y_EN: 0
; COMPUTE_PGM_RSRC2:TGID_Z_EN: 0
; COMPUTE_PGM_RSRC2:TIDIG_COMP_CNT: 0
	.section	.text._ZN7rocprim17ROCPRIM_400000_NS6detail17trampoline_kernelINS0_14default_configENS1_22reduce_config_selectorIN6thrust23THRUST_200600_302600_NS5tupleIblNS6_9null_typeES8_S8_S8_S8_S8_S8_S8_EEEEZNS1_11reduce_implILb1ES3_NS6_12zip_iteratorINS7_INS6_11hip_rocprim26transform_input_iterator_tIbNSD_35transform_pair_of_input_iterators_tIbNS6_6detail15normal_iteratorINS6_10device_ptrIKsEEEESL_NS6_8equal_toIsEEEENSG_9not_fun_tINSD_8identityEEEEENSD_19counting_iterator_tIlEES8_S8_S8_S8_S8_S8_S8_S8_EEEEPS9_S9_NSD_9__find_if7functorIS9_EEEE10hipError_tPvRmT1_T2_T3_mT4_P12ihipStream_tbEUlT_E1_NS1_11comp_targetILNS1_3genE5ELNS1_11target_archE942ELNS1_3gpuE9ELNS1_3repE0EEENS1_30default_config_static_selectorELNS0_4arch9wavefront6targetE0EEEvS14_,"axG",@progbits,_ZN7rocprim17ROCPRIM_400000_NS6detail17trampoline_kernelINS0_14default_configENS1_22reduce_config_selectorIN6thrust23THRUST_200600_302600_NS5tupleIblNS6_9null_typeES8_S8_S8_S8_S8_S8_S8_EEEEZNS1_11reduce_implILb1ES3_NS6_12zip_iteratorINS7_INS6_11hip_rocprim26transform_input_iterator_tIbNSD_35transform_pair_of_input_iterators_tIbNS6_6detail15normal_iteratorINS6_10device_ptrIKsEEEESL_NS6_8equal_toIsEEEENSG_9not_fun_tINSD_8identityEEEEENSD_19counting_iterator_tIlEES8_S8_S8_S8_S8_S8_S8_S8_EEEEPS9_S9_NSD_9__find_if7functorIS9_EEEE10hipError_tPvRmT1_T2_T3_mT4_P12ihipStream_tbEUlT_E1_NS1_11comp_targetILNS1_3genE5ELNS1_11target_archE942ELNS1_3gpuE9ELNS1_3repE0EEENS1_30default_config_static_selectorELNS0_4arch9wavefront6targetE0EEEvS14_,comdat
	.protected	_ZN7rocprim17ROCPRIM_400000_NS6detail17trampoline_kernelINS0_14default_configENS1_22reduce_config_selectorIN6thrust23THRUST_200600_302600_NS5tupleIblNS6_9null_typeES8_S8_S8_S8_S8_S8_S8_EEEEZNS1_11reduce_implILb1ES3_NS6_12zip_iteratorINS7_INS6_11hip_rocprim26transform_input_iterator_tIbNSD_35transform_pair_of_input_iterators_tIbNS6_6detail15normal_iteratorINS6_10device_ptrIKsEEEESL_NS6_8equal_toIsEEEENSG_9not_fun_tINSD_8identityEEEEENSD_19counting_iterator_tIlEES8_S8_S8_S8_S8_S8_S8_S8_EEEEPS9_S9_NSD_9__find_if7functorIS9_EEEE10hipError_tPvRmT1_T2_T3_mT4_P12ihipStream_tbEUlT_E1_NS1_11comp_targetILNS1_3genE5ELNS1_11target_archE942ELNS1_3gpuE9ELNS1_3repE0EEENS1_30default_config_static_selectorELNS0_4arch9wavefront6targetE0EEEvS14_ ; -- Begin function _ZN7rocprim17ROCPRIM_400000_NS6detail17trampoline_kernelINS0_14default_configENS1_22reduce_config_selectorIN6thrust23THRUST_200600_302600_NS5tupleIblNS6_9null_typeES8_S8_S8_S8_S8_S8_S8_EEEEZNS1_11reduce_implILb1ES3_NS6_12zip_iteratorINS7_INS6_11hip_rocprim26transform_input_iterator_tIbNSD_35transform_pair_of_input_iterators_tIbNS6_6detail15normal_iteratorINS6_10device_ptrIKsEEEESL_NS6_8equal_toIsEEEENSG_9not_fun_tINSD_8identityEEEEENSD_19counting_iterator_tIlEES8_S8_S8_S8_S8_S8_S8_S8_EEEEPS9_S9_NSD_9__find_if7functorIS9_EEEE10hipError_tPvRmT1_T2_T3_mT4_P12ihipStream_tbEUlT_E1_NS1_11comp_targetILNS1_3genE5ELNS1_11target_archE942ELNS1_3gpuE9ELNS1_3repE0EEENS1_30default_config_static_selectorELNS0_4arch9wavefront6targetE0EEEvS14_
	.globl	_ZN7rocprim17ROCPRIM_400000_NS6detail17trampoline_kernelINS0_14default_configENS1_22reduce_config_selectorIN6thrust23THRUST_200600_302600_NS5tupleIblNS6_9null_typeES8_S8_S8_S8_S8_S8_S8_EEEEZNS1_11reduce_implILb1ES3_NS6_12zip_iteratorINS7_INS6_11hip_rocprim26transform_input_iterator_tIbNSD_35transform_pair_of_input_iterators_tIbNS6_6detail15normal_iteratorINS6_10device_ptrIKsEEEESL_NS6_8equal_toIsEEEENSG_9not_fun_tINSD_8identityEEEEENSD_19counting_iterator_tIlEES8_S8_S8_S8_S8_S8_S8_S8_EEEEPS9_S9_NSD_9__find_if7functorIS9_EEEE10hipError_tPvRmT1_T2_T3_mT4_P12ihipStream_tbEUlT_E1_NS1_11comp_targetILNS1_3genE5ELNS1_11target_archE942ELNS1_3gpuE9ELNS1_3repE0EEENS1_30default_config_static_selectorELNS0_4arch9wavefront6targetE0EEEvS14_
	.p2align	8
	.type	_ZN7rocprim17ROCPRIM_400000_NS6detail17trampoline_kernelINS0_14default_configENS1_22reduce_config_selectorIN6thrust23THRUST_200600_302600_NS5tupleIblNS6_9null_typeES8_S8_S8_S8_S8_S8_S8_EEEEZNS1_11reduce_implILb1ES3_NS6_12zip_iteratorINS7_INS6_11hip_rocprim26transform_input_iterator_tIbNSD_35transform_pair_of_input_iterators_tIbNS6_6detail15normal_iteratorINS6_10device_ptrIKsEEEESL_NS6_8equal_toIsEEEENSG_9not_fun_tINSD_8identityEEEEENSD_19counting_iterator_tIlEES8_S8_S8_S8_S8_S8_S8_S8_EEEEPS9_S9_NSD_9__find_if7functorIS9_EEEE10hipError_tPvRmT1_T2_T3_mT4_P12ihipStream_tbEUlT_E1_NS1_11comp_targetILNS1_3genE5ELNS1_11target_archE942ELNS1_3gpuE9ELNS1_3repE0EEENS1_30default_config_static_selectorELNS0_4arch9wavefront6targetE0EEEvS14_,@function
_ZN7rocprim17ROCPRIM_400000_NS6detail17trampoline_kernelINS0_14default_configENS1_22reduce_config_selectorIN6thrust23THRUST_200600_302600_NS5tupleIblNS6_9null_typeES8_S8_S8_S8_S8_S8_S8_EEEEZNS1_11reduce_implILb1ES3_NS6_12zip_iteratorINS7_INS6_11hip_rocprim26transform_input_iterator_tIbNSD_35transform_pair_of_input_iterators_tIbNS6_6detail15normal_iteratorINS6_10device_ptrIKsEEEESL_NS6_8equal_toIsEEEENSG_9not_fun_tINSD_8identityEEEEENSD_19counting_iterator_tIlEES8_S8_S8_S8_S8_S8_S8_S8_EEEEPS9_S9_NSD_9__find_if7functorIS9_EEEE10hipError_tPvRmT1_T2_T3_mT4_P12ihipStream_tbEUlT_E1_NS1_11comp_targetILNS1_3genE5ELNS1_11target_archE942ELNS1_3gpuE9ELNS1_3repE0EEENS1_30default_config_static_selectorELNS0_4arch9wavefront6targetE0EEEvS14_: ; @_ZN7rocprim17ROCPRIM_400000_NS6detail17trampoline_kernelINS0_14default_configENS1_22reduce_config_selectorIN6thrust23THRUST_200600_302600_NS5tupleIblNS6_9null_typeES8_S8_S8_S8_S8_S8_S8_EEEEZNS1_11reduce_implILb1ES3_NS6_12zip_iteratorINS7_INS6_11hip_rocprim26transform_input_iterator_tIbNSD_35transform_pair_of_input_iterators_tIbNS6_6detail15normal_iteratorINS6_10device_ptrIKsEEEESL_NS6_8equal_toIsEEEENSG_9not_fun_tINSD_8identityEEEEENSD_19counting_iterator_tIlEES8_S8_S8_S8_S8_S8_S8_S8_EEEEPS9_S9_NSD_9__find_if7functorIS9_EEEE10hipError_tPvRmT1_T2_T3_mT4_P12ihipStream_tbEUlT_E1_NS1_11comp_targetILNS1_3genE5ELNS1_11target_archE942ELNS1_3gpuE9ELNS1_3repE0EEENS1_30default_config_static_selectorELNS0_4arch9wavefront6targetE0EEEvS14_
; %bb.0:
	.section	.rodata,"a",@progbits
	.p2align	6, 0x0
	.amdhsa_kernel _ZN7rocprim17ROCPRIM_400000_NS6detail17trampoline_kernelINS0_14default_configENS1_22reduce_config_selectorIN6thrust23THRUST_200600_302600_NS5tupleIblNS6_9null_typeES8_S8_S8_S8_S8_S8_S8_EEEEZNS1_11reduce_implILb1ES3_NS6_12zip_iteratorINS7_INS6_11hip_rocprim26transform_input_iterator_tIbNSD_35transform_pair_of_input_iterators_tIbNS6_6detail15normal_iteratorINS6_10device_ptrIKsEEEESL_NS6_8equal_toIsEEEENSG_9not_fun_tINSD_8identityEEEEENSD_19counting_iterator_tIlEES8_S8_S8_S8_S8_S8_S8_S8_EEEEPS9_S9_NSD_9__find_if7functorIS9_EEEE10hipError_tPvRmT1_T2_T3_mT4_P12ihipStream_tbEUlT_E1_NS1_11comp_targetILNS1_3genE5ELNS1_11target_archE942ELNS1_3gpuE9ELNS1_3repE0EEENS1_30default_config_static_selectorELNS0_4arch9wavefront6targetE0EEEvS14_
		.amdhsa_group_segment_fixed_size 0
		.amdhsa_private_segment_fixed_size 0
		.amdhsa_kernarg_size 88
		.amdhsa_user_sgpr_count 2
		.amdhsa_user_sgpr_dispatch_ptr 0
		.amdhsa_user_sgpr_queue_ptr 0
		.amdhsa_user_sgpr_kernarg_segment_ptr 1
		.amdhsa_user_sgpr_dispatch_id 0
		.amdhsa_user_sgpr_kernarg_preload_length 0
		.amdhsa_user_sgpr_kernarg_preload_offset 0
		.amdhsa_user_sgpr_private_segment_size 0
		.amdhsa_wavefront_size32 1
		.amdhsa_uses_dynamic_stack 0
		.amdhsa_enable_private_segment 0
		.amdhsa_system_sgpr_workgroup_id_x 1
		.amdhsa_system_sgpr_workgroup_id_y 0
		.amdhsa_system_sgpr_workgroup_id_z 0
		.amdhsa_system_sgpr_workgroup_info 0
		.amdhsa_system_vgpr_workitem_id 0
		.amdhsa_next_free_vgpr 1
		.amdhsa_next_free_sgpr 1
		.amdhsa_named_barrier_count 0
		.amdhsa_reserve_vcc 0
		.amdhsa_float_round_mode_32 0
		.amdhsa_float_round_mode_16_64 0
		.amdhsa_float_denorm_mode_32 3
		.amdhsa_float_denorm_mode_16_64 3
		.amdhsa_fp16_overflow 0
		.amdhsa_memory_ordered 1
		.amdhsa_forward_progress 1
		.amdhsa_inst_pref_size 0
		.amdhsa_round_robin_scheduling 0
		.amdhsa_exception_fp_ieee_invalid_op 0
		.amdhsa_exception_fp_denorm_src 0
		.amdhsa_exception_fp_ieee_div_zero 0
		.amdhsa_exception_fp_ieee_overflow 0
		.amdhsa_exception_fp_ieee_underflow 0
		.amdhsa_exception_fp_ieee_inexact 0
		.amdhsa_exception_int_div_zero 0
	.end_amdhsa_kernel
	.section	.text._ZN7rocprim17ROCPRIM_400000_NS6detail17trampoline_kernelINS0_14default_configENS1_22reduce_config_selectorIN6thrust23THRUST_200600_302600_NS5tupleIblNS6_9null_typeES8_S8_S8_S8_S8_S8_S8_EEEEZNS1_11reduce_implILb1ES3_NS6_12zip_iteratorINS7_INS6_11hip_rocprim26transform_input_iterator_tIbNSD_35transform_pair_of_input_iterators_tIbNS6_6detail15normal_iteratorINS6_10device_ptrIKsEEEESL_NS6_8equal_toIsEEEENSG_9not_fun_tINSD_8identityEEEEENSD_19counting_iterator_tIlEES8_S8_S8_S8_S8_S8_S8_S8_EEEEPS9_S9_NSD_9__find_if7functorIS9_EEEE10hipError_tPvRmT1_T2_T3_mT4_P12ihipStream_tbEUlT_E1_NS1_11comp_targetILNS1_3genE5ELNS1_11target_archE942ELNS1_3gpuE9ELNS1_3repE0EEENS1_30default_config_static_selectorELNS0_4arch9wavefront6targetE0EEEvS14_,"axG",@progbits,_ZN7rocprim17ROCPRIM_400000_NS6detail17trampoline_kernelINS0_14default_configENS1_22reduce_config_selectorIN6thrust23THRUST_200600_302600_NS5tupleIblNS6_9null_typeES8_S8_S8_S8_S8_S8_S8_EEEEZNS1_11reduce_implILb1ES3_NS6_12zip_iteratorINS7_INS6_11hip_rocprim26transform_input_iterator_tIbNSD_35transform_pair_of_input_iterators_tIbNS6_6detail15normal_iteratorINS6_10device_ptrIKsEEEESL_NS6_8equal_toIsEEEENSG_9not_fun_tINSD_8identityEEEEENSD_19counting_iterator_tIlEES8_S8_S8_S8_S8_S8_S8_S8_EEEEPS9_S9_NSD_9__find_if7functorIS9_EEEE10hipError_tPvRmT1_T2_T3_mT4_P12ihipStream_tbEUlT_E1_NS1_11comp_targetILNS1_3genE5ELNS1_11target_archE942ELNS1_3gpuE9ELNS1_3repE0EEENS1_30default_config_static_selectorELNS0_4arch9wavefront6targetE0EEEvS14_,comdat
.Lfunc_end308:
	.size	_ZN7rocprim17ROCPRIM_400000_NS6detail17trampoline_kernelINS0_14default_configENS1_22reduce_config_selectorIN6thrust23THRUST_200600_302600_NS5tupleIblNS6_9null_typeES8_S8_S8_S8_S8_S8_S8_EEEEZNS1_11reduce_implILb1ES3_NS6_12zip_iteratorINS7_INS6_11hip_rocprim26transform_input_iterator_tIbNSD_35transform_pair_of_input_iterators_tIbNS6_6detail15normal_iteratorINS6_10device_ptrIKsEEEESL_NS6_8equal_toIsEEEENSG_9not_fun_tINSD_8identityEEEEENSD_19counting_iterator_tIlEES8_S8_S8_S8_S8_S8_S8_S8_EEEEPS9_S9_NSD_9__find_if7functorIS9_EEEE10hipError_tPvRmT1_T2_T3_mT4_P12ihipStream_tbEUlT_E1_NS1_11comp_targetILNS1_3genE5ELNS1_11target_archE942ELNS1_3gpuE9ELNS1_3repE0EEENS1_30default_config_static_selectorELNS0_4arch9wavefront6targetE0EEEvS14_, .Lfunc_end308-_ZN7rocprim17ROCPRIM_400000_NS6detail17trampoline_kernelINS0_14default_configENS1_22reduce_config_selectorIN6thrust23THRUST_200600_302600_NS5tupleIblNS6_9null_typeES8_S8_S8_S8_S8_S8_S8_EEEEZNS1_11reduce_implILb1ES3_NS6_12zip_iteratorINS7_INS6_11hip_rocprim26transform_input_iterator_tIbNSD_35transform_pair_of_input_iterators_tIbNS6_6detail15normal_iteratorINS6_10device_ptrIKsEEEESL_NS6_8equal_toIsEEEENSG_9not_fun_tINSD_8identityEEEEENSD_19counting_iterator_tIlEES8_S8_S8_S8_S8_S8_S8_S8_EEEEPS9_S9_NSD_9__find_if7functorIS9_EEEE10hipError_tPvRmT1_T2_T3_mT4_P12ihipStream_tbEUlT_E1_NS1_11comp_targetILNS1_3genE5ELNS1_11target_archE942ELNS1_3gpuE9ELNS1_3repE0EEENS1_30default_config_static_selectorELNS0_4arch9wavefront6targetE0EEEvS14_
                                        ; -- End function
	.set _ZN7rocprim17ROCPRIM_400000_NS6detail17trampoline_kernelINS0_14default_configENS1_22reduce_config_selectorIN6thrust23THRUST_200600_302600_NS5tupleIblNS6_9null_typeES8_S8_S8_S8_S8_S8_S8_EEEEZNS1_11reduce_implILb1ES3_NS6_12zip_iteratorINS7_INS6_11hip_rocprim26transform_input_iterator_tIbNSD_35transform_pair_of_input_iterators_tIbNS6_6detail15normal_iteratorINS6_10device_ptrIKsEEEESL_NS6_8equal_toIsEEEENSG_9not_fun_tINSD_8identityEEEEENSD_19counting_iterator_tIlEES8_S8_S8_S8_S8_S8_S8_S8_EEEEPS9_S9_NSD_9__find_if7functorIS9_EEEE10hipError_tPvRmT1_T2_T3_mT4_P12ihipStream_tbEUlT_E1_NS1_11comp_targetILNS1_3genE5ELNS1_11target_archE942ELNS1_3gpuE9ELNS1_3repE0EEENS1_30default_config_static_selectorELNS0_4arch9wavefront6targetE0EEEvS14_.num_vgpr, 0
	.set _ZN7rocprim17ROCPRIM_400000_NS6detail17trampoline_kernelINS0_14default_configENS1_22reduce_config_selectorIN6thrust23THRUST_200600_302600_NS5tupleIblNS6_9null_typeES8_S8_S8_S8_S8_S8_S8_EEEEZNS1_11reduce_implILb1ES3_NS6_12zip_iteratorINS7_INS6_11hip_rocprim26transform_input_iterator_tIbNSD_35transform_pair_of_input_iterators_tIbNS6_6detail15normal_iteratorINS6_10device_ptrIKsEEEESL_NS6_8equal_toIsEEEENSG_9not_fun_tINSD_8identityEEEEENSD_19counting_iterator_tIlEES8_S8_S8_S8_S8_S8_S8_S8_EEEEPS9_S9_NSD_9__find_if7functorIS9_EEEE10hipError_tPvRmT1_T2_T3_mT4_P12ihipStream_tbEUlT_E1_NS1_11comp_targetILNS1_3genE5ELNS1_11target_archE942ELNS1_3gpuE9ELNS1_3repE0EEENS1_30default_config_static_selectorELNS0_4arch9wavefront6targetE0EEEvS14_.num_agpr, 0
	.set _ZN7rocprim17ROCPRIM_400000_NS6detail17trampoline_kernelINS0_14default_configENS1_22reduce_config_selectorIN6thrust23THRUST_200600_302600_NS5tupleIblNS6_9null_typeES8_S8_S8_S8_S8_S8_S8_EEEEZNS1_11reduce_implILb1ES3_NS6_12zip_iteratorINS7_INS6_11hip_rocprim26transform_input_iterator_tIbNSD_35transform_pair_of_input_iterators_tIbNS6_6detail15normal_iteratorINS6_10device_ptrIKsEEEESL_NS6_8equal_toIsEEEENSG_9not_fun_tINSD_8identityEEEEENSD_19counting_iterator_tIlEES8_S8_S8_S8_S8_S8_S8_S8_EEEEPS9_S9_NSD_9__find_if7functorIS9_EEEE10hipError_tPvRmT1_T2_T3_mT4_P12ihipStream_tbEUlT_E1_NS1_11comp_targetILNS1_3genE5ELNS1_11target_archE942ELNS1_3gpuE9ELNS1_3repE0EEENS1_30default_config_static_selectorELNS0_4arch9wavefront6targetE0EEEvS14_.numbered_sgpr, 0
	.set _ZN7rocprim17ROCPRIM_400000_NS6detail17trampoline_kernelINS0_14default_configENS1_22reduce_config_selectorIN6thrust23THRUST_200600_302600_NS5tupleIblNS6_9null_typeES8_S8_S8_S8_S8_S8_S8_EEEEZNS1_11reduce_implILb1ES3_NS6_12zip_iteratorINS7_INS6_11hip_rocprim26transform_input_iterator_tIbNSD_35transform_pair_of_input_iterators_tIbNS6_6detail15normal_iteratorINS6_10device_ptrIKsEEEESL_NS6_8equal_toIsEEEENSG_9not_fun_tINSD_8identityEEEEENSD_19counting_iterator_tIlEES8_S8_S8_S8_S8_S8_S8_S8_EEEEPS9_S9_NSD_9__find_if7functorIS9_EEEE10hipError_tPvRmT1_T2_T3_mT4_P12ihipStream_tbEUlT_E1_NS1_11comp_targetILNS1_3genE5ELNS1_11target_archE942ELNS1_3gpuE9ELNS1_3repE0EEENS1_30default_config_static_selectorELNS0_4arch9wavefront6targetE0EEEvS14_.num_named_barrier, 0
	.set _ZN7rocprim17ROCPRIM_400000_NS6detail17trampoline_kernelINS0_14default_configENS1_22reduce_config_selectorIN6thrust23THRUST_200600_302600_NS5tupleIblNS6_9null_typeES8_S8_S8_S8_S8_S8_S8_EEEEZNS1_11reduce_implILb1ES3_NS6_12zip_iteratorINS7_INS6_11hip_rocprim26transform_input_iterator_tIbNSD_35transform_pair_of_input_iterators_tIbNS6_6detail15normal_iteratorINS6_10device_ptrIKsEEEESL_NS6_8equal_toIsEEEENSG_9not_fun_tINSD_8identityEEEEENSD_19counting_iterator_tIlEES8_S8_S8_S8_S8_S8_S8_S8_EEEEPS9_S9_NSD_9__find_if7functorIS9_EEEE10hipError_tPvRmT1_T2_T3_mT4_P12ihipStream_tbEUlT_E1_NS1_11comp_targetILNS1_3genE5ELNS1_11target_archE942ELNS1_3gpuE9ELNS1_3repE0EEENS1_30default_config_static_selectorELNS0_4arch9wavefront6targetE0EEEvS14_.private_seg_size, 0
	.set _ZN7rocprim17ROCPRIM_400000_NS6detail17trampoline_kernelINS0_14default_configENS1_22reduce_config_selectorIN6thrust23THRUST_200600_302600_NS5tupleIblNS6_9null_typeES8_S8_S8_S8_S8_S8_S8_EEEEZNS1_11reduce_implILb1ES3_NS6_12zip_iteratorINS7_INS6_11hip_rocprim26transform_input_iterator_tIbNSD_35transform_pair_of_input_iterators_tIbNS6_6detail15normal_iteratorINS6_10device_ptrIKsEEEESL_NS6_8equal_toIsEEEENSG_9not_fun_tINSD_8identityEEEEENSD_19counting_iterator_tIlEES8_S8_S8_S8_S8_S8_S8_S8_EEEEPS9_S9_NSD_9__find_if7functorIS9_EEEE10hipError_tPvRmT1_T2_T3_mT4_P12ihipStream_tbEUlT_E1_NS1_11comp_targetILNS1_3genE5ELNS1_11target_archE942ELNS1_3gpuE9ELNS1_3repE0EEENS1_30default_config_static_selectorELNS0_4arch9wavefront6targetE0EEEvS14_.uses_vcc, 0
	.set _ZN7rocprim17ROCPRIM_400000_NS6detail17trampoline_kernelINS0_14default_configENS1_22reduce_config_selectorIN6thrust23THRUST_200600_302600_NS5tupleIblNS6_9null_typeES8_S8_S8_S8_S8_S8_S8_EEEEZNS1_11reduce_implILb1ES3_NS6_12zip_iteratorINS7_INS6_11hip_rocprim26transform_input_iterator_tIbNSD_35transform_pair_of_input_iterators_tIbNS6_6detail15normal_iteratorINS6_10device_ptrIKsEEEESL_NS6_8equal_toIsEEEENSG_9not_fun_tINSD_8identityEEEEENSD_19counting_iterator_tIlEES8_S8_S8_S8_S8_S8_S8_S8_EEEEPS9_S9_NSD_9__find_if7functorIS9_EEEE10hipError_tPvRmT1_T2_T3_mT4_P12ihipStream_tbEUlT_E1_NS1_11comp_targetILNS1_3genE5ELNS1_11target_archE942ELNS1_3gpuE9ELNS1_3repE0EEENS1_30default_config_static_selectorELNS0_4arch9wavefront6targetE0EEEvS14_.uses_flat_scratch, 0
	.set _ZN7rocprim17ROCPRIM_400000_NS6detail17trampoline_kernelINS0_14default_configENS1_22reduce_config_selectorIN6thrust23THRUST_200600_302600_NS5tupleIblNS6_9null_typeES8_S8_S8_S8_S8_S8_S8_EEEEZNS1_11reduce_implILb1ES3_NS6_12zip_iteratorINS7_INS6_11hip_rocprim26transform_input_iterator_tIbNSD_35transform_pair_of_input_iterators_tIbNS6_6detail15normal_iteratorINS6_10device_ptrIKsEEEESL_NS6_8equal_toIsEEEENSG_9not_fun_tINSD_8identityEEEEENSD_19counting_iterator_tIlEES8_S8_S8_S8_S8_S8_S8_S8_EEEEPS9_S9_NSD_9__find_if7functorIS9_EEEE10hipError_tPvRmT1_T2_T3_mT4_P12ihipStream_tbEUlT_E1_NS1_11comp_targetILNS1_3genE5ELNS1_11target_archE942ELNS1_3gpuE9ELNS1_3repE0EEENS1_30default_config_static_selectorELNS0_4arch9wavefront6targetE0EEEvS14_.has_dyn_sized_stack, 0
	.set _ZN7rocprim17ROCPRIM_400000_NS6detail17trampoline_kernelINS0_14default_configENS1_22reduce_config_selectorIN6thrust23THRUST_200600_302600_NS5tupleIblNS6_9null_typeES8_S8_S8_S8_S8_S8_S8_EEEEZNS1_11reduce_implILb1ES3_NS6_12zip_iteratorINS7_INS6_11hip_rocprim26transform_input_iterator_tIbNSD_35transform_pair_of_input_iterators_tIbNS6_6detail15normal_iteratorINS6_10device_ptrIKsEEEESL_NS6_8equal_toIsEEEENSG_9not_fun_tINSD_8identityEEEEENSD_19counting_iterator_tIlEES8_S8_S8_S8_S8_S8_S8_S8_EEEEPS9_S9_NSD_9__find_if7functorIS9_EEEE10hipError_tPvRmT1_T2_T3_mT4_P12ihipStream_tbEUlT_E1_NS1_11comp_targetILNS1_3genE5ELNS1_11target_archE942ELNS1_3gpuE9ELNS1_3repE0EEENS1_30default_config_static_selectorELNS0_4arch9wavefront6targetE0EEEvS14_.has_recursion, 0
	.set _ZN7rocprim17ROCPRIM_400000_NS6detail17trampoline_kernelINS0_14default_configENS1_22reduce_config_selectorIN6thrust23THRUST_200600_302600_NS5tupleIblNS6_9null_typeES8_S8_S8_S8_S8_S8_S8_EEEEZNS1_11reduce_implILb1ES3_NS6_12zip_iteratorINS7_INS6_11hip_rocprim26transform_input_iterator_tIbNSD_35transform_pair_of_input_iterators_tIbNS6_6detail15normal_iteratorINS6_10device_ptrIKsEEEESL_NS6_8equal_toIsEEEENSG_9not_fun_tINSD_8identityEEEEENSD_19counting_iterator_tIlEES8_S8_S8_S8_S8_S8_S8_S8_EEEEPS9_S9_NSD_9__find_if7functorIS9_EEEE10hipError_tPvRmT1_T2_T3_mT4_P12ihipStream_tbEUlT_E1_NS1_11comp_targetILNS1_3genE5ELNS1_11target_archE942ELNS1_3gpuE9ELNS1_3repE0EEENS1_30default_config_static_selectorELNS0_4arch9wavefront6targetE0EEEvS14_.has_indirect_call, 0
	.section	.AMDGPU.csdata,"",@progbits
; Kernel info:
; codeLenInByte = 0
; TotalNumSgprs: 0
; NumVgprs: 0
; ScratchSize: 0
; MemoryBound: 0
; FloatMode: 240
; IeeeMode: 1
; LDSByteSize: 0 bytes/workgroup (compile time only)
; SGPRBlocks: 0
; VGPRBlocks: 0
; NumSGPRsForWavesPerEU: 1
; NumVGPRsForWavesPerEU: 1
; NamedBarCnt: 0
; Occupancy: 16
; WaveLimiterHint : 0
; COMPUTE_PGM_RSRC2:SCRATCH_EN: 0
; COMPUTE_PGM_RSRC2:USER_SGPR: 2
; COMPUTE_PGM_RSRC2:TRAP_HANDLER: 0
; COMPUTE_PGM_RSRC2:TGID_X_EN: 1
; COMPUTE_PGM_RSRC2:TGID_Y_EN: 0
; COMPUTE_PGM_RSRC2:TGID_Z_EN: 0
; COMPUTE_PGM_RSRC2:TIDIG_COMP_CNT: 0
	.section	.text._ZN7rocprim17ROCPRIM_400000_NS6detail17trampoline_kernelINS0_14default_configENS1_22reduce_config_selectorIN6thrust23THRUST_200600_302600_NS5tupleIblNS6_9null_typeES8_S8_S8_S8_S8_S8_S8_EEEEZNS1_11reduce_implILb1ES3_NS6_12zip_iteratorINS7_INS6_11hip_rocprim26transform_input_iterator_tIbNSD_35transform_pair_of_input_iterators_tIbNS6_6detail15normal_iteratorINS6_10device_ptrIKsEEEESL_NS6_8equal_toIsEEEENSG_9not_fun_tINSD_8identityEEEEENSD_19counting_iterator_tIlEES8_S8_S8_S8_S8_S8_S8_S8_EEEEPS9_S9_NSD_9__find_if7functorIS9_EEEE10hipError_tPvRmT1_T2_T3_mT4_P12ihipStream_tbEUlT_E1_NS1_11comp_targetILNS1_3genE4ELNS1_11target_archE910ELNS1_3gpuE8ELNS1_3repE0EEENS1_30default_config_static_selectorELNS0_4arch9wavefront6targetE0EEEvS14_,"axG",@progbits,_ZN7rocprim17ROCPRIM_400000_NS6detail17trampoline_kernelINS0_14default_configENS1_22reduce_config_selectorIN6thrust23THRUST_200600_302600_NS5tupleIblNS6_9null_typeES8_S8_S8_S8_S8_S8_S8_EEEEZNS1_11reduce_implILb1ES3_NS6_12zip_iteratorINS7_INS6_11hip_rocprim26transform_input_iterator_tIbNSD_35transform_pair_of_input_iterators_tIbNS6_6detail15normal_iteratorINS6_10device_ptrIKsEEEESL_NS6_8equal_toIsEEEENSG_9not_fun_tINSD_8identityEEEEENSD_19counting_iterator_tIlEES8_S8_S8_S8_S8_S8_S8_S8_EEEEPS9_S9_NSD_9__find_if7functorIS9_EEEE10hipError_tPvRmT1_T2_T3_mT4_P12ihipStream_tbEUlT_E1_NS1_11comp_targetILNS1_3genE4ELNS1_11target_archE910ELNS1_3gpuE8ELNS1_3repE0EEENS1_30default_config_static_selectorELNS0_4arch9wavefront6targetE0EEEvS14_,comdat
	.protected	_ZN7rocprim17ROCPRIM_400000_NS6detail17trampoline_kernelINS0_14default_configENS1_22reduce_config_selectorIN6thrust23THRUST_200600_302600_NS5tupleIblNS6_9null_typeES8_S8_S8_S8_S8_S8_S8_EEEEZNS1_11reduce_implILb1ES3_NS6_12zip_iteratorINS7_INS6_11hip_rocprim26transform_input_iterator_tIbNSD_35transform_pair_of_input_iterators_tIbNS6_6detail15normal_iteratorINS6_10device_ptrIKsEEEESL_NS6_8equal_toIsEEEENSG_9not_fun_tINSD_8identityEEEEENSD_19counting_iterator_tIlEES8_S8_S8_S8_S8_S8_S8_S8_EEEEPS9_S9_NSD_9__find_if7functorIS9_EEEE10hipError_tPvRmT1_T2_T3_mT4_P12ihipStream_tbEUlT_E1_NS1_11comp_targetILNS1_3genE4ELNS1_11target_archE910ELNS1_3gpuE8ELNS1_3repE0EEENS1_30default_config_static_selectorELNS0_4arch9wavefront6targetE0EEEvS14_ ; -- Begin function _ZN7rocprim17ROCPRIM_400000_NS6detail17trampoline_kernelINS0_14default_configENS1_22reduce_config_selectorIN6thrust23THRUST_200600_302600_NS5tupleIblNS6_9null_typeES8_S8_S8_S8_S8_S8_S8_EEEEZNS1_11reduce_implILb1ES3_NS6_12zip_iteratorINS7_INS6_11hip_rocprim26transform_input_iterator_tIbNSD_35transform_pair_of_input_iterators_tIbNS6_6detail15normal_iteratorINS6_10device_ptrIKsEEEESL_NS6_8equal_toIsEEEENSG_9not_fun_tINSD_8identityEEEEENSD_19counting_iterator_tIlEES8_S8_S8_S8_S8_S8_S8_S8_EEEEPS9_S9_NSD_9__find_if7functorIS9_EEEE10hipError_tPvRmT1_T2_T3_mT4_P12ihipStream_tbEUlT_E1_NS1_11comp_targetILNS1_3genE4ELNS1_11target_archE910ELNS1_3gpuE8ELNS1_3repE0EEENS1_30default_config_static_selectorELNS0_4arch9wavefront6targetE0EEEvS14_
	.globl	_ZN7rocprim17ROCPRIM_400000_NS6detail17trampoline_kernelINS0_14default_configENS1_22reduce_config_selectorIN6thrust23THRUST_200600_302600_NS5tupleIblNS6_9null_typeES8_S8_S8_S8_S8_S8_S8_EEEEZNS1_11reduce_implILb1ES3_NS6_12zip_iteratorINS7_INS6_11hip_rocprim26transform_input_iterator_tIbNSD_35transform_pair_of_input_iterators_tIbNS6_6detail15normal_iteratorINS6_10device_ptrIKsEEEESL_NS6_8equal_toIsEEEENSG_9not_fun_tINSD_8identityEEEEENSD_19counting_iterator_tIlEES8_S8_S8_S8_S8_S8_S8_S8_EEEEPS9_S9_NSD_9__find_if7functorIS9_EEEE10hipError_tPvRmT1_T2_T3_mT4_P12ihipStream_tbEUlT_E1_NS1_11comp_targetILNS1_3genE4ELNS1_11target_archE910ELNS1_3gpuE8ELNS1_3repE0EEENS1_30default_config_static_selectorELNS0_4arch9wavefront6targetE0EEEvS14_
	.p2align	8
	.type	_ZN7rocprim17ROCPRIM_400000_NS6detail17trampoline_kernelINS0_14default_configENS1_22reduce_config_selectorIN6thrust23THRUST_200600_302600_NS5tupleIblNS6_9null_typeES8_S8_S8_S8_S8_S8_S8_EEEEZNS1_11reduce_implILb1ES3_NS6_12zip_iteratorINS7_INS6_11hip_rocprim26transform_input_iterator_tIbNSD_35transform_pair_of_input_iterators_tIbNS6_6detail15normal_iteratorINS6_10device_ptrIKsEEEESL_NS6_8equal_toIsEEEENSG_9not_fun_tINSD_8identityEEEEENSD_19counting_iterator_tIlEES8_S8_S8_S8_S8_S8_S8_S8_EEEEPS9_S9_NSD_9__find_if7functorIS9_EEEE10hipError_tPvRmT1_T2_T3_mT4_P12ihipStream_tbEUlT_E1_NS1_11comp_targetILNS1_3genE4ELNS1_11target_archE910ELNS1_3gpuE8ELNS1_3repE0EEENS1_30default_config_static_selectorELNS0_4arch9wavefront6targetE0EEEvS14_,@function
_ZN7rocprim17ROCPRIM_400000_NS6detail17trampoline_kernelINS0_14default_configENS1_22reduce_config_selectorIN6thrust23THRUST_200600_302600_NS5tupleIblNS6_9null_typeES8_S8_S8_S8_S8_S8_S8_EEEEZNS1_11reduce_implILb1ES3_NS6_12zip_iteratorINS7_INS6_11hip_rocprim26transform_input_iterator_tIbNSD_35transform_pair_of_input_iterators_tIbNS6_6detail15normal_iteratorINS6_10device_ptrIKsEEEESL_NS6_8equal_toIsEEEENSG_9not_fun_tINSD_8identityEEEEENSD_19counting_iterator_tIlEES8_S8_S8_S8_S8_S8_S8_S8_EEEEPS9_S9_NSD_9__find_if7functorIS9_EEEE10hipError_tPvRmT1_T2_T3_mT4_P12ihipStream_tbEUlT_E1_NS1_11comp_targetILNS1_3genE4ELNS1_11target_archE910ELNS1_3gpuE8ELNS1_3repE0EEENS1_30default_config_static_selectorELNS0_4arch9wavefront6targetE0EEEvS14_: ; @_ZN7rocprim17ROCPRIM_400000_NS6detail17trampoline_kernelINS0_14default_configENS1_22reduce_config_selectorIN6thrust23THRUST_200600_302600_NS5tupleIblNS6_9null_typeES8_S8_S8_S8_S8_S8_S8_EEEEZNS1_11reduce_implILb1ES3_NS6_12zip_iteratorINS7_INS6_11hip_rocprim26transform_input_iterator_tIbNSD_35transform_pair_of_input_iterators_tIbNS6_6detail15normal_iteratorINS6_10device_ptrIKsEEEESL_NS6_8equal_toIsEEEENSG_9not_fun_tINSD_8identityEEEEENSD_19counting_iterator_tIlEES8_S8_S8_S8_S8_S8_S8_S8_EEEEPS9_S9_NSD_9__find_if7functorIS9_EEEE10hipError_tPvRmT1_T2_T3_mT4_P12ihipStream_tbEUlT_E1_NS1_11comp_targetILNS1_3genE4ELNS1_11target_archE910ELNS1_3gpuE8ELNS1_3repE0EEENS1_30default_config_static_selectorELNS0_4arch9wavefront6targetE0EEEvS14_
; %bb.0:
	.section	.rodata,"a",@progbits
	.p2align	6, 0x0
	.amdhsa_kernel _ZN7rocprim17ROCPRIM_400000_NS6detail17trampoline_kernelINS0_14default_configENS1_22reduce_config_selectorIN6thrust23THRUST_200600_302600_NS5tupleIblNS6_9null_typeES8_S8_S8_S8_S8_S8_S8_EEEEZNS1_11reduce_implILb1ES3_NS6_12zip_iteratorINS7_INS6_11hip_rocprim26transform_input_iterator_tIbNSD_35transform_pair_of_input_iterators_tIbNS6_6detail15normal_iteratorINS6_10device_ptrIKsEEEESL_NS6_8equal_toIsEEEENSG_9not_fun_tINSD_8identityEEEEENSD_19counting_iterator_tIlEES8_S8_S8_S8_S8_S8_S8_S8_EEEEPS9_S9_NSD_9__find_if7functorIS9_EEEE10hipError_tPvRmT1_T2_T3_mT4_P12ihipStream_tbEUlT_E1_NS1_11comp_targetILNS1_3genE4ELNS1_11target_archE910ELNS1_3gpuE8ELNS1_3repE0EEENS1_30default_config_static_selectorELNS0_4arch9wavefront6targetE0EEEvS14_
		.amdhsa_group_segment_fixed_size 0
		.amdhsa_private_segment_fixed_size 0
		.amdhsa_kernarg_size 88
		.amdhsa_user_sgpr_count 2
		.amdhsa_user_sgpr_dispatch_ptr 0
		.amdhsa_user_sgpr_queue_ptr 0
		.amdhsa_user_sgpr_kernarg_segment_ptr 1
		.amdhsa_user_sgpr_dispatch_id 0
		.amdhsa_user_sgpr_kernarg_preload_length 0
		.amdhsa_user_sgpr_kernarg_preload_offset 0
		.amdhsa_user_sgpr_private_segment_size 0
		.amdhsa_wavefront_size32 1
		.amdhsa_uses_dynamic_stack 0
		.amdhsa_enable_private_segment 0
		.amdhsa_system_sgpr_workgroup_id_x 1
		.amdhsa_system_sgpr_workgroup_id_y 0
		.amdhsa_system_sgpr_workgroup_id_z 0
		.amdhsa_system_sgpr_workgroup_info 0
		.amdhsa_system_vgpr_workitem_id 0
		.amdhsa_next_free_vgpr 1
		.amdhsa_next_free_sgpr 1
		.amdhsa_named_barrier_count 0
		.amdhsa_reserve_vcc 0
		.amdhsa_float_round_mode_32 0
		.amdhsa_float_round_mode_16_64 0
		.amdhsa_float_denorm_mode_32 3
		.amdhsa_float_denorm_mode_16_64 3
		.amdhsa_fp16_overflow 0
		.amdhsa_memory_ordered 1
		.amdhsa_forward_progress 1
		.amdhsa_inst_pref_size 0
		.amdhsa_round_robin_scheduling 0
		.amdhsa_exception_fp_ieee_invalid_op 0
		.amdhsa_exception_fp_denorm_src 0
		.amdhsa_exception_fp_ieee_div_zero 0
		.amdhsa_exception_fp_ieee_overflow 0
		.amdhsa_exception_fp_ieee_underflow 0
		.amdhsa_exception_fp_ieee_inexact 0
		.amdhsa_exception_int_div_zero 0
	.end_amdhsa_kernel
	.section	.text._ZN7rocprim17ROCPRIM_400000_NS6detail17trampoline_kernelINS0_14default_configENS1_22reduce_config_selectorIN6thrust23THRUST_200600_302600_NS5tupleIblNS6_9null_typeES8_S8_S8_S8_S8_S8_S8_EEEEZNS1_11reduce_implILb1ES3_NS6_12zip_iteratorINS7_INS6_11hip_rocprim26transform_input_iterator_tIbNSD_35transform_pair_of_input_iterators_tIbNS6_6detail15normal_iteratorINS6_10device_ptrIKsEEEESL_NS6_8equal_toIsEEEENSG_9not_fun_tINSD_8identityEEEEENSD_19counting_iterator_tIlEES8_S8_S8_S8_S8_S8_S8_S8_EEEEPS9_S9_NSD_9__find_if7functorIS9_EEEE10hipError_tPvRmT1_T2_T3_mT4_P12ihipStream_tbEUlT_E1_NS1_11comp_targetILNS1_3genE4ELNS1_11target_archE910ELNS1_3gpuE8ELNS1_3repE0EEENS1_30default_config_static_selectorELNS0_4arch9wavefront6targetE0EEEvS14_,"axG",@progbits,_ZN7rocprim17ROCPRIM_400000_NS6detail17trampoline_kernelINS0_14default_configENS1_22reduce_config_selectorIN6thrust23THRUST_200600_302600_NS5tupleIblNS6_9null_typeES8_S8_S8_S8_S8_S8_S8_EEEEZNS1_11reduce_implILb1ES3_NS6_12zip_iteratorINS7_INS6_11hip_rocprim26transform_input_iterator_tIbNSD_35transform_pair_of_input_iterators_tIbNS6_6detail15normal_iteratorINS6_10device_ptrIKsEEEESL_NS6_8equal_toIsEEEENSG_9not_fun_tINSD_8identityEEEEENSD_19counting_iterator_tIlEES8_S8_S8_S8_S8_S8_S8_S8_EEEEPS9_S9_NSD_9__find_if7functorIS9_EEEE10hipError_tPvRmT1_T2_T3_mT4_P12ihipStream_tbEUlT_E1_NS1_11comp_targetILNS1_3genE4ELNS1_11target_archE910ELNS1_3gpuE8ELNS1_3repE0EEENS1_30default_config_static_selectorELNS0_4arch9wavefront6targetE0EEEvS14_,comdat
.Lfunc_end309:
	.size	_ZN7rocprim17ROCPRIM_400000_NS6detail17trampoline_kernelINS0_14default_configENS1_22reduce_config_selectorIN6thrust23THRUST_200600_302600_NS5tupleIblNS6_9null_typeES8_S8_S8_S8_S8_S8_S8_EEEEZNS1_11reduce_implILb1ES3_NS6_12zip_iteratorINS7_INS6_11hip_rocprim26transform_input_iterator_tIbNSD_35transform_pair_of_input_iterators_tIbNS6_6detail15normal_iteratorINS6_10device_ptrIKsEEEESL_NS6_8equal_toIsEEEENSG_9not_fun_tINSD_8identityEEEEENSD_19counting_iterator_tIlEES8_S8_S8_S8_S8_S8_S8_S8_EEEEPS9_S9_NSD_9__find_if7functorIS9_EEEE10hipError_tPvRmT1_T2_T3_mT4_P12ihipStream_tbEUlT_E1_NS1_11comp_targetILNS1_3genE4ELNS1_11target_archE910ELNS1_3gpuE8ELNS1_3repE0EEENS1_30default_config_static_selectorELNS0_4arch9wavefront6targetE0EEEvS14_, .Lfunc_end309-_ZN7rocprim17ROCPRIM_400000_NS6detail17trampoline_kernelINS0_14default_configENS1_22reduce_config_selectorIN6thrust23THRUST_200600_302600_NS5tupleIblNS6_9null_typeES8_S8_S8_S8_S8_S8_S8_EEEEZNS1_11reduce_implILb1ES3_NS6_12zip_iteratorINS7_INS6_11hip_rocprim26transform_input_iterator_tIbNSD_35transform_pair_of_input_iterators_tIbNS6_6detail15normal_iteratorINS6_10device_ptrIKsEEEESL_NS6_8equal_toIsEEEENSG_9not_fun_tINSD_8identityEEEEENSD_19counting_iterator_tIlEES8_S8_S8_S8_S8_S8_S8_S8_EEEEPS9_S9_NSD_9__find_if7functorIS9_EEEE10hipError_tPvRmT1_T2_T3_mT4_P12ihipStream_tbEUlT_E1_NS1_11comp_targetILNS1_3genE4ELNS1_11target_archE910ELNS1_3gpuE8ELNS1_3repE0EEENS1_30default_config_static_selectorELNS0_4arch9wavefront6targetE0EEEvS14_
                                        ; -- End function
	.set _ZN7rocprim17ROCPRIM_400000_NS6detail17trampoline_kernelINS0_14default_configENS1_22reduce_config_selectorIN6thrust23THRUST_200600_302600_NS5tupleIblNS6_9null_typeES8_S8_S8_S8_S8_S8_S8_EEEEZNS1_11reduce_implILb1ES3_NS6_12zip_iteratorINS7_INS6_11hip_rocprim26transform_input_iterator_tIbNSD_35transform_pair_of_input_iterators_tIbNS6_6detail15normal_iteratorINS6_10device_ptrIKsEEEESL_NS6_8equal_toIsEEEENSG_9not_fun_tINSD_8identityEEEEENSD_19counting_iterator_tIlEES8_S8_S8_S8_S8_S8_S8_S8_EEEEPS9_S9_NSD_9__find_if7functorIS9_EEEE10hipError_tPvRmT1_T2_T3_mT4_P12ihipStream_tbEUlT_E1_NS1_11comp_targetILNS1_3genE4ELNS1_11target_archE910ELNS1_3gpuE8ELNS1_3repE0EEENS1_30default_config_static_selectorELNS0_4arch9wavefront6targetE0EEEvS14_.num_vgpr, 0
	.set _ZN7rocprim17ROCPRIM_400000_NS6detail17trampoline_kernelINS0_14default_configENS1_22reduce_config_selectorIN6thrust23THRUST_200600_302600_NS5tupleIblNS6_9null_typeES8_S8_S8_S8_S8_S8_S8_EEEEZNS1_11reduce_implILb1ES3_NS6_12zip_iteratorINS7_INS6_11hip_rocprim26transform_input_iterator_tIbNSD_35transform_pair_of_input_iterators_tIbNS6_6detail15normal_iteratorINS6_10device_ptrIKsEEEESL_NS6_8equal_toIsEEEENSG_9not_fun_tINSD_8identityEEEEENSD_19counting_iterator_tIlEES8_S8_S8_S8_S8_S8_S8_S8_EEEEPS9_S9_NSD_9__find_if7functorIS9_EEEE10hipError_tPvRmT1_T2_T3_mT4_P12ihipStream_tbEUlT_E1_NS1_11comp_targetILNS1_3genE4ELNS1_11target_archE910ELNS1_3gpuE8ELNS1_3repE0EEENS1_30default_config_static_selectorELNS0_4arch9wavefront6targetE0EEEvS14_.num_agpr, 0
	.set _ZN7rocprim17ROCPRIM_400000_NS6detail17trampoline_kernelINS0_14default_configENS1_22reduce_config_selectorIN6thrust23THRUST_200600_302600_NS5tupleIblNS6_9null_typeES8_S8_S8_S8_S8_S8_S8_EEEEZNS1_11reduce_implILb1ES3_NS6_12zip_iteratorINS7_INS6_11hip_rocprim26transform_input_iterator_tIbNSD_35transform_pair_of_input_iterators_tIbNS6_6detail15normal_iteratorINS6_10device_ptrIKsEEEESL_NS6_8equal_toIsEEEENSG_9not_fun_tINSD_8identityEEEEENSD_19counting_iterator_tIlEES8_S8_S8_S8_S8_S8_S8_S8_EEEEPS9_S9_NSD_9__find_if7functorIS9_EEEE10hipError_tPvRmT1_T2_T3_mT4_P12ihipStream_tbEUlT_E1_NS1_11comp_targetILNS1_3genE4ELNS1_11target_archE910ELNS1_3gpuE8ELNS1_3repE0EEENS1_30default_config_static_selectorELNS0_4arch9wavefront6targetE0EEEvS14_.numbered_sgpr, 0
	.set _ZN7rocprim17ROCPRIM_400000_NS6detail17trampoline_kernelINS0_14default_configENS1_22reduce_config_selectorIN6thrust23THRUST_200600_302600_NS5tupleIblNS6_9null_typeES8_S8_S8_S8_S8_S8_S8_EEEEZNS1_11reduce_implILb1ES3_NS6_12zip_iteratorINS7_INS6_11hip_rocprim26transform_input_iterator_tIbNSD_35transform_pair_of_input_iterators_tIbNS6_6detail15normal_iteratorINS6_10device_ptrIKsEEEESL_NS6_8equal_toIsEEEENSG_9not_fun_tINSD_8identityEEEEENSD_19counting_iterator_tIlEES8_S8_S8_S8_S8_S8_S8_S8_EEEEPS9_S9_NSD_9__find_if7functorIS9_EEEE10hipError_tPvRmT1_T2_T3_mT4_P12ihipStream_tbEUlT_E1_NS1_11comp_targetILNS1_3genE4ELNS1_11target_archE910ELNS1_3gpuE8ELNS1_3repE0EEENS1_30default_config_static_selectorELNS0_4arch9wavefront6targetE0EEEvS14_.num_named_barrier, 0
	.set _ZN7rocprim17ROCPRIM_400000_NS6detail17trampoline_kernelINS0_14default_configENS1_22reduce_config_selectorIN6thrust23THRUST_200600_302600_NS5tupleIblNS6_9null_typeES8_S8_S8_S8_S8_S8_S8_EEEEZNS1_11reduce_implILb1ES3_NS6_12zip_iteratorINS7_INS6_11hip_rocprim26transform_input_iterator_tIbNSD_35transform_pair_of_input_iterators_tIbNS6_6detail15normal_iteratorINS6_10device_ptrIKsEEEESL_NS6_8equal_toIsEEEENSG_9not_fun_tINSD_8identityEEEEENSD_19counting_iterator_tIlEES8_S8_S8_S8_S8_S8_S8_S8_EEEEPS9_S9_NSD_9__find_if7functorIS9_EEEE10hipError_tPvRmT1_T2_T3_mT4_P12ihipStream_tbEUlT_E1_NS1_11comp_targetILNS1_3genE4ELNS1_11target_archE910ELNS1_3gpuE8ELNS1_3repE0EEENS1_30default_config_static_selectorELNS0_4arch9wavefront6targetE0EEEvS14_.private_seg_size, 0
	.set _ZN7rocprim17ROCPRIM_400000_NS6detail17trampoline_kernelINS0_14default_configENS1_22reduce_config_selectorIN6thrust23THRUST_200600_302600_NS5tupleIblNS6_9null_typeES8_S8_S8_S8_S8_S8_S8_EEEEZNS1_11reduce_implILb1ES3_NS6_12zip_iteratorINS7_INS6_11hip_rocprim26transform_input_iterator_tIbNSD_35transform_pair_of_input_iterators_tIbNS6_6detail15normal_iteratorINS6_10device_ptrIKsEEEESL_NS6_8equal_toIsEEEENSG_9not_fun_tINSD_8identityEEEEENSD_19counting_iterator_tIlEES8_S8_S8_S8_S8_S8_S8_S8_EEEEPS9_S9_NSD_9__find_if7functorIS9_EEEE10hipError_tPvRmT1_T2_T3_mT4_P12ihipStream_tbEUlT_E1_NS1_11comp_targetILNS1_3genE4ELNS1_11target_archE910ELNS1_3gpuE8ELNS1_3repE0EEENS1_30default_config_static_selectorELNS0_4arch9wavefront6targetE0EEEvS14_.uses_vcc, 0
	.set _ZN7rocprim17ROCPRIM_400000_NS6detail17trampoline_kernelINS0_14default_configENS1_22reduce_config_selectorIN6thrust23THRUST_200600_302600_NS5tupleIblNS6_9null_typeES8_S8_S8_S8_S8_S8_S8_EEEEZNS1_11reduce_implILb1ES3_NS6_12zip_iteratorINS7_INS6_11hip_rocprim26transform_input_iterator_tIbNSD_35transform_pair_of_input_iterators_tIbNS6_6detail15normal_iteratorINS6_10device_ptrIKsEEEESL_NS6_8equal_toIsEEEENSG_9not_fun_tINSD_8identityEEEEENSD_19counting_iterator_tIlEES8_S8_S8_S8_S8_S8_S8_S8_EEEEPS9_S9_NSD_9__find_if7functorIS9_EEEE10hipError_tPvRmT1_T2_T3_mT4_P12ihipStream_tbEUlT_E1_NS1_11comp_targetILNS1_3genE4ELNS1_11target_archE910ELNS1_3gpuE8ELNS1_3repE0EEENS1_30default_config_static_selectorELNS0_4arch9wavefront6targetE0EEEvS14_.uses_flat_scratch, 0
	.set _ZN7rocprim17ROCPRIM_400000_NS6detail17trampoline_kernelINS0_14default_configENS1_22reduce_config_selectorIN6thrust23THRUST_200600_302600_NS5tupleIblNS6_9null_typeES8_S8_S8_S8_S8_S8_S8_EEEEZNS1_11reduce_implILb1ES3_NS6_12zip_iteratorINS7_INS6_11hip_rocprim26transform_input_iterator_tIbNSD_35transform_pair_of_input_iterators_tIbNS6_6detail15normal_iteratorINS6_10device_ptrIKsEEEESL_NS6_8equal_toIsEEEENSG_9not_fun_tINSD_8identityEEEEENSD_19counting_iterator_tIlEES8_S8_S8_S8_S8_S8_S8_S8_EEEEPS9_S9_NSD_9__find_if7functorIS9_EEEE10hipError_tPvRmT1_T2_T3_mT4_P12ihipStream_tbEUlT_E1_NS1_11comp_targetILNS1_3genE4ELNS1_11target_archE910ELNS1_3gpuE8ELNS1_3repE0EEENS1_30default_config_static_selectorELNS0_4arch9wavefront6targetE0EEEvS14_.has_dyn_sized_stack, 0
	.set _ZN7rocprim17ROCPRIM_400000_NS6detail17trampoline_kernelINS0_14default_configENS1_22reduce_config_selectorIN6thrust23THRUST_200600_302600_NS5tupleIblNS6_9null_typeES8_S8_S8_S8_S8_S8_S8_EEEEZNS1_11reduce_implILb1ES3_NS6_12zip_iteratorINS7_INS6_11hip_rocprim26transform_input_iterator_tIbNSD_35transform_pair_of_input_iterators_tIbNS6_6detail15normal_iteratorINS6_10device_ptrIKsEEEESL_NS6_8equal_toIsEEEENSG_9not_fun_tINSD_8identityEEEEENSD_19counting_iterator_tIlEES8_S8_S8_S8_S8_S8_S8_S8_EEEEPS9_S9_NSD_9__find_if7functorIS9_EEEE10hipError_tPvRmT1_T2_T3_mT4_P12ihipStream_tbEUlT_E1_NS1_11comp_targetILNS1_3genE4ELNS1_11target_archE910ELNS1_3gpuE8ELNS1_3repE0EEENS1_30default_config_static_selectorELNS0_4arch9wavefront6targetE0EEEvS14_.has_recursion, 0
	.set _ZN7rocprim17ROCPRIM_400000_NS6detail17trampoline_kernelINS0_14default_configENS1_22reduce_config_selectorIN6thrust23THRUST_200600_302600_NS5tupleIblNS6_9null_typeES8_S8_S8_S8_S8_S8_S8_EEEEZNS1_11reduce_implILb1ES3_NS6_12zip_iteratorINS7_INS6_11hip_rocprim26transform_input_iterator_tIbNSD_35transform_pair_of_input_iterators_tIbNS6_6detail15normal_iteratorINS6_10device_ptrIKsEEEESL_NS6_8equal_toIsEEEENSG_9not_fun_tINSD_8identityEEEEENSD_19counting_iterator_tIlEES8_S8_S8_S8_S8_S8_S8_S8_EEEEPS9_S9_NSD_9__find_if7functorIS9_EEEE10hipError_tPvRmT1_T2_T3_mT4_P12ihipStream_tbEUlT_E1_NS1_11comp_targetILNS1_3genE4ELNS1_11target_archE910ELNS1_3gpuE8ELNS1_3repE0EEENS1_30default_config_static_selectorELNS0_4arch9wavefront6targetE0EEEvS14_.has_indirect_call, 0
	.section	.AMDGPU.csdata,"",@progbits
; Kernel info:
; codeLenInByte = 0
; TotalNumSgprs: 0
; NumVgprs: 0
; ScratchSize: 0
; MemoryBound: 0
; FloatMode: 240
; IeeeMode: 1
; LDSByteSize: 0 bytes/workgroup (compile time only)
; SGPRBlocks: 0
; VGPRBlocks: 0
; NumSGPRsForWavesPerEU: 1
; NumVGPRsForWavesPerEU: 1
; NamedBarCnt: 0
; Occupancy: 16
; WaveLimiterHint : 0
; COMPUTE_PGM_RSRC2:SCRATCH_EN: 0
; COMPUTE_PGM_RSRC2:USER_SGPR: 2
; COMPUTE_PGM_RSRC2:TRAP_HANDLER: 0
; COMPUTE_PGM_RSRC2:TGID_X_EN: 1
; COMPUTE_PGM_RSRC2:TGID_Y_EN: 0
; COMPUTE_PGM_RSRC2:TGID_Z_EN: 0
; COMPUTE_PGM_RSRC2:TIDIG_COMP_CNT: 0
	.section	.text._ZN7rocprim17ROCPRIM_400000_NS6detail17trampoline_kernelINS0_14default_configENS1_22reduce_config_selectorIN6thrust23THRUST_200600_302600_NS5tupleIblNS6_9null_typeES8_S8_S8_S8_S8_S8_S8_EEEEZNS1_11reduce_implILb1ES3_NS6_12zip_iteratorINS7_INS6_11hip_rocprim26transform_input_iterator_tIbNSD_35transform_pair_of_input_iterators_tIbNS6_6detail15normal_iteratorINS6_10device_ptrIKsEEEESL_NS6_8equal_toIsEEEENSG_9not_fun_tINSD_8identityEEEEENSD_19counting_iterator_tIlEES8_S8_S8_S8_S8_S8_S8_S8_EEEEPS9_S9_NSD_9__find_if7functorIS9_EEEE10hipError_tPvRmT1_T2_T3_mT4_P12ihipStream_tbEUlT_E1_NS1_11comp_targetILNS1_3genE3ELNS1_11target_archE908ELNS1_3gpuE7ELNS1_3repE0EEENS1_30default_config_static_selectorELNS0_4arch9wavefront6targetE0EEEvS14_,"axG",@progbits,_ZN7rocprim17ROCPRIM_400000_NS6detail17trampoline_kernelINS0_14default_configENS1_22reduce_config_selectorIN6thrust23THRUST_200600_302600_NS5tupleIblNS6_9null_typeES8_S8_S8_S8_S8_S8_S8_EEEEZNS1_11reduce_implILb1ES3_NS6_12zip_iteratorINS7_INS6_11hip_rocprim26transform_input_iterator_tIbNSD_35transform_pair_of_input_iterators_tIbNS6_6detail15normal_iteratorINS6_10device_ptrIKsEEEESL_NS6_8equal_toIsEEEENSG_9not_fun_tINSD_8identityEEEEENSD_19counting_iterator_tIlEES8_S8_S8_S8_S8_S8_S8_S8_EEEEPS9_S9_NSD_9__find_if7functorIS9_EEEE10hipError_tPvRmT1_T2_T3_mT4_P12ihipStream_tbEUlT_E1_NS1_11comp_targetILNS1_3genE3ELNS1_11target_archE908ELNS1_3gpuE7ELNS1_3repE0EEENS1_30default_config_static_selectorELNS0_4arch9wavefront6targetE0EEEvS14_,comdat
	.protected	_ZN7rocprim17ROCPRIM_400000_NS6detail17trampoline_kernelINS0_14default_configENS1_22reduce_config_selectorIN6thrust23THRUST_200600_302600_NS5tupleIblNS6_9null_typeES8_S8_S8_S8_S8_S8_S8_EEEEZNS1_11reduce_implILb1ES3_NS6_12zip_iteratorINS7_INS6_11hip_rocprim26transform_input_iterator_tIbNSD_35transform_pair_of_input_iterators_tIbNS6_6detail15normal_iteratorINS6_10device_ptrIKsEEEESL_NS6_8equal_toIsEEEENSG_9not_fun_tINSD_8identityEEEEENSD_19counting_iterator_tIlEES8_S8_S8_S8_S8_S8_S8_S8_EEEEPS9_S9_NSD_9__find_if7functorIS9_EEEE10hipError_tPvRmT1_T2_T3_mT4_P12ihipStream_tbEUlT_E1_NS1_11comp_targetILNS1_3genE3ELNS1_11target_archE908ELNS1_3gpuE7ELNS1_3repE0EEENS1_30default_config_static_selectorELNS0_4arch9wavefront6targetE0EEEvS14_ ; -- Begin function _ZN7rocprim17ROCPRIM_400000_NS6detail17trampoline_kernelINS0_14default_configENS1_22reduce_config_selectorIN6thrust23THRUST_200600_302600_NS5tupleIblNS6_9null_typeES8_S8_S8_S8_S8_S8_S8_EEEEZNS1_11reduce_implILb1ES3_NS6_12zip_iteratorINS7_INS6_11hip_rocprim26transform_input_iterator_tIbNSD_35transform_pair_of_input_iterators_tIbNS6_6detail15normal_iteratorINS6_10device_ptrIKsEEEESL_NS6_8equal_toIsEEEENSG_9not_fun_tINSD_8identityEEEEENSD_19counting_iterator_tIlEES8_S8_S8_S8_S8_S8_S8_S8_EEEEPS9_S9_NSD_9__find_if7functorIS9_EEEE10hipError_tPvRmT1_T2_T3_mT4_P12ihipStream_tbEUlT_E1_NS1_11comp_targetILNS1_3genE3ELNS1_11target_archE908ELNS1_3gpuE7ELNS1_3repE0EEENS1_30default_config_static_selectorELNS0_4arch9wavefront6targetE0EEEvS14_
	.globl	_ZN7rocprim17ROCPRIM_400000_NS6detail17trampoline_kernelINS0_14default_configENS1_22reduce_config_selectorIN6thrust23THRUST_200600_302600_NS5tupleIblNS6_9null_typeES8_S8_S8_S8_S8_S8_S8_EEEEZNS1_11reduce_implILb1ES3_NS6_12zip_iteratorINS7_INS6_11hip_rocprim26transform_input_iterator_tIbNSD_35transform_pair_of_input_iterators_tIbNS6_6detail15normal_iteratorINS6_10device_ptrIKsEEEESL_NS6_8equal_toIsEEEENSG_9not_fun_tINSD_8identityEEEEENSD_19counting_iterator_tIlEES8_S8_S8_S8_S8_S8_S8_S8_EEEEPS9_S9_NSD_9__find_if7functorIS9_EEEE10hipError_tPvRmT1_T2_T3_mT4_P12ihipStream_tbEUlT_E1_NS1_11comp_targetILNS1_3genE3ELNS1_11target_archE908ELNS1_3gpuE7ELNS1_3repE0EEENS1_30default_config_static_selectorELNS0_4arch9wavefront6targetE0EEEvS14_
	.p2align	8
	.type	_ZN7rocprim17ROCPRIM_400000_NS6detail17trampoline_kernelINS0_14default_configENS1_22reduce_config_selectorIN6thrust23THRUST_200600_302600_NS5tupleIblNS6_9null_typeES8_S8_S8_S8_S8_S8_S8_EEEEZNS1_11reduce_implILb1ES3_NS6_12zip_iteratorINS7_INS6_11hip_rocprim26transform_input_iterator_tIbNSD_35transform_pair_of_input_iterators_tIbNS6_6detail15normal_iteratorINS6_10device_ptrIKsEEEESL_NS6_8equal_toIsEEEENSG_9not_fun_tINSD_8identityEEEEENSD_19counting_iterator_tIlEES8_S8_S8_S8_S8_S8_S8_S8_EEEEPS9_S9_NSD_9__find_if7functorIS9_EEEE10hipError_tPvRmT1_T2_T3_mT4_P12ihipStream_tbEUlT_E1_NS1_11comp_targetILNS1_3genE3ELNS1_11target_archE908ELNS1_3gpuE7ELNS1_3repE0EEENS1_30default_config_static_selectorELNS0_4arch9wavefront6targetE0EEEvS14_,@function
_ZN7rocprim17ROCPRIM_400000_NS6detail17trampoline_kernelINS0_14default_configENS1_22reduce_config_selectorIN6thrust23THRUST_200600_302600_NS5tupleIblNS6_9null_typeES8_S8_S8_S8_S8_S8_S8_EEEEZNS1_11reduce_implILb1ES3_NS6_12zip_iteratorINS7_INS6_11hip_rocprim26transform_input_iterator_tIbNSD_35transform_pair_of_input_iterators_tIbNS6_6detail15normal_iteratorINS6_10device_ptrIKsEEEESL_NS6_8equal_toIsEEEENSG_9not_fun_tINSD_8identityEEEEENSD_19counting_iterator_tIlEES8_S8_S8_S8_S8_S8_S8_S8_EEEEPS9_S9_NSD_9__find_if7functorIS9_EEEE10hipError_tPvRmT1_T2_T3_mT4_P12ihipStream_tbEUlT_E1_NS1_11comp_targetILNS1_3genE3ELNS1_11target_archE908ELNS1_3gpuE7ELNS1_3repE0EEENS1_30default_config_static_selectorELNS0_4arch9wavefront6targetE0EEEvS14_: ; @_ZN7rocprim17ROCPRIM_400000_NS6detail17trampoline_kernelINS0_14default_configENS1_22reduce_config_selectorIN6thrust23THRUST_200600_302600_NS5tupleIblNS6_9null_typeES8_S8_S8_S8_S8_S8_S8_EEEEZNS1_11reduce_implILb1ES3_NS6_12zip_iteratorINS7_INS6_11hip_rocprim26transform_input_iterator_tIbNSD_35transform_pair_of_input_iterators_tIbNS6_6detail15normal_iteratorINS6_10device_ptrIKsEEEESL_NS6_8equal_toIsEEEENSG_9not_fun_tINSD_8identityEEEEENSD_19counting_iterator_tIlEES8_S8_S8_S8_S8_S8_S8_S8_EEEEPS9_S9_NSD_9__find_if7functorIS9_EEEE10hipError_tPvRmT1_T2_T3_mT4_P12ihipStream_tbEUlT_E1_NS1_11comp_targetILNS1_3genE3ELNS1_11target_archE908ELNS1_3gpuE7ELNS1_3repE0EEENS1_30default_config_static_selectorELNS0_4arch9wavefront6targetE0EEEvS14_
; %bb.0:
	.section	.rodata,"a",@progbits
	.p2align	6, 0x0
	.amdhsa_kernel _ZN7rocprim17ROCPRIM_400000_NS6detail17trampoline_kernelINS0_14default_configENS1_22reduce_config_selectorIN6thrust23THRUST_200600_302600_NS5tupleIblNS6_9null_typeES8_S8_S8_S8_S8_S8_S8_EEEEZNS1_11reduce_implILb1ES3_NS6_12zip_iteratorINS7_INS6_11hip_rocprim26transform_input_iterator_tIbNSD_35transform_pair_of_input_iterators_tIbNS6_6detail15normal_iteratorINS6_10device_ptrIKsEEEESL_NS6_8equal_toIsEEEENSG_9not_fun_tINSD_8identityEEEEENSD_19counting_iterator_tIlEES8_S8_S8_S8_S8_S8_S8_S8_EEEEPS9_S9_NSD_9__find_if7functorIS9_EEEE10hipError_tPvRmT1_T2_T3_mT4_P12ihipStream_tbEUlT_E1_NS1_11comp_targetILNS1_3genE3ELNS1_11target_archE908ELNS1_3gpuE7ELNS1_3repE0EEENS1_30default_config_static_selectorELNS0_4arch9wavefront6targetE0EEEvS14_
		.amdhsa_group_segment_fixed_size 0
		.amdhsa_private_segment_fixed_size 0
		.amdhsa_kernarg_size 88
		.amdhsa_user_sgpr_count 2
		.amdhsa_user_sgpr_dispatch_ptr 0
		.amdhsa_user_sgpr_queue_ptr 0
		.amdhsa_user_sgpr_kernarg_segment_ptr 1
		.amdhsa_user_sgpr_dispatch_id 0
		.amdhsa_user_sgpr_kernarg_preload_length 0
		.amdhsa_user_sgpr_kernarg_preload_offset 0
		.amdhsa_user_sgpr_private_segment_size 0
		.amdhsa_wavefront_size32 1
		.amdhsa_uses_dynamic_stack 0
		.amdhsa_enable_private_segment 0
		.amdhsa_system_sgpr_workgroup_id_x 1
		.amdhsa_system_sgpr_workgroup_id_y 0
		.amdhsa_system_sgpr_workgroup_id_z 0
		.amdhsa_system_sgpr_workgroup_info 0
		.amdhsa_system_vgpr_workitem_id 0
		.amdhsa_next_free_vgpr 1
		.amdhsa_next_free_sgpr 1
		.amdhsa_named_barrier_count 0
		.amdhsa_reserve_vcc 0
		.amdhsa_float_round_mode_32 0
		.amdhsa_float_round_mode_16_64 0
		.amdhsa_float_denorm_mode_32 3
		.amdhsa_float_denorm_mode_16_64 3
		.amdhsa_fp16_overflow 0
		.amdhsa_memory_ordered 1
		.amdhsa_forward_progress 1
		.amdhsa_inst_pref_size 0
		.amdhsa_round_robin_scheduling 0
		.amdhsa_exception_fp_ieee_invalid_op 0
		.amdhsa_exception_fp_denorm_src 0
		.amdhsa_exception_fp_ieee_div_zero 0
		.amdhsa_exception_fp_ieee_overflow 0
		.amdhsa_exception_fp_ieee_underflow 0
		.amdhsa_exception_fp_ieee_inexact 0
		.amdhsa_exception_int_div_zero 0
	.end_amdhsa_kernel
	.section	.text._ZN7rocprim17ROCPRIM_400000_NS6detail17trampoline_kernelINS0_14default_configENS1_22reduce_config_selectorIN6thrust23THRUST_200600_302600_NS5tupleIblNS6_9null_typeES8_S8_S8_S8_S8_S8_S8_EEEEZNS1_11reduce_implILb1ES3_NS6_12zip_iteratorINS7_INS6_11hip_rocprim26transform_input_iterator_tIbNSD_35transform_pair_of_input_iterators_tIbNS6_6detail15normal_iteratorINS6_10device_ptrIKsEEEESL_NS6_8equal_toIsEEEENSG_9not_fun_tINSD_8identityEEEEENSD_19counting_iterator_tIlEES8_S8_S8_S8_S8_S8_S8_S8_EEEEPS9_S9_NSD_9__find_if7functorIS9_EEEE10hipError_tPvRmT1_T2_T3_mT4_P12ihipStream_tbEUlT_E1_NS1_11comp_targetILNS1_3genE3ELNS1_11target_archE908ELNS1_3gpuE7ELNS1_3repE0EEENS1_30default_config_static_selectorELNS0_4arch9wavefront6targetE0EEEvS14_,"axG",@progbits,_ZN7rocprim17ROCPRIM_400000_NS6detail17trampoline_kernelINS0_14default_configENS1_22reduce_config_selectorIN6thrust23THRUST_200600_302600_NS5tupleIblNS6_9null_typeES8_S8_S8_S8_S8_S8_S8_EEEEZNS1_11reduce_implILb1ES3_NS6_12zip_iteratorINS7_INS6_11hip_rocprim26transform_input_iterator_tIbNSD_35transform_pair_of_input_iterators_tIbNS6_6detail15normal_iteratorINS6_10device_ptrIKsEEEESL_NS6_8equal_toIsEEEENSG_9not_fun_tINSD_8identityEEEEENSD_19counting_iterator_tIlEES8_S8_S8_S8_S8_S8_S8_S8_EEEEPS9_S9_NSD_9__find_if7functorIS9_EEEE10hipError_tPvRmT1_T2_T3_mT4_P12ihipStream_tbEUlT_E1_NS1_11comp_targetILNS1_3genE3ELNS1_11target_archE908ELNS1_3gpuE7ELNS1_3repE0EEENS1_30default_config_static_selectorELNS0_4arch9wavefront6targetE0EEEvS14_,comdat
.Lfunc_end310:
	.size	_ZN7rocprim17ROCPRIM_400000_NS6detail17trampoline_kernelINS0_14default_configENS1_22reduce_config_selectorIN6thrust23THRUST_200600_302600_NS5tupleIblNS6_9null_typeES8_S8_S8_S8_S8_S8_S8_EEEEZNS1_11reduce_implILb1ES3_NS6_12zip_iteratorINS7_INS6_11hip_rocprim26transform_input_iterator_tIbNSD_35transform_pair_of_input_iterators_tIbNS6_6detail15normal_iteratorINS6_10device_ptrIKsEEEESL_NS6_8equal_toIsEEEENSG_9not_fun_tINSD_8identityEEEEENSD_19counting_iterator_tIlEES8_S8_S8_S8_S8_S8_S8_S8_EEEEPS9_S9_NSD_9__find_if7functorIS9_EEEE10hipError_tPvRmT1_T2_T3_mT4_P12ihipStream_tbEUlT_E1_NS1_11comp_targetILNS1_3genE3ELNS1_11target_archE908ELNS1_3gpuE7ELNS1_3repE0EEENS1_30default_config_static_selectorELNS0_4arch9wavefront6targetE0EEEvS14_, .Lfunc_end310-_ZN7rocprim17ROCPRIM_400000_NS6detail17trampoline_kernelINS0_14default_configENS1_22reduce_config_selectorIN6thrust23THRUST_200600_302600_NS5tupleIblNS6_9null_typeES8_S8_S8_S8_S8_S8_S8_EEEEZNS1_11reduce_implILb1ES3_NS6_12zip_iteratorINS7_INS6_11hip_rocprim26transform_input_iterator_tIbNSD_35transform_pair_of_input_iterators_tIbNS6_6detail15normal_iteratorINS6_10device_ptrIKsEEEESL_NS6_8equal_toIsEEEENSG_9not_fun_tINSD_8identityEEEEENSD_19counting_iterator_tIlEES8_S8_S8_S8_S8_S8_S8_S8_EEEEPS9_S9_NSD_9__find_if7functorIS9_EEEE10hipError_tPvRmT1_T2_T3_mT4_P12ihipStream_tbEUlT_E1_NS1_11comp_targetILNS1_3genE3ELNS1_11target_archE908ELNS1_3gpuE7ELNS1_3repE0EEENS1_30default_config_static_selectorELNS0_4arch9wavefront6targetE0EEEvS14_
                                        ; -- End function
	.set _ZN7rocprim17ROCPRIM_400000_NS6detail17trampoline_kernelINS0_14default_configENS1_22reduce_config_selectorIN6thrust23THRUST_200600_302600_NS5tupleIblNS6_9null_typeES8_S8_S8_S8_S8_S8_S8_EEEEZNS1_11reduce_implILb1ES3_NS6_12zip_iteratorINS7_INS6_11hip_rocprim26transform_input_iterator_tIbNSD_35transform_pair_of_input_iterators_tIbNS6_6detail15normal_iteratorINS6_10device_ptrIKsEEEESL_NS6_8equal_toIsEEEENSG_9not_fun_tINSD_8identityEEEEENSD_19counting_iterator_tIlEES8_S8_S8_S8_S8_S8_S8_S8_EEEEPS9_S9_NSD_9__find_if7functorIS9_EEEE10hipError_tPvRmT1_T2_T3_mT4_P12ihipStream_tbEUlT_E1_NS1_11comp_targetILNS1_3genE3ELNS1_11target_archE908ELNS1_3gpuE7ELNS1_3repE0EEENS1_30default_config_static_selectorELNS0_4arch9wavefront6targetE0EEEvS14_.num_vgpr, 0
	.set _ZN7rocprim17ROCPRIM_400000_NS6detail17trampoline_kernelINS0_14default_configENS1_22reduce_config_selectorIN6thrust23THRUST_200600_302600_NS5tupleIblNS6_9null_typeES8_S8_S8_S8_S8_S8_S8_EEEEZNS1_11reduce_implILb1ES3_NS6_12zip_iteratorINS7_INS6_11hip_rocprim26transform_input_iterator_tIbNSD_35transform_pair_of_input_iterators_tIbNS6_6detail15normal_iteratorINS6_10device_ptrIKsEEEESL_NS6_8equal_toIsEEEENSG_9not_fun_tINSD_8identityEEEEENSD_19counting_iterator_tIlEES8_S8_S8_S8_S8_S8_S8_S8_EEEEPS9_S9_NSD_9__find_if7functorIS9_EEEE10hipError_tPvRmT1_T2_T3_mT4_P12ihipStream_tbEUlT_E1_NS1_11comp_targetILNS1_3genE3ELNS1_11target_archE908ELNS1_3gpuE7ELNS1_3repE0EEENS1_30default_config_static_selectorELNS0_4arch9wavefront6targetE0EEEvS14_.num_agpr, 0
	.set _ZN7rocprim17ROCPRIM_400000_NS6detail17trampoline_kernelINS0_14default_configENS1_22reduce_config_selectorIN6thrust23THRUST_200600_302600_NS5tupleIblNS6_9null_typeES8_S8_S8_S8_S8_S8_S8_EEEEZNS1_11reduce_implILb1ES3_NS6_12zip_iteratorINS7_INS6_11hip_rocprim26transform_input_iterator_tIbNSD_35transform_pair_of_input_iterators_tIbNS6_6detail15normal_iteratorINS6_10device_ptrIKsEEEESL_NS6_8equal_toIsEEEENSG_9not_fun_tINSD_8identityEEEEENSD_19counting_iterator_tIlEES8_S8_S8_S8_S8_S8_S8_S8_EEEEPS9_S9_NSD_9__find_if7functorIS9_EEEE10hipError_tPvRmT1_T2_T3_mT4_P12ihipStream_tbEUlT_E1_NS1_11comp_targetILNS1_3genE3ELNS1_11target_archE908ELNS1_3gpuE7ELNS1_3repE0EEENS1_30default_config_static_selectorELNS0_4arch9wavefront6targetE0EEEvS14_.numbered_sgpr, 0
	.set _ZN7rocprim17ROCPRIM_400000_NS6detail17trampoline_kernelINS0_14default_configENS1_22reduce_config_selectorIN6thrust23THRUST_200600_302600_NS5tupleIblNS6_9null_typeES8_S8_S8_S8_S8_S8_S8_EEEEZNS1_11reduce_implILb1ES3_NS6_12zip_iteratorINS7_INS6_11hip_rocprim26transform_input_iterator_tIbNSD_35transform_pair_of_input_iterators_tIbNS6_6detail15normal_iteratorINS6_10device_ptrIKsEEEESL_NS6_8equal_toIsEEEENSG_9not_fun_tINSD_8identityEEEEENSD_19counting_iterator_tIlEES8_S8_S8_S8_S8_S8_S8_S8_EEEEPS9_S9_NSD_9__find_if7functorIS9_EEEE10hipError_tPvRmT1_T2_T3_mT4_P12ihipStream_tbEUlT_E1_NS1_11comp_targetILNS1_3genE3ELNS1_11target_archE908ELNS1_3gpuE7ELNS1_3repE0EEENS1_30default_config_static_selectorELNS0_4arch9wavefront6targetE0EEEvS14_.num_named_barrier, 0
	.set _ZN7rocprim17ROCPRIM_400000_NS6detail17trampoline_kernelINS0_14default_configENS1_22reduce_config_selectorIN6thrust23THRUST_200600_302600_NS5tupleIblNS6_9null_typeES8_S8_S8_S8_S8_S8_S8_EEEEZNS1_11reduce_implILb1ES3_NS6_12zip_iteratorINS7_INS6_11hip_rocprim26transform_input_iterator_tIbNSD_35transform_pair_of_input_iterators_tIbNS6_6detail15normal_iteratorINS6_10device_ptrIKsEEEESL_NS6_8equal_toIsEEEENSG_9not_fun_tINSD_8identityEEEEENSD_19counting_iterator_tIlEES8_S8_S8_S8_S8_S8_S8_S8_EEEEPS9_S9_NSD_9__find_if7functorIS9_EEEE10hipError_tPvRmT1_T2_T3_mT4_P12ihipStream_tbEUlT_E1_NS1_11comp_targetILNS1_3genE3ELNS1_11target_archE908ELNS1_3gpuE7ELNS1_3repE0EEENS1_30default_config_static_selectorELNS0_4arch9wavefront6targetE0EEEvS14_.private_seg_size, 0
	.set _ZN7rocprim17ROCPRIM_400000_NS6detail17trampoline_kernelINS0_14default_configENS1_22reduce_config_selectorIN6thrust23THRUST_200600_302600_NS5tupleIblNS6_9null_typeES8_S8_S8_S8_S8_S8_S8_EEEEZNS1_11reduce_implILb1ES3_NS6_12zip_iteratorINS7_INS6_11hip_rocprim26transform_input_iterator_tIbNSD_35transform_pair_of_input_iterators_tIbNS6_6detail15normal_iteratorINS6_10device_ptrIKsEEEESL_NS6_8equal_toIsEEEENSG_9not_fun_tINSD_8identityEEEEENSD_19counting_iterator_tIlEES8_S8_S8_S8_S8_S8_S8_S8_EEEEPS9_S9_NSD_9__find_if7functorIS9_EEEE10hipError_tPvRmT1_T2_T3_mT4_P12ihipStream_tbEUlT_E1_NS1_11comp_targetILNS1_3genE3ELNS1_11target_archE908ELNS1_3gpuE7ELNS1_3repE0EEENS1_30default_config_static_selectorELNS0_4arch9wavefront6targetE0EEEvS14_.uses_vcc, 0
	.set _ZN7rocprim17ROCPRIM_400000_NS6detail17trampoline_kernelINS0_14default_configENS1_22reduce_config_selectorIN6thrust23THRUST_200600_302600_NS5tupleIblNS6_9null_typeES8_S8_S8_S8_S8_S8_S8_EEEEZNS1_11reduce_implILb1ES3_NS6_12zip_iteratorINS7_INS6_11hip_rocprim26transform_input_iterator_tIbNSD_35transform_pair_of_input_iterators_tIbNS6_6detail15normal_iteratorINS6_10device_ptrIKsEEEESL_NS6_8equal_toIsEEEENSG_9not_fun_tINSD_8identityEEEEENSD_19counting_iterator_tIlEES8_S8_S8_S8_S8_S8_S8_S8_EEEEPS9_S9_NSD_9__find_if7functorIS9_EEEE10hipError_tPvRmT1_T2_T3_mT4_P12ihipStream_tbEUlT_E1_NS1_11comp_targetILNS1_3genE3ELNS1_11target_archE908ELNS1_3gpuE7ELNS1_3repE0EEENS1_30default_config_static_selectorELNS0_4arch9wavefront6targetE0EEEvS14_.uses_flat_scratch, 0
	.set _ZN7rocprim17ROCPRIM_400000_NS6detail17trampoline_kernelINS0_14default_configENS1_22reduce_config_selectorIN6thrust23THRUST_200600_302600_NS5tupleIblNS6_9null_typeES8_S8_S8_S8_S8_S8_S8_EEEEZNS1_11reduce_implILb1ES3_NS6_12zip_iteratorINS7_INS6_11hip_rocprim26transform_input_iterator_tIbNSD_35transform_pair_of_input_iterators_tIbNS6_6detail15normal_iteratorINS6_10device_ptrIKsEEEESL_NS6_8equal_toIsEEEENSG_9not_fun_tINSD_8identityEEEEENSD_19counting_iterator_tIlEES8_S8_S8_S8_S8_S8_S8_S8_EEEEPS9_S9_NSD_9__find_if7functorIS9_EEEE10hipError_tPvRmT1_T2_T3_mT4_P12ihipStream_tbEUlT_E1_NS1_11comp_targetILNS1_3genE3ELNS1_11target_archE908ELNS1_3gpuE7ELNS1_3repE0EEENS1_30default_config_static_selectorELNS0_4arch9wavefront6targetE0EEEvS14_.has_dyn_sized_stack, 0
	.set _ZN7rocprim17ROCPRIM_400000_NS6detail17trampoline_kernelINS0_14default_configENS1_22reduce_config_selectorIN6thrust23THRUST_200600_302600_NS5tupleIblNS6_9null_typeES8_S8_S8_S8_S8_S8_S8_EEEEZNS1_11reduce_implILb1ES3_NS6_12zip_iteratorINS7_INS6_11hip_rocprim26transform_input_iterator_tIbNSD_35transform_pair_of_input_iterators_tIbNS6_6detail15normal_iteratorINS6_10device_ptrIKsEEEESL_NS6_8equal_toIsEEEENSG_9not_fun_tINSD_8identityEEEEENSD_19counting_iterator_tIlEES8_S8_S8_S8_S8_S8_S8_S8_EEEEPS9_S9_NSD_9__find_if7functorIS9_EEEE10hipError_tPvRmT1_T2_T3_mT4_P12ihipStream_tbEUlT_E1_NS1_11comp_targetILNS1_3genE3ELNS1_11target_archE908ELNS1_3gpuE7ELNS1_3repE0EEENS1_30default_config_static_selectorELNS0_4arch9wavefront6targetE0EEEvS14_.has_recursion, 0
	.set _ZN7rocprim17ROCPRIM_400000_NS6detail17trampoline_kernelINS0_14default_configENS1_22reduce_config_selectorIN6thrust23THRUST_200600_302600_NS5tupleIblNS6_9null_typeES8_S8_S8_S8_S8_S8_S8_EEEEZNS1_11reduce_implILb1ES3_NS6_12zip_iteratorINS7_INS6_11hip_rocprim26transform_input_iterator_tIbNSD_35transform_pair_of_input_iterators_tIbNS6_6detail15normal_iteratorINS6_10device_ptrIKsEEEESL_NS6_8equal_toIsEEEENSG_9not_fun_tINSD_8identityEEEEENSD_19counting_iterator_tIlEES8_S8_S8_S8_S8_S8_S8_S8_EEEEPS9_S9_NSD_9__find_if7functorIS9_EEEE10hipError_tPvRmT1_T2_T3_mT4_P12ihipStream_tbEUlT_E1_NS1_11comp_targetILNS1_3genE3ELNS1_11target_archE908ELNS1_3gpuE7ELNS1_3repE0EEENS1_30default_config_static_selectorELNS0_4arch9wavefront6targetE0EEEvS14_.has_indirect_call, 0
	.section	.AMDGPU.csdata,"",@progbits
; Kernel info:
; codeLenInByte = 0
; TotalNumSgprs: 0
; NumVgprs: 0
; ScratchSize: 0
; MemoryBound: 0
; FloatMode: 240
; IeeeMode: 1
; LDSByteSize: 0 bytes/workgroup (compile time only)
; SGPRBlocks: 0
; VGPRBlocks: 0
; NumSGPRsForWavesPerEU: 1
; NumVGPRsForWavesPerEU: 1
; NamedBarCnt: 0
; Occupancy: 16
; WaveLimiterHint : 0
; COMPUTE_PGM_RSRC2:SCRATCH_EN: 0
; COMPUTE_PGM_RSRC2:USER_SGPR: 2
; COMPUTE_PGM_RSRC2:TRAP_HANDLER: 0
; COMPUTE_PGM_RSRC2:TGID_X_EN: 1
; COMPUTE_PGM_RSRC2:TGID_Y_EN: 0
; COMPUTE_PGM_RSRC2:TGID_Z_EN: 0
; COMPUTE_PGM_RSRC2:TIDIG_COMP_CNT: 0
	.section	.text._ZN7rocprim17ROCPRIM_400000_NS6detail17trampoline_kernelINS0_14default_configENS1_22reduce_config_selectorIN6thrust23THRUST_200600_302600_NS5tupleIblNS6_9null_typeES8_S8_S8_S8_S8_S8_S8_EEEEZNS1_11reduce_implILb1ES3_NS6_12zip_iteratorINS7_INS6_11hip_rocprim26transform_input_iterator_tIbNSD_35transform_pair_of_input_iterators_tIbNS6_6detail15normal_iteratorINS6_10device_ptrIKsEEEESL_NS6_8equal_toIsEEEENSG_9not_fun_tINSD_8identityEEEEENSD_19counting_iterator_tIlEES8_S8_S8_S8_S8_S8_S8_S8_EEEEPS9_S9_NSD_9__find_if7functorIS9_EEEE10hipError_tPvRmT1_T2_T3_mT4_P12ihipStream_tbEUlT_E1_NS1_11comp_targetILNS1_3genE2ELNS1_11target_archE906ELNS1_3gpuE6ELNS1_3repE0EEENS1_30default_config_static_selectorELNS0_4arch9wavefront6targetE0EEEvS14_,"axG",@progbits,_ZN7rocprim17ROCPRIM_400000_NS6detail17trampoline_kernelINS0_14default_configENS1_22reduce_config_selectorIN6thrust23THRUST_200600_302600_NS5tupleIblNS6_9null_typeES8_S8_S8_S8_S8_S8_S8_EEEEZNS1_11reduce_implILb1ES3_NS6_12zip_iteratorINS7_INS6_11hip_rocprim26transform_input_iterator_tIbNSD_35transform_pair_of_input_iterators_tIbNS6_6detail15normal_iteratorINS6_10device_ptrIKsEEEESL_NS6_8equal_toIsEEEENSG_9not_fun_tINSD_8identityEEEEENSD_19counting_iterator_tIlEES8_S8_S8_S8_S8_S8_S8_S8_EEEEPS9_S9_NSD_9__find_if7functorIS9_EEEE10hipError_tPvRmT1_T2_T3_mT4_P12ihipStream_tbEUlT_E1_NS1_11comp_targetILNS1_3genE2ELNS1_11target_archE906ELNS1_3gpuE6ELNS1_3repE0EEENS1_30default_config_static_selectorELNS0_4arch9wavefront6targetE0EEEvS14_,comdat
	.protected	_ZN7rocprim17ROCPRIM_400000_NS6detail17trampoline_kernelINS0_14default_configENS1_22reduce_config_selectorIN6thrust23THRUST_200600_302600_NS5tupleIblNS6_9null_typeES8_S8_S8_S8_S8_S8_S8_EEEEZNS1_11reduce_implILb1ES3_NS6_12zip_iteratorINS7_INS6_11hip_rocprim26transform_input_iterator_tIbNSD_35transform_pair_of_input_iterators_tIbNS6_6detail15normal_iteratorINS6_10device_ptrIKsEEEESL_NS6_8equal_toIsEEEENSG_9not_fun_tINSD_8identityEEEEENSD_19counting_iterator_tIlEES8_S8_S8_S8_S8_S8_S8_S8_EEEEPS9_S9_NSD_9__find_if7functorIS9_EEEE10hipError_tPvRmT1_T2_T3_mT4_P12ihipStream_tbEUlT_E1_NS1_11comp_targetILNS1_3genE2ELNS1_11target_archE906ELNS1_3gpuE6ELNS1_3repE0EEENS1_30default_config_static_selectorELNS0_4arch9wavefront6targetE0EEEvS14_ ; -- Begin function _ZN7rocprim17ROCPRIM_400000_NS6detail17trampoline_kernelINS0_14default_configENS1_22reduce_config_selectorIN6thrust23THRUST_200600_302600_NS5tupleIblNS6_9null_typeES8_S8_S8_S8_S8_S8_S8_EEEEZNS1_11reduce_implILb1ES3_NS6_12zip_iteratorINS7_INS6_11hip_rocprim26transform_input_iterator_tIbNSD_35transform_pair_of_input_iterators_tIbNS6_6detail15normal_iteratorINS6_10device_ptrIKsEEEESL_NS6_8equal_toIsEEEENSG_9not_fun_tINSD_8identityEEEEENSD_19counting_iterator_tIlEES8_S8_S8_S8_S8_S8_S8_S8_EEEEPS9_S9_NSD_9__find_if7functorIS9_EEEE10hipError_tPvRmT1_T2_T3_mT4_P12ihipStream_tbEUlT_E1_NS1_11comp_targetILNS1_3genE2ELNS1_11target_archE906ELNS1_3gpuE6ELNS1_3repE0EEENS1_30default_config_static_selectorELNS0_4arch9wavefront6targetE0EEEvS14_
	.globl	_ZN7rocprim17ROCPRIM_400000_NS6detail17trampoline_kernelINS0_14default_configENS1_22reduce_config_selectorIN6thrust23THRUST_200600_302600_NS5tupleIblNS6_9null_typeES8_S8_S8_S8_S8_S8_S8_EEEEZNS1_11reduce_implILb1ES3_NS6_12zip_iteratorINS7_INS6_11hip_rocprim26transform_input_iterator_tIbNSD_35transform_pair_of_input_iterators_tIbNS6_6detail15normal_iteratorINS6_10device_ptrIKsEEEESL_NS6_8equal_toIsEEEENSG_9not_fun_tINSD_8identityEEEEENSD_19counting_iterator_tIlEES8_S8_S8_S8_S8_S8_S8_S8_EEEEPS9_S9_NSD_9__find_if7functorIS9_EEEE10hipError_tPvRmT1_T2_T3_mT4_P12ihipStream_tbEUlT_E1_NS1_11comp_targetILNS1_3genE2ELNS1_11target_archE906ELNS1_3gpuE6ELNS1_3repE0EEENS1_30default_config_static_selectorELNS0_4arch9wavefront6targetE0EEEvS14_
	.p2align	8
	.type	_ZN7rocprim17ROCPRIM_400000_NS6detail17trampoline_kernelINS0_14default_configENS1_22reduce_config_selectorIN6thrust23THRUST_200600_302600_NS5tupleIblNS6_9null_typeES8_S8_S8_S8_S8_S8_S8_EEEEZNS1_11reduce_implILb1ES3_NS6_12zip_iteratorINS7_INS6_11hip_rocprim26transform_input_iterator_tIbNSD_35transform_pair_of_input_iterators_tIbNS6_6detail15normal_iteratorINS6_10device_ptrIKsEEEESL_NS6_8equal_toIsEEEENSG_9not_fun_tINSD_8identityEEEEENSD_19counting_iterator_tIlEES8_S8_S8_S8_S8_S8_S8_S8_EEEEPS9_S9_NSD_9__find_if7functorIS9_EEEE10hipError_tPvRmT1_T2_T3_mT4_P12ihipStream_tbEUlT_E1_NS1_11comp_targetILNS1_3genE2ELNS1_11target_archE906ELNS1_3gpuE6ELNS1_3repE0EEENS1_30default_config_static_selectorELNS0_4arch9wavefront6targetE0EEEvS14_,@function
_ZN7rocprim17ROCPRIM_400000_NS6detail17trampoline_kernelINS0_14default_configENS1_22reduce_config_selectorIN6thrust23THRUST_200600_302600_NS5tupleIblNS6_9null_typeES8_S8_S8_S8_S8_S8_S8_EEEEZNS1_11reduce_implILb1ES3_NS6_12zip_iteratorINS7_INS6_11hip_rocprim26transform_input_iterator_tIbNSD_35transform_pair_of_input_iterators_tIbNS6_6detail15normal_iteratorINS6_10device_ptrIKsEEEESL_NS6_8equal_toIsEEEENSG_9not_fun_tINSD_8identityEEEEENSD_19counting_iterator_tIlEES8_S8_S8_S8_S8_S8_S8_S8_EEEEPS9_S9_NSD_9__find_if7functorIS9_EEEE10hipError_tPvRmT1_T2_T3_mT4_P12ihipStream_tbEUlT_E1_NS1_11comp_targetILNS1_3genE2ELNS1_11target_archE906ELNS1_3gpuE6ELNS1_3repE0EEENS1_30default_config_static_selectorELNS0_4arch9wavefront6targetE0EEEvS14_: ; @_ZN7rocprim17ROCPRIM_400000_NS6detail17trampoline_kernelINS0_14default_configENS1_22reduce_config_selectorIN6thrust23THRUST_200600_302600_NS5tupleIblNS6_9null_typeES8_S8_S8_S8_S8_S8_S8_EEEEZNS1_11reduce_implILb1ES3_NS6_12zip_iteratorINS7_INS6_11hip_rocprim26transform_input_iterator_tIbNSD_35transform_pair_of_input_iterators_tIbNS6_6detail15normal_iteratorINS6_10device_ptrIKsEEEESL_NS6_8equal_toIsEEEENSG_9not_fun_tINSD_8identityEEEEENSD_19counting_iterator_tIlEES8_S8_S8_S8_S8_S8_S8_S8_EEEEPS9_S9_NSD_9__find_if7functorIS9_EEEE10hipError_tPvRmT1_T2_T3_mT4_P12ihipStream_tbEUlT_E1_NS1_11comp_targetILNS1_3genE2ELNS1_11target_archE906ELNS1_3gpuE6ELNS1_3repE0EEENS1_30default_config_static_selectorELNS0_4arch9wavefront6targetE0EEEvS14_
; %bb.0:
	.section	.rodata,"a",@progbits
	.p2align	6, 0x0
	.amdhsa_kernel _ZN7rocprim17ROCPRIM_400000_NS6detail17trampoline_kernelINS0_14default_configENS1_22reduce_config_selectorIN6thrust23THRUST_200600_302600_NS5tupleIblNS6_9null_typeES8_S8_S8_S8_S8_S8_S8_EEEEZNS1_11reduce_implILb1ES3_NS6_12zip_iteratorINS7_INS6_11hip_rocprim26transform_input_iterator_tIbNSD_35transform_pair_of_input_iterators_tIbNS6_6detail15normal_iteratorINS6_10device_ptrIKsEEEESL_NS6_8equal_toIsEEEENSG_9not_fun_tINSD_8identityEEEEENSD_19counting_iterator_tIlEES8_S8_S8_S8_S8_S8_S8_S8_EEEEPS9_S9_NSD_9__find_if7functorIS9_EEEE10hipError_tPvRmT1_T2_T3_mT4_P12ihipStream_tbEUlT_E1_NS1_11comp_targetILNS1_3genE2ELNS1_11target_archE906ELNS1_3gpuE6ELNS1_3repE0EEENS1_30default_config_static_selectorELNS0_4arch9wavefront6targetE0EEEvS14_
		.amdhsa_group_segment_fixed_size 0
		.amdhsa_private_segment_fixed_size 0
		.amdhsa_kernarg_size 88
		.amdhsa_user_sgpr_count 2
		.amdhsa_user_sgpr_dispatch_ptr 0
		.amdhsa_user_sgpr_queue_ptr 0
		.amdhsa_user_sgpr_kernarg_segment_ptr 1
		.amdhsa_user_sgpr_dispatch_id 0
		.amdhsa_user_sgpr_kernarg_preload_length 0
		.amdhsa_user_sgpr_kernarg_preload_offset 0
		.amdhsa_user_sgpr_private_segment_size 0
		.amdhsa_wavefront_size32 1
		.amdhsa_uses_dynamic_stack 0
		.amdhsa_enable_private_segment 0
		.amdhsa_system_sgpr_workgroup_id_x 1
		.amdhsa_system_sgpr_workgroup_id_y 0
		.amdhsa_system_sgpr_workgroup_id_z 0
		.amdhsa_system_sgpr_workgroup_info 0
		.amdhsa_system_vgpr_workitem_id 0
		.amdhsa_next_free_vgpr 1
		.amdhsa_next_free_sgpr 1
		.amdhsa_named_barrier_count 0
		.amdhsa_reserve_vcc 0
		.amdhsa_float_round_mode_32 0
		.amdhsa_float_round_mode_16_64 0
		.amdhsa_float_denorm_mode_32 3
		.amdhsa_float_denorm_mode_16_64 3
		.amdhsa_fp16_overflow 0
		.amdhsa_memory_ordered 1
		.amdhsa_forward_progress 1
		.amdhsa_inst_pref_size 0
		.amdhsa_round_robin_scheduling 0
		.amdhsa_exception_fp_ieee_invalid_op 0
		.amdhsa_exception_fp_denorm_src 0
		.amdhsa_exception_fp_ieee_div_zero 0
		.amdhsa_exception_fp_ieee_overflow 0
		.amdhsa_exception_fp_ieee_underflow 0
		.amdhsa_exception_fp_ieee_inexact 0
		.amdhsa_exception_int_div_zero 0
	.end_amdhsa_kernel
	.section	.text._ZN7rocprim17ROCPRIM_400000_NS6detail17trampoline_kernelINS0_14default_configENS1_22reduce_config_selectorIN6thrust23THRUST_200600_302600_NS5tupleIblNS6_9null_typeES8_S8_S8_S8_S8_S8_S8_EEEEZNS1_11reduce_implILb1ES3_NS6_12zip_iteratorINS7_INS6_11hip_rocprim26transform_input_iterator_tIbNSD_35transform_pair_of_input_iterators_tIbNS6_6detail15normal_iteratorINS6_10device_ptrIKsEEEESL_NS6_8equal_toIsEEEENSG_9not_fun_tINSD_8identityEEEEENSD_19counting_iterator_tIlEES8_S8_S8_S8_S8_S8_S8_S8_EEEEPS9_S9_NSD_9__find_if7functorIS9_EEEE10hipError_tPvRmT1_T2_T3_mT4_P12ihipStream_tbEUlT_E1_NS1_11comp_targetILNS1_3genE2ELNS1_11target_archE906ELNS1_3gpuE6ELNS1_3repE0EEENS1_30default_config_static_selectorELNS0_4arch9wavefront6targetE0EEEvS14_,"axG",@progbits,_ZN7rocprim17ROCPRIM_400000_NS6detail17trampoline_kernelINS0_14default_configENS1_22reduce_config_selectorIN6thrust23THRUST_200600_302600_NS5tupleIblNS6_9null_typeES8_S8_S8_S8_S8_S8_S8_EEEEZNS1_11reduce_implILb1ES3_NS6_12zip_iteratorINS7_INS6_11hip_rocprim26transform_input_iterator_tIbNSD_35transform_pair_of_input_iterators_tIbNS6_6detail15normal_iteratorINS6_10device_ptrIKsEEEESL_NS6_8equal_toIsEEEENSG_9not_fun_tINSD_8identityEEEEENSD_19counting_iterator_tIlEES8_S8_S8_S8_S8_S8_S8_S8_EEEEPS9_S9_NSD_9__find_if7functorIS9_EEEE10hipError_tPvRmT1_T2_T3_mT4_P12ihipStream_tbEUlT_E1_NS1_11comp_targetILNS1_3genE2ELNS1_11target_archE906ELNS1_3gpuE6ELNS1_3repE0EEENS1_30default_config_static_selectorELNS0_4arch9wavefront6targetE0EEEvS14_,comdat
.Lfunc_end311:
	.size	_ZN7rocprim17ROCPRIM_400000_NS6detail17trampoline_kernelINS0_14default_configENS1_22reduce_config_selectorIN6thrust23THRUST_200600_302600_NS5tupleIblNS6_9null_typeES8_S8_S8_S8_S8_S8_S8_EEEEZNS1_11reduce_implILb1ES3_NS6_12zip_iteratorINS7_INS6_11hip_rocprim26transform_input_iterator_tIbNSD_35transform_pair_of_input_iterators_tIbNS6_6detail15normal_iteratorINS6_10device_ptrIKsEEEESL_NS6_8equal_toIsEEEENSG_9not_fun_tINSD_8identityEEEEENSD_19counting_iterator_tIlEES8_S8_S8_S8_S8_S8_S8_S8_EEEEPS9_S9_NSD_9__find_if7functorIS9_EEEE10hipError_tPvRmT1_T2_T3_mT4_P12ihipStream_tbEUlT_E1_NS1_11comp_targetILNS1_3genE2ELNS1_11target_archE906ELNS1_3gpuE6ELNS1_3repE0EEENS1_30default_config_static_selectorELNS0_4arch9wavefront6targetE0EEEvS14_, .Lfunc_end311-_ZN7rocprim17ROCPRIM_400000_NS6detail17trampoline_kernelINS0_14default_configENS1_22reduce_config_selectorIN6thrust23THRUST_200600_302600_NS5tupleIblNS6_9null_typeES8_S8_S8_S8_S8_S8_S8_EEEEZNS1_11reduce_implILb1ES3_NS6_12zip_iteratorINS7_INS6_11hip_rocprim26transform_input_iterator_tIbNSD_35transform_pair_of_input_iterators_tIbNS6_6detail15normal_iteratorINS6_10device_ptrIKsEEEESL_NS6_8equal_toIsEEEENSG_9not_fun_tINSD_8identityEEEEENSD_19counting_iterator_tIlEES8_S8_S8_S8_S8_S8_S8_S8_EEEEPS9_S9_NSD_9__find_if7functorIS9_EEEE10hipError_tPvRmT1_T2_T3_mT4_P12ihipStream_tbEUlT_E1_NS1_11comp_targetILNS1_3genE2ELNS1_11target_archE906ELNS1_3gpuE6ELNS1_3repE0EEENS1_30default_config_static_selectorELNS0_4arch9wavefront6targetE0EEEvS14_
                                        ; -- End function
	.set _ZN7rocprim17ROCPRIM_400000_NS6detail17trampoline_kernelINS0_14default_configENS1_22reduce_config_selectorIN6thrust23THRUST_200600_302600_NS5tupleIblNS6_9null_typeES8_S8_S8_S8_S8_S8_S8_EEEEZNS1_11reduce_implILb1ES3_NS6_12zip_iteratorINS7_INS6_11hip_rocprim26transform_input_iterator_tIbNSD_35transform_pair_of_input_iterators_tIbNS6_6detail15normal_iteratorINS6_10device_ptrIKsEEEESL_NS6_8equal_toIsEEEENSG_9not_fun_tINSD_8identityEEEEENSD_19counting_iterator_tIlEES8_S8_S8_S8_S8_S8_S8_S8_EEEEPS9_S9_NSD_9__find_if7functorIS9_EEEE10hipError_tPvRmT1_T2_T3_mT4_P12ihipStream_tbEUlT_E1_NS1_11comp_targetILNS1_3genE2ELNS1_11target_archE906ELNS1_3gpuE6ELNS1_3repE0EEENS1_30default_config_static_selectorELNS0_4arch9wavefront6targetE0EEEvS14_.num_vgpr, 0
	.set _ZN7rocprim17ROCPRIM_400000_NS6detail17trampoline_kernelINS0_14default_configENS1_22reduce_config_selectorIN6thrust23THRUST_200600_302600_NS5tupleIblNS6_9null_typeES8_S8_S8_S8_S8_S8_S8_EEEEZNS1_11reduce_implILb1ES3_NS6_12zip_iteratorINS7_INS6_11hip_rocprim26transform_input_iterator_tIbNSD_35transform_pair_of_input_iterators_tIbNS6_6detail15normal_iteratorINS6_10device_ptrIKsEEEESL_NS6_8equal_toIsEEEENSG_9not_fun_tINSD_8identityEEEEENSD_19counting_iterator_tIlEES8_S8_S8_S8_S8_S8_S8_S8_EEEEPS9_S9_NSD_9__find_if7functorIS9_EEEE10hipError_tPvRmT1_T2_T3_mT4_P12ihipStream_tbEUlT_E1_NS1_11comp_targetILNS1_3genE2ELNS1_11target_archE906ELNS1_3gpuE6ELNS1_3repE0EEENS1_30default_config_static_selectorELNS0_4arch9wavefront6targetE0EEEvS14_.num_agpr, 0
	.set _ZN7rocprim17ROCPRIM_400000_NS6detail17trampoline_kernelINS0_14default_configENS1_22reduce_config_selectorIN6thrust23THRUST_200600_302600_NS5tupleIblNS6_9null_typeES8_S8_S8_S8_S8_S8_S8_EEEEZNS1_11reduce_implILb1ES3_NS6_12zip_iteratorINS7_INS6_11hip_rocprim26transform_input_iterator_tIbNSD_35transform_pair_of_input_iterators_tIbNS6_6detail15normal_iteratorINS6_10device_ptrIKsEEEESL_NS6_8equal_toIsEEEENSG_9not_fun_tINSD_8identityEEEEENSD_19counting_iterator_tIlEES8_S8_S8_S8_S8_S8_S8_S8_EEEEPS9_S9_NSD_9__find_if7functorIS9_EEEE10hipError_tPvRmT1_T2_T3_mT4_P12ihipStream_tbEUlT_E1_NS1_11comp_targetILNS1_3genE2ELNS1_11target_archE906ELNS1_3gpuE6ELNS1_3repE0EEENS1_30default_config_static_selectorELNS0_4arch9wavefront6targetE0EEEvS14_.numbered_sgpr, 0
	.set _ZN7rocprim17ROCPRIM_400000_NS6detail17trampoline_kernelINS0_14default_configENS1_22reduce_config_selectorIN6thrust23THRUST_200600_302600_NS5tupleIblNS6_9null_typeES8_S8_S8_S8_S8_S8_S8_EEEEZNS1_11reduce_implILb1ES3_NS6_12zip_iteratorINS7_INS6_11hip_rocprim26transform_input_iterator_tIbNSD_35transform_pair_of_input_iterators_tIbNS6_6detail15normal_iteratorINS6_10device_ptrIKsEEEESL_NS6_8equal_toIsEEEENSG_9not_fun_tINSD_8identityEEEEENSD_19counting_iterator_tIlEES8_S8_S8_S8_S8_S8_S8_S8_EEEEPS9_S9_NSD_9__find_if7functorIS9_EEEE10hipError_tPvRmT1_T2_T3_mT4_P12ihipStream_tbEUlT_E1_NS1_11comp_targetILNS1_3genE2ELNS1_11target_archE906ELNS1_3gpuE6ELNS1_3repE0EEENS1_30default_config_static_selectorELNS0_4arch9wavefront6targetE0EEEvS14_.num_named_barrier, 0
	.set _ZN7rocprim17ROCPRIM_400000_NS6detail17trampoline_kernelINS0_14default_configENS1_22reduce_config_selectorIN6thrust23THRUST_200600_302600_NS5tupleIblNS6_9null_typeES8_S8_S8_S8_S8_S8_S8_EEEEZNS1_11reduce_implILb1ES3_NS6_12zip_iteratorINS7_INS6_11hip_rocprim26transform_input_iterator_tIbNSD_35transform_pair_of_input_iterators_tIbNS6_6detail15normal_iteratorINS6_10device_ptrIKsEEEESL_NS6_8equal_toIsEEEENSG_9not_fun_tINSD_8identityEEEEENSD_19counting_iterator_tIlEES8_S8_S8_S8_S8_S8_S8_S8_EEEEPS9_S9_NSD_9__find_if7functorIS9_EEEE10hipError_tPvRmT1_T2_T3_mT4_P12ihipStream_tbEUlT_E1_NS1_11comp_targetILNS1_3genE2ELNS1_11target_archE906ELNS1_3gpuE6ELNS1_3repE0EEENS1_30default_config_static_selectorELNS0_4arch9wavefront6targetE0EEEvS14_.private_seg_size, 0
	.set _ZN7rocprim17ROCPRIM_400000_NS6detail17trampoline_kernelINS0_14default_configENS1_22reduce_config_selectorIN6thrust23THRUST_200600_302600_NS5tupleIblNS6_9null_typeES8_S8_S8_S8_S8_S8_S8_EEEEZNS1_11reduce_implILb1ES3_NS6_12zip_iteratorINS7_INS6_11hip_rocprim26transform_input_iterator_tIbNSD_35transform_pair_of_input_iterators_tIbNS6_6detail15normal_iteratorINS6_10device_ptrIKsEEEESL_NS6_8equal_toIsEEEENSG_9not_fun_tINSD_8identityEEEEENSD_19counting_iterator_tIlEES8_S8_S8_S8_S8_S8_S8_S8_EEEEPS9_S9_NSD_9__find_if7functorIS9_EEEE10hipError_tPvRmT1_T2_T3_mT4_P12ihipStream_tbEUlT_E1_NS1_11comp_targetILNS1_3genE2ELNS1_11target_archE906ELNS1_3gpuE6ELNS1_3repE0EEENS1_30default_config_static_selectorELNS0_4arch9wavefront6targetE0EEEvS14_.uses_vcc, 0
	.set _ZN7rocprim17ROCPRIM_400000_NS6detail17trampoline_kernelINS0_14default_configENS1_22reduce_config_selectorIN6thrust23THRUST_200600_302600_NS5tupleIblNS6_9null_typeES8_S8_S8_S8_S8_S8_S8_EEEEZNS1_11reduce_implILb1ES3_NS6_12zip_iteratorINS7_INS6_11hip_rocprim26transform_input_iterator_tIbNSD_35transform_pair_of_input_iterators_tIbNS6_6detail15normal_iteratorINS6_10device_ptrIKsEEEESL_NS6_8equal_toIsEEEENSG_9not_fun_tINSD_8identityEEEEENSD_19counting_iterator_tIlEES8_S8_S8_S8_S8_S8_S8_S8_EEEEPS9_S9_NSD_9__find_if7functorIS9_EEEE10hipError_tPvRmT1_T2_T3_mT4_P12ihipStream_tbEUlT_E1_NS1_11comp_targetILNS1_3genE2ELNS1_11target_archE906ELNS1_3gpuE6ELNS1_3repE0EEENS1_30default_config_static_selectorELNS0_4arch9wavefront6targetE0EEEvS14_.uses_flat_scratch, 0
	.set _ZN7rocprim17ROCPRIM_400000_NS6detail17trampoline_kernelINS0_14default_configENS1_22reduce_config_selectorIN6thrust23THRUST_200600_302600_NS5tupleIblNS6_9null_typeES8_S8_S8_S8_S8_S8_S8_EEEEZNS1_11reduce_implILb1ES3_NS6_12zip_iteratorINS7_INS6_11hip_rocprim26transform_input_iterator_tIbNSD_35transform_pair_of_input_iterators_tIbNS6_6detail15normal_iteratorINS6_10device_ptrIKsEEEESL_NS6_8equal_toIsEEEENSG_9not_fun_tINSD_8identityEEEEENSD_19counting_iterator_tIlEES8_S8_S8_S8_S8_S8_S8_S8_EEEEPS9_S9_NSD_9__find_if7functorIS9_EEEE10hipError_tPvRmT1_T2_T3_mT4_P12ihipStream_tbEUlT_E1_NS1_11comp_targetILNS1_3genE2ELNS1_11target_archE906ELNS1_3gpuE6ELNS1_3repE0EEENS1_30default_config_static_selectorELNS0_4arch9wavefront6targetE0EEEvS14_.has_dyn_sized_stack, 0
	.set _ZN7rocprim17ROCPRIM_400000_NS6detail17trampoline_kernelINS0_14default_configENS1_22reduce_config_selectorIN6thrust23THRUST_200600_302600_NS5tupleIblNS6_9null_typeES8_S8_S8_S8_S8_S8_S8_EEEEZNS1_11reduce_implILb1ES3_NS6_12zip_iteratorINS7_INS6_11hip_rocprim26transform_input_iterator_tIbNSD_35transform_pair_of_input_iterators_tIbNS6_6detail15normal_iteratorINS6_10device_ptrIKsEEEESL_NS6_8equal_toIsEEEENSG_9not_fun_tINSD_8identityEEEEENSD_19counting_iterator_tIlEES8_S8_S8_S8_S8_S8_S8_S8_EEEEPS9_S9_NSD_9__find_if7functorIS9_EEEE10hipError_tPvRmT1_T2_T3_mT4_P12ihipStream_tbEUlT_E1_NS1_11comp_targetILNS1_3genE2ELNS1_11target_archE906ELNS1_3gpuE6ELNS1_3repE0EEENS1_30default_config_static_selectorELNS0_4arch9wavefront6targetE0EEEvS14_.has_recursion, 0
	.set _ZN7rocprim17ROCPRIM_400000_NS6detail17trampoline_kernelINS0_14default_configENS1_22reduce_config_selectorIN6thrust23THRUST_200600_302600_NS5tupleIblNS6_9null_typeES8_S8_S8_S8_S8_S8_S8_EEEEZNS1_11reduce_implILb1ES3_NS6_12zip_iteratorINS7_INS6_11hip_rocprim26transform_input_iterator_tIbNSD_35transform_pair_of_input_iterators_tIbNS6_6detail15normal_iteratorINS6_10device_ptrIKsEEEESL_NS6_8equal_toIsEEEENSG_9not_fun_tINSD_8identityEEEEENSD_19counting_iterator_tIlEES8_S8_S8_S8_S8_S8_S8_S8_EEEEPS9_S9_NSD_9__find_if7functorIS9_EEEE10hipError_tPvRmT1_T2_T3_mT4_P12ihipStream_tbEUlT_E1_NS1_11comp_targetILNS1_3genE2ELNS1_11target_archE906ELNS1_3gpuE6ELNS1_3repE0EEENS1_30default_config_static_selectorELNS0_4arch9wavefront6targetE0EEEvS14_.has_indirect_call, 0
	.section	.AMDGPU.csdata,"",@progbits
; Kernel info:
; codeLenInByte = 0
; TotalNumSgprs: 0
; NumVgprs: 0
; ScratchSize: 0
; MemoryBound: 0
; FloatMode: 240
; IeeeMode: 1
; LDSByteSize: 0 bytes/workgroup (compile time only)
; SGPRBlocks: 0
; VGPRBlocks: 0
; NumSGPRsForWavesPerEU: 1
; NumVGPRsForWavesPerEU: 1
; NamedBarCnt: 0
; Occupancy: 16
; WaveLimiterHint : 0
; COMPUTE_PGM_RSRC2:SCRATCH_EN: 0
; COMPUTE_PGM_RSRC2:USER_SGPR: 2
; COMPUTE_PGM_RSRC2:TRAP_HANDLER: 0
; COMPUTE_PGM_RSRC2:TGID_X_EN: 1
; COMPUTE_PGM_RSRC2:TGID_Y_EN: 0
; COMPUTE_PGM_RSRC2:TGID_Z_EN: 0
; COMPUTE_PGM_RSRC2:TIDIG_COMP_CNT: 0
	.section	.text._ZN7rocprim17ROCPRIM_400000_NS6detail17trampoline_kernelINS0_14default_configENS1_22reduce_config_selectorIN6thrust23THRUST_200600_302600_NS5tupleIblNS6_9null_typeES8_S8_S8_S8_S8_S8_S8_EEEEZNS1_11reduce_implILb1ES3_NS6_12zip_iteratorINS7_INS6_11hip_rocprim26transform_input_iterator_tIbNSD_35transform_pair_of_input_iterators_tIbNS6_6detail15normal_iteratorINS6_10device_ptrIKsEEEESL_NS6_8equal_toIsEEEENSG_9not_fun_tINSD_8identityEEEEENSD_19counting_iterator_tIlEES8_S8_S8_S8_S8_S8_S8_S8_EEEEPS9_S9_NSD_9__find_if7functorIS9_EEEE10hipError_tPvRmT1_T2_T3_mT4_P12ihipStream_tbEUlT_E1_NS1_11comp_targetILNS1_3genE10ELNS1_11target_archE1201ELNS1_3gpuE5ELNS1_3repE0EEENS1_30default_config_static_selectorELNS0_4arch9wavefront6targetE0EEEvS14_,"axG",@progbits,_ZN7rocprim17ROCPRIM_400000_NS6detail17trampoline_kernelINS0_14default_configENS1_22reduce_config_selectorIN6thrust23THRUST_200600_302600_NS5tupleIblNS6_9null_typeES8_S8_S8_S8_S8_S8_S8_EEEEZNS1_11reduce_implILb1ES3_NS6_12zip_iteratorINS7_INS6_11hip_rocprim26transform_input_iterator_tIbNSD_35transform_pair_of_input_iterators_tIbNS6_6detail15normal_iteratorINS6_10device_ptrIKsEEEESL_NS6_8equal_toIsEEEENSG_9not_fun_tINSD_8identityEEEEENSD_19counting_iterator_tIlEES8_S8_S8_S8_S8_S8_S8_S8_EEEEPS9_S9_NSD_9__find_if7functorIS9_EEEE10hipError_tPvRmT1_T2_T3_mT4_P12ihipStream_tbEUlT_E1_NS1_11comp_targetILNS1_3genE10ELNS1_11target_archE1201ELNS1_3gpuE5ELNS1_3repE0EEENS1_30default_config_static_selectorELNS0_4arch9wavefront6targetE0EEEvS14_,comdat
	.protected	_ZN7rocprim17ROCPRIM_400000_NS6detail17trampoline_kernelINS0_14default_configENS1_22reduce_config_selectorIN6thrust23THRUST_200600_302600_NS5tupleIblNS6_9null_typeES8_S8_S8_S8_S8_S8_S8_EEEEZNS1_11reduce_implILb1ES3_NS6_12zip_iteratorINS7_INS6_11hip_rocprim26transform_input_iterator_tIbNSD_35transform_pair_of_input_iterators_tIbNS6_6detail15normal_iteratorINS6_10device_ptrIKsEEEESL_NS6_8equal_toIsEEEENSG_9not_fun_tINSD_8identityEEEEENSD_19counting_iterator_tIlEES8_S8_S8_S8_S8_S8_S8_S8_EEEEPS9_S9_NSD_9__find_if7functorIS9_EEEE10hipError_tPvRmT1_T2_T3_mT4_P12ihipStream_tbEUlT_E1_NS1_11comp_targetILNS1_3genE10ELNS1_11target_archE1201ELNS1_3gpuE5ELNS1_3repE0EEENS1_30default_config_static_selectorELNS0_4arch9wavefront6targetE0EEEvS14_ ; -- Begin function _ZN7rocprim17ROCPRIM_400000_NS6detail17trampoline_kernelINS0_14default_configENS1_22reduce_config_selectorIN6thrust23THRUST_200600_302600_NS5tupleIblNS6_9null_typeES8_S8_S8_S8_S8_S8_S8_EEEEZNS1_11reduce_implILb1ES3_NS6_12zip_iteratorINS7_INS6_11hip_rocprim26transform_input_iterator_tIbNSD_35transform_pair_of_input_iterators_tIbNS6_6detail15normal_iteratorINS6_10device_ptrIKsEEEESL_NS6_8equal_toIsEEEENSG_9not_fun_tINSD_8identityEEEEENSD_19counting_iterator_tIlEES8_S8_S8_S8_S8_S8_S8_S8_EEEEPS9_S9_NSD_9__find_if7functorIS9_EEEE10hipError_tPvRmT1_T2_T3_mT4_P12ihipStream_tbEUlT_E1_NS1_11comp_targetILNS1_3genE10ELNS1_11target_archE1201ELNS1_3gpuE5ELNS1_3repE0EEENS1_30default_config_static_selectorELNS0_4arch9wavefront6targetE0EEEvS14_
	.globl	_ZN7rocprim17ROCPRIM_400000_NS6detail17trampoline_kernelINS0_14default_configENS1_22reduce_config_selectorIN6thrust23THRUST_200600_302600_NS5tupleIblNS6_9null_typeES8_S8_S8_S8_S8_S8_S8_EEEEZNS1_11reduce_implILb1ES3_NS6_12zip_iteratorINS7_INS6_11hip_rocprim26transform_input_iterator_tIbNSD_35transform_pair_of_input_iterators_tIbNS6_6detail15normal_iteratorINS6_10device_ptrIKsEEEESL_NS6_8equal_toIsEEEENSG_9not_fun_tINSD_8identityEEEEENSD_19counting_iterator_tIlEES8_S8_S8_S8_S8_S8_S8_S8_EEEEPS9_S9_NSD_9__find_if7functorIS9_EEEE10hipError_tPvRmT1_T2_T3_mT4_P12ihipStream_tbEUlT_E1_NS1_11comp_targetILNS1_3genE10ELNS1_11target_archE1201ELNS1_3gpuE5ELNS1_3repE0EEENS1_30default_config_static_selectorELNS0_4arch9wavefront6targetE0EEEvS14_
	.p2align	8
	.type	_ZN7rocprim17ROCPRIM_400000_NS6detail17trampoline_kernelINS0_14default_configENS1_22reduce_config_selectorIN6thrust23THRUST_200600_302600_NS5tupleIblNS6_9null_typeES8_S8_S8_S8_S8_S8_S8_EEEEZNS1_11reduce_implILb1ES3_NS6_12zip_iteratorINS7_INS6_11hip_rocprim26transform_input_iterator_tIbNSD_35transform_pair_of_input_iterators_tIbNS6_6detail15normal_iteratorINS6_10device_ptrIKsEEEESL_NS6_8equal_toIsEEEENSG_9not_fun_tINSD_8identityEEEEENSD_19counting_iterator_tIlEES8_S8_S8_S8_S8_S8_S8_S8_EEEEPS9_S9_NSD_9__find_if7functorIS9_EEEE10hipError_tPvRmT1_T2_T3_mT4_P12ihipStream_tbEUlT_E1_NS1_11comp_targetILNS1_3genE10ELNS1_11target_archE1201ELNS1_3gpuE5ELNS1_3repE0EEENS1_30default_config_static_selectorELNS0_4arch9wavefront6targetE0EEEvS14_,@function
_ZN7rocprim17ROCPRIM_400000_NS6detail17trampoline_kernelINS0_14default_configENS1_22reduce_config_selectorIN6thrust23THRUST_200600_302600_NS5tupleIblNS6_9null_typeES8_S8_S8_S8_S8_S8_S8_EEEEZNS1_11reduce_implILb1ES3_NS6_12zip_iteratorINS7_INS6_11hip_rocprim26transform_input_iterator_tIbNSD_35transform_pair_of_input_iterators_tIbNS6_6detail15normal_iteratorINS6_10device_ptrIKsEEEESL_NS6_8equal_toIsEEEENSG_9not_fun_tINSD_8identityEEEEENSD_19counting_iterator_tIlEES8_S8_S8_S8_S8_S8_S8_S8_EEEEPS9_S9_NSD_9__find_if7functorIS9_EEEE10hipError_tPvRmT1_T2_T3_mT4_P12ihipStream_tbEUlT_E1_NS1_11comp_targetILNS1_3genE10ELNS1_11target_archE1201ELNS1_3gpuE5ELNS1_3repE0EEENS1_30default_config_static_selectorELNS0_4arch9wavefront6targetE0EEEvS14_: ; @_ZN7rocprim17ROCPRIM_400000_NS6detail17trampoline_kernelINS0_14default_configENS1_22reduce_config_selectorIN6thrust23THRUST_200600_302600_NS5tupleIblNS6_9null_typeES8_S8_S8_S8_S8_S8_S8_EEEEZNS1_11reduce_implILb1ES3_NS6_12zip_iteratorINS7_INS6_11hip_rocprim26transform_input_iterator_tIbNSD_35transform_pair_of_input_iterators_tIbNS6_6detail15normal_iteratorINS6_10device_ptrIKsEEEESL_NS6_8equal_toIsEEEENSG_9not_fun_tINSD_8identityEEEEENSD_19counting_iterator_tIlEES8_S8_S8_S8_S8_S8_S8_S8_EEEEPS9_S9_NSD_9__find_if7functorIS9_EEEE10hipError_tPvRmT1_T2_T3_mT4_P12ihipStream_tbEUlT_E1_NS1_11comp_targetILNS1_3genE10ELNS1_11target_archE1201ELNS1_3gpuE5ELNS1_3repE0EEENS1_30default_config_static_selectorELNS0_4arch9wavefront6targetE0EEEvS14_
; %bb.0:
	.section	.rodata,"a",@progbits
	.p2align	6, 0x0
	.amdhsa_kernel _ZN7rocprim17ROCPRIM_400000_NS6detail17trampoline_kernelINS0_14default_configENS1_22reduce_config_selectorIN6thrust23THRUST_200600_302600_NS5tupleIblNS6_9null_typeES8_S8_S8_S8_S8_S8_S8_EEEEZNS1_11reduce_implILb1ES3_NS6_12zip_iteratorINS7_INS6_11hip_rocprim26transform_input_iterator_tIbNSD_35transform_pair_of_input_iterators_tIbNS6_6detail15normal_iteratorINS6_10device_ptrIKsEEEESL_NS6_8equal_toIsEEEENSG_9not_fun_tINSD_8identityEEEEENSD_19counting_iterator_tIlEES8_S8_S8_S8_S8_S8_S8_S8_EEEEPS9_S9_NSD_9__find_if7functorIS9_EEEE10hipError_tPvRmT1_T2_T3_mT4_P12ihipStream_tbEUlT_E1_NS1_11comp_targetILNS1_3genE10ELNS1_11target_archE1201ELNS1_3gpuE5ELNS1_3repE0EEENS1_30default_config_static_selectorELNS0_4arch9wavefront6targetE0EEEvS14_
		.amdhsa_group_segment_fixed_size 0
		.amdhsa_private_segment_fixed_size 0
		.amdhsa_kernarg_size 88
		.amdhsa_user_sgpr_count 2
		.amdhsa_user_sgpr_dispatch_ptr 0
		.amdhsa_user_sgpr_queue_ptr 0
		.amdhsa_user_sgpr_kernarg_segment_ptr 1
		.amdhsa_user_sgpr_dispatch_id 0
		.amdhsa_user_sgpr_kernarg_preload_length 0
		.amdhsa_user_sgpr_kernarg_preload_offset 0
		.amdhsa_user_sgpr_private_segment_size 0
		.amdhsa_wavefront_size32 1
		.amdhsa_uses_dynamic_stack 0
		.amdhsa_enable_private_segment 0
		.amdhsa_system_sgpr_workgroup_id_x 1
		.amdhsa_system_sgpr_workgroup_id_y 0
		.amdhsa_system_sgpr_workgroup_id_z 0
		.amdhsa_system_sgpr_workgroup_info 0
		.amdhsa_system_vgpr_workitem_id 0
		.amdhsa_next_free_vgpr 1
		.amdhsa_next_free_sgpr 1
		.amdhsa_named_barrier_count 0
		.amdhsa_reserve_vcc 0
		.amdhsa_float_round_mode_32 0
		.amdhsa_float_round_mode_16_64 0
		.amdhsa_float_denorm_mode_32 3
		.amdhsa_float_denorm_mode_16_64 3
		.amdhsa_fp16_overflow 0
		.amdhsa_memory_ordered 1
		.amdhsa_forward_progress 1
		.amdhsa_inst_pref_size 0
		.amdhsa_round_robin_scheduling 0
		.amdhsa_exception_fp_ieee_invalid_op 0
		.amdhsa_exception_fp_denorm_src 0
		.amdhsa_exception_fp_ieee_div_zero 0
		.amdhsa_exception_fp_ieee_overflow 0
		.amdhsa_exception_fp_ieee_underflow 0
		.amdhsa_exception_fp_ieee_inexact 0
		.amdhsa_exception_int_div_zero 0
	.end_amdhsa_kernel
	.section	.text._ZN7rocprim17ROCPRIM_400000_NS6detail17trampoline_kernelINS0_14default_configENS1_22reduce_config_selectorIN6thrust23THRUST_200600_302600_NS5tupleIblNS6_9null_typeES8_S8_S8_S8_S8_S8_S8_EEEEZNS1_11reduce_implILb1ES3_NS6_12zip_iteratorINS7_INS6_11hip_rocprim26transform_input_iterator_tIbNSD_35transform_pair_of_input_iterators_tIbNS6_6detail15normal_iteratorINS6_10device_ptrIKsEEEESL_NS6_8equal_toIsEEEENSG_9not_fun_tINSD_8identityEEEEENSD_19counting_iterator_tIlEES8_S8_S8_S8_S8_S8_S8_S8_EEEEPS9_S9_NSD_9__find_if7functorIS9_EEEE10hipError_tPvRmT1_T2_T3_mT4_P12ihipStream_tbEUlT_E1_NS1_11comp_targetILNS1_3genE10ELNS1_11target_archE1201ELNS1_3gpuE5ELNS1_3repE0EEENS1_30default_config_static_selectorELNS0_4arch9wavefront6targetE0EEEvS14_,"axG",@progbits,_ZN7rocprim17ROCPRIM_400000_NS6detail17trampoline_kernelINS0_14default_configENS1_22reduce_config_selectorIN6thrust23THRUST_200600_302600_NS5tupleIblNS6_9null_typeES8_S8_S8_S8_S8_S8_S8_EEEEZNS1_11reduce_implILb1ES3_NS6_12zip_iteratorINS7_INS6_11hip_rocprim26transform_input_iterator_tIbNSD_35transform_pair_of_input_iterators_tIbNS6_6detail15normal_iteratorINS6_10device_ptrIKsEEEESL_NS6_8equal_toIsEEEENSG_9not_fun_tINSD_8identityEEEEENSD_19counting_iterator_tIlEES8_S8_S8_S8_S8_S8_S8_S8_EEEEPS9_S9_NSD_9__find_if7functorIS9_EEEE10hipError_tPvRmT1_T2_T3_mT4_P12ihipStream_tbEUlT_E1_NS1_11comp_targetILNS1_3genE10ELNS1_11target_archE1201ELNS1_3gpuE5ELNS1_3repE0EEENS1_30default_config_static_selectorELNS0_4arch9wavefront6targetE0EEEvS14_,comdat
.Lfunc_end312:
	.size	_ZN7rocprim17ROCPRIM_400000_NS6detail17trampoline_kernelINS0_14default_configENS1_22reduce_config_selectorIN6thrust23THRUST_200600_302600_NS5tupleIblNS6_9null_typeES8_S8_S8_S8_S8_S8_S8_EEEEZNS1_11reduce_implILb1ES3_NS6_12zip_iteratorINS7_INS6_11hip_rocprim26transform_input_iterator_tIbNSD_35transform_pair_of_input_iterators_tIbNS6_6detail15normal_iteratorINS6_10device_ptrIKsEEEESL_NS6_8equal_toIsEEEENSG_9not_fun_tINSD_8identityEEEEENSD_19counting_iterator_tIlEES8_S8_S8_S8_S8_S8_S8_S8_EEEEPS9_S9_NSD_9__find_if7functorIS9_EEEE10hipError_tPvRmT1_T2_T3_mT4_P12ihipStream_tbEUlT_E1_NS1_11comp_targetILNS1_3genE10ELNS1_11target_archE1201ELNS1_3gpuE5ELNS1_3repE0EEENS1_30default_config_static_selectorELNS0_4arch9wavefront6targetE0EEEvS14_, .Lfunc_end312-_ZN7rocprim17ROCPRIM_400000_NS6detail17trampoline_kernelINS0_14default_configENS1_22reduce_config_selectorIN6thrust23THRUST_200600_302600_NS5tupleIblNS6_9null_typeES8_S8_S8_S8_S8_S8_S8_EEEEZNS1_11reduce_implILb1ES3_NS6_12zip_iteratorINS7_INS6_11hip_rocprim26transform_input_iterator_tIbNSD_35transform_pair_of_input_iterators_tIbNS6_6detail15normal_iteratorINS6_10device_ptrIKsEEEESL_NS6_8equal_toIsEEEENSG_9not_fun_tINSD_8identityEEEEENSD_19counting_iterator_tIlEES8_S8_S8_S8_S8_S8_S8_S8_EEEEPS9_S9_NSD_9__find_if7functorIS9_EEEE10hipError_tPvRmT1_T2_T3_mT4_P12ihipStream_tbEUlT_E1_NS1_11comp_targetILNS1_3genE10ELNS1_11target_archE1201ELNS1_3gpuE5ELNS1_3repE0EEENS1_30default_config_static_selectorELNS0_4arch9wavefront6targetE0EEEvS14_
                                        ; -- End function
	.set _ZN7rocprim17ROCPRIM_400000_NS6detail17trampoline_kernelINS0_14default_configENS1_22reduce_config_selectorIN6thrust23THRUST_200600_302600_NS5tupleIblNS6_9null_typeES8_S8_S8_S8_S8_S8_S8_EEEEZNS1_11reduce_implILb1ES3_NS6_12zip_iteratorINS7_INS6_11hip_rocprim26transform_input_iterator_tIbNSD_35transform_pair_of_input_iterators_tIbNS6_6detail15normal_iteratorINS6_10device_ptrIKsEEEESL_NS6_8equal_toIsEEEENSG_9not_fun_tINSD_8identityEEEEENSD_19counting_iterator_tIlEES8_S8_S8_S8_S8_S8_S8_S8_EEEEPS9_S9_NSD_9__find_if7functorIS9_EEEE10hipError_tPvRmT1_T2_T3_mT4_P12ihipStream_tbEUlT_E1_NS1_11comp_targetILNS1_3genE10ELNS1_11target_archE1201ELNS1_3gpuE5ELNS1_3repE0EEENS1_30default_config_static_selectorELNS0_4arch9wavefront6targetE0EEEvS14_.num_vgpr, 0
	.set _ZN7rocprim17ROCPRIM_400000_NS6detail17trampoline_kernelINS0_14default_configENS1_22reduce_config_selectorIN6thrust23THRUST_200600_302600_NS5tupleIblNS6_9null_typeES8_S8_S8_S8_S8_S8_S8_EEEEZNS1_11reduce_implILb1ES3_NS6_12zip_iteratorINS7_INS6_11hip_rocprim26transform_input_iterator_tIbNSD_35transform_pair_of_input_iterators_tIbNS6_6detail15normal_iteratorINS6_10device_ptrIKsEEEESL_NS6_8equal_toIsEEEENSG_9not_fun_tINSD_8identityEEEEENSD_19counting_iterator_tIlEES8_S8_S8_S8_S8_S8_S8_S8_EEEEPS9_S9_NSD_9__find_if7functorIS9_EEEE10hipError_tPvRmT1_T2_T3_mT4_P12ihipStream_tbEUlT_E1_NS1_11comp_targetILNS1_3genE10ELNS1_11target_archE1201ELNS1_3gpuE5ELNS1_3repE0EEENS1_30default_config_static_selectorELNS0_4arch9wavefront6targetE0EEEvS14_.num_agpr, 0
	.set _ZN7rocprim17ROCPRIM_400000_NS6detail17trampoline_kernelINS0_14default_configENS1_22reduce_config_selectorIN6thrust23THRUST_200600_302600_NS5tupleIblNS6_9null_typeES8_S8_S8_S8_S8_S8_S8_EEEEZNS1_11reduce_implILb1ES3_NS6_12zip_iteratorINS7_INS6_11hip_rocprim26transform_input_iterator_tIbNSD_35transform_pair_of_input_iterators_tIbNS6_6detail15normal_iteratorINS6_10device_ptrIKsEEEESL_NS6_8equal_toIsEEEENSG_9not_fun_tINSD_8identityEEEEENSD_19counting_iterator_tIlEES8_S8_S8_S8_S8_S8_S8_S8_EEEEPS9_S9_NSD_9__find_if7functorIS9_EEEE10hipError_tPvRmT1_T2_T3_mT4_P12ihipStream_tbEUlT_E1_NS1_11comp_targetILNS1_3genE10ELNS1_11target_archE1201ELNS1_3gpuE5ELNS1_3repE0EEENS1_30default_config_static_selectorELNS0_4arch9wavefront6targetE0EEEvS14_.numbered_sgpr, 0
	.set _ZN7rocprim17ROCPRIM_400000_NS6detail17trampoline_kernelINS0_14default_configENS1_22reduce_config_selectorIN6thrust23THRUST_200600_302600_NS5tupleIblNS6_9null_typeES8_S8_S8_S8_S8_S8_S8_EEEEZNS1_11reduce_implILb1ES3_NS6_12zip_iteratorINS7_INS6_11hip_rocprim26transform_input_iterator_tIbNSD_35transform_pair_of_input_iterators_tIbNS6_6detail15normal_iteratorINS6_10device_ptrIKsEEEESL_NS6_8equal_toIsEEEENSG_9not_fun_tINSD_8identityEEEEENSD_19counting_iterator_tIlEES8_S8_S8_S8_S8_S8_S8_S8_EEEEPS9_S9_NSD_9__find_if7functorIS9_EEEE10hipError_tPvRmT1_T2_T3_mT4_P12ihipStream_tbEUlT_E1_NS1_11comp_targetILNS1_3genE10ELNS1_11target_archE1201ELNS1_3gpuE5ELNS1_3repE0EEENS1_30default_config_static_selectorELNS0_4arch9wavefront6targetE0EEEvS14_.num_named_barrier, 0
	.set _ZN7rocprim17ROCPRIM_400000_NS6detail17trampoline_kernelINS0_14default_configENS1_22reduce_config_selectorIN6thrust23THRUST_200600_302600_NS5tupleIblNS6_9null_typeES8_S8_S8_S8_S8_S8_S8_EEEEZNS1_11reduce_implILb1ES3_NS6_12zip_iteratorINS7_INS6_11hip_rocprim26transform_input_iterator_tIbNSD_35transform_pair_of_input_iterators_tIbNS6_6detail15normal_iteratorINS6_10device_ptrIKsEEEESL_NS6_8equal_toIsEEEENSG_9not_fun_tINSD_8identityEEEEENSD_19counting_iterator_tIlEES8_S8_S8_S8_S8_S8_S8_S8_EEEEPS9_S9_NSD_9__find_if7functorIS9_EEEE10hipError_tPvRmT1_T2_T3_mT4_P12ihipStream_tbEUlT_E1_NS1_11comp_targetILNS1_3genE10ELNS1_11target_archE1201ELNS1_3gpuE5ELNS1_3repE0EEENS1_30default_config_static_selectorELNS0_4arch9wavefront6targetE0EEEvS14_.private_seg_size, 0
	.set _ZN7rocprim17ROCPRIM_400000_NS6detail17trampoline_kernelINS0_14default_configENS1_22reduce_config_selectorIN6thrust23THRUST_200600_302600_NS5tupleIblNS6_9null_typeES8_S8_S8_S8_S8_S8_S8_EEEEZNS1_11reduce_implILb1ES3_NS6_12zip_iteratorINS7_INS6_11hip_rocprim26transform_input_iterator_tIbNSD_35transform_pair_of_input_iterators_tIbNS6_6detail15normal_iteratorINS6_10device_ptrIKsEEEESL_NS6_8equal_toIsEEEENSG_9not_fun_tINSD_8identityEEEEENSD_19counting_iterator_tIlEES8_S8_S8_S8_S8_S8_S8_S8_EEEEPS9_S9_NSD_9__find_if7functorIS9_EEEE10hipError_tPvRmT1_T2_T3_mT4_P12ihipStream_tbEUlT_E1_NS1_11comp_targetILNS1_3genE10ELNS1_11target_archE1201ELNS1_3gpuE5ELNS1_3repE0EEENS1_30default_config_static_selectorELNS0_4arch9wavefront6targetE0EEEvS14_.uses_vcc, 0
	.set _ZN7rocprim17ROCPRIM_400000_NS6detail17trampoline_kernelINS0_14default_configENS1_22reduce_config_selectorIN6thrust23THRUST_200600_302600_NS5tupleIblNS6_9null_typeES8_S8_S8_S8_S8_S8_S8_EEEEZNS1_11reduce_implILb1ES3_NS6_12zip_iteratorINS7_INS6_11hip_rocprim26transform_input_iterator_tIbNSD_35transform_pair_of_input_iterators_tIbNS6_6detail15normal_iteratorINS6_10device_ptrIKsEEEESL_NS6_8equal_toIsEEEENSG_9not_fun_tINSD_8identityEEEEENSD_19counting_iterator_tIlEES8_S8_S8_S8_S8_S8_S8_S8_EEEEPS9_S9_NSD_9__find_if7functorIS9_EEEE10hipError_tPvRmT1_T2_T3_mT4_P12ihipStream_tbEUlT_E1_NS1_11comp_targetILNS1_3genE10ELNS1_11target_archE1201ELNS1_3gpuE5ELNS1_3repE0EEENS1_30default_config_static_selectorELNS0_4arch9wavefront6targetE0EEEvS14_.uses_flat_scratch, 0
	.set _ZN7rocprim17ROCPRIM_400000_NS6detail17trampoline_kernelINS0_14default_configENS1_22reduce_config_selectorIN6thrust23THRUST_200600_302600_NS5tupleIblNS6_9null_typeES8_S8_S8_S8_S8_S8_S8_EEEEZNS1_11reduce_implILb1ES3_NS6_12zip_iteratorINS7_INS6_11hip_rocprim26transform_input_iterator_tIbNSD_35transform_pair_of_input_iterators_tIbNS6_6detail15normal_iteratorINS6_10device_ptrIKsEEEESL_NS6_8equal_toIsEEEENSG_9not_fun_tINSD_8identityEEEEENSD_19counting_iterator_tIlEES8_S8_S8_S8_S8_S8_S8_S8_EEEEPS9_S9_NSD_9__find_if7functorIS9_EEEE10hipError_tPvRmT1_T2_T3_mT4_P12ihipStream_tbEUlT_E1_NS1_11comp_targetILNS1_3genE10ELNS1_11target_archE1201ELNS1_3gpuE5ELNS1_3repE0EEENS1_30default_config_static_selectorELNS0_4arch9wavefront6targetE0EEEvS14_.has_dyn_sized_stack, 0
	.set _ZN7rocprim17ROCPRIM_400000_NS6detail17trampoline_kernelINS0_14default_configENS1_22reduce_config_selectorIN6thrust23THRUST_200600_302600_NS5tupleIblNS6_9null_typeES8_S8_S8_S8_S8_S8_S8_EEEEZNS1_11reduce_implILb1ES3_NS6_12zip_iteratorINS7_INS6_11hip_rocprim26transform_input_iterator_tIbNSD_35transform_pair_of_input_iterators_tIbNS6_6detail15normal_iteratorINS6_10device_ptrIKsEEEESL_NS6_8equal_toIsEEEENSG_9not_fun_tINSD_8identityEEEEENSD_19counting_iterator_tIlEES8_S8_S8_S8_S8_S8_S8_S8_EEEEPS9_S9_NSD_9__find_if7functorIS9_EEEE10hipError_tPvRmT1_T2_T3_mT4_P12ihipStream_tbEUlT_E1_NS1_11comp_targetILNS1_3genE10ELNS1_11target_archE1201ELNS1_3gpuE5ELNS1_3repE0EEENS1_30default_config_static_selectorELNS0_4arch9wavefront6targetE0EEEvS14_.has_recursion, 0
	.set _ZN7rocprim17ROCPRIM_400000_NS6detail17trampoline_kernelINS0_14default_configENS1_22reduce_config_selectorIN6thrust23THRUST_200600_302600_NS5tupleIblNS6_9null_typeES8_S8_S8_S8_S8_S8_S8_EEEEZNS1_11reduce_implILb1ES3_NS6_12zip_iteratorINS7_INS6_11hip_rocprim26transform_input_iterator_tIbNSD_35transform_pair_of_input_iterators_tIbNS6_6detail15normal_iteratorINS6_10device_ptrIKsEEEESL_NS6_8equal_toIsEEEENSG_9not_fun_tINSD_8identityEEEEENSD_19counting_iterator_tIlEES8_S8_S8_S8_S8_S8_S8_S8_EEEEPS9_S9_NSD_9__find_if7functorIS9_EEEE10hipError_tPvRmT1_T2_T3_mT4_P12ihipStream_tbEUlT_E1_NS1_11comp_targetILNS1_3genE10ELNS1_11target_archE1201ELNS1_3gpuE5ELNS1_3repE0EEENS1_30default_config_static_selectorELNS0_4arch9wavefront6targetE0EEEvS14_.has_indirect_call, 0
	.section	.AMDGPU.csdata,"",@progbits
; Kernel info:
; codeLenInByte = 0
; TotalNumSgprs: 0
; NumVgprs: 0
; ScratchSize: 0
; MemoryBound: 0
; FloatMode: 240
; IeeeMode: 1
; LDSByteSize: 0 bytes/workgroup (compile time only)
; SGPRBlocks: 0
; VGPRBlocks: 0
; NumSGPRsForWavesPerEU: 1
; NumVGPRsForWavesPerEU: 1
; NamedBarCnt: 0
; Occupancy: 16
; WaveLimiterHint : 0
; COMPUTE_PGM_RSRC2:SCRATCH_EN: 0
; COMPUTE_PGM_RSRC2:USER_SGPR: 2
; COMPUTE_PGM_RSRC2:TRAP_HANDLER: 0
; COMPUTE_PGM_RSRC2:TGID_X_EN: 1
; COMPUTE_PGM_RSRC2:TGID_Y_EN: 0
; COMPUTE_PGM_RSRC2:TGID_Z_EN: 0
; COMPUTE_PGM_RSRC2:TIDIG_COMP_CNT: 0
	.section	.text._ZN7rocprim17ROCPRIM_400000_NS6detail17trampoline_kernelINS0_14default_configENS1_22reduce_config_selectorIN6thrust23THRUST_200600_302600_NS5tupleIblNS6_9null_typeES8_S8_S8_S8_S8_S8_S8_EEEEZNS1_11reduce_implILb1ES3_NS6_12zip_iteratorINS7_INS6_11hip_rocprim26transform_input_iterator_tIbNSD_35transform_pair_of_input_iterators_tIbNS6_6detail15normal_iteratorINS6_10device_ptrIKsEEEESL_NS6_8equal_toIsEEEENSG_9not_fun_tINSD_8identityEEEEENSD_19counting_iterator_tIlEES8_S8_S8_S8_S8_S8_S8_S8_EEEEPS9_S9_NSD_9__find_if7functorIS9_EEEE10hipError_tPvRmT1_T2_T3_mT4_P12ihipStream_tbEUlT_E1_NS1_11comp_targetILNS1_3genE10ELNS1_11target_archE1200ELNS1_3gpuE4ELNS1_3repE0EEENS1_30default_config_static_selectorELNS0_4arch9wavefront6targetE0EEEvS14_,"axG",@progbits,_ZN7rocprim17ROCPRIM_400000_NS6detail17trampoline_kernelINS0_14default_configENS1_22reduce_config_selectorIN6thrust23THRUST_200600_302600_NS5tupleIblNS6_9null_typeES8_S8_S8_S8_S8_S8_S8_EEEEZNS1_11reduce_implILb1ES3_NS6_12zip_iteratorINS7_INS6_11hip_rocprim26transform_input_iterator_tIbNSD_35transform_pair_of_input_iterators_tIbNS6_6detail15normal_iteratorINS6_10device_ptrIKsEEEESL_NS6_8equal_toIsEEEENSG_9not_fun_tINSD_8identityEEEEENSD_19counting_iterator_tIlEES8_S8_S8_S8_S8_S8_S8_S8_EEEEPS9_S9_NSD_9__find_if7functorIS9_EEEE10hipError_tPvRmT1_T2_T3_mT4_P12ihipStream_tbEUlT_E1_NS1_11comp_targetILNS1_3genE10ELNS1_11target_archE1200ELNS1_3gpuE4ELNS1_3repE0EEENS1_30default_config_static_selectorELNS0_4arch9wavefront6targetE0EEEvS14_,comdat
	.protected	_ZN7rocprim17ROCPRIM_400000_NS6detail17trampoline_kernelINS0_14default_configENS1_22reduce_config_selectorIN6thrust23THRUST_200600_302600_NS5tupleIblNS6_9null_typeES8_S8_S8_S8_S8_S8_S8_EEEEZNS1_11reduce_implILb1ES3_NS6_12zip_iteratorINS7_INS6_11hip_rocprim26transform_input_iterator_tIbNSD_35transform_pair_of_input_iterators_tIbNS6_6detail15normal_iteratorINS6_10device_ptrIKsEEEESL_NS6_8equal_toIsEEEENSG_9not_fun_tINSD_8identityEEEEENSD_19counting_iterator_tIlEES8_S8_S8_S8_S8_S8_S8_S8_EEEEPS9_S9_NSD_9__find_if7functorIS9_EEEE10hipError_tPvRmT1_T2_T3_mT4_P12ihipStream_tbEUlT_E1_NS1_11comp_targetILNS1_3genE10ELNS1_11target_archE1200ELNS1_3gpuE4ELNS1_3repE0EEENS1_30default_config_static_selectorELNS0_4arch9wavefront6targetE0EEEvS14_ ; -- Begin function _ZN7rocprim17ROCPRIM_400000_NS6detail17trampoline_kernelINS0_14default_configENS1_22reduce_config_selectorIN6thrust23THRUST_200600_302600_NS5tupleIblNS6_9null_typeES8_S8_S8_S8_S8_S8_S8_EEEEZNS1_11reduce_implILb1ES3_NS6_12zip_iteratorINS7_INS6_11hip_rocprim26transform_input_iterator_tIbNSD_35transform_pair_of_input_iterators_tIbNS6_6detail15normal_iteratorINS6_10device_ptrIKsEEEESL_NS6_8equal_toIsEEEENSG_9not_fun_tINSD_8identityEEEEENSD_19counting_iterator_tIlEES8_S8_S8_S8_S8_S8_S8_S8_EEEEPS9_S9_NSD_9__find_if7functorIS9_EEEE10hipError_tPvRmT1_T2_T3_mT4_P12ihipStream_tbEUlT_E1_NS1_11comp_targetILNS1_3genE10ELNS1_11target_archE1200ELNS1_3gpuE4ELNS1_3repE0EEENS1_30default_config_static_selectorELNS0_4arch9wavefront6targetE0EEEvS14_
	.globl	_ZN7rocprim17ROCPRIM_400000_NS6detail17trampoline_kernelINS0_14default_configENS1_22reduce_config_selectorIN6thrust23THRUST_200600_302600_NS5tupleIblNS6_9null_typeES8_S8_S8_S8_S8_S8_S8_EEEEZNS1_11reduce_implILb1ES3_NS6_12zip_iteratorINS7_INS6_11hip_rocprim26transform_input_iterator_tIbNSD_35transform_pair_of_input_iterators_tIbNS6_6detail15normal_iteratorINS6_10device_ptrIKsEEEESL_NS6_8equal_toIsEEEENSG_9not_fun_tINSD_8identityEEEEENSD_19counting_iterator_tIlEES8_S8_S8_S8_S8_S8_S8_S8_EEEEPS9_S9_NSD_9__find_if7functorIS9_EEEE10hipError_tPvRmT1_T2_T3_mT4_P12ihipStream_tbEUlT_E1_NS1_11comp_targetILNS1_3genE10ELNS1_11target_archE1200ELNS1_3gpuE4ELNS1_3repE0EEENS1_30default_config_static_selectorELNS0_4arch9wavefront6targetE0EEEvS14_
	.p2align	8
	.type	_ZN7rocprim17ROCPRIM_400000_NS6detail17trampoline_kernelINS0_14default_configENS1_22reduce_config_selectorIN6thrust23THRUST_200600_302600_NS5tupleIblNS6_9null_typeES8_S8_S8_S8_S8_S8_S8_EEEEZNS1_11reduce_implILb1ES3_NS6_12zip_iteratorINS7_INS6_11hip_rocprim26transform_input_iterator_tIbNSD_35transform_pair_of_input_iterators_tIbNS6_6detail15normal_iteratorINS6_10device_ptrIKsEEEESL_NS6_8equal_toIsEEEENSG_9not_fun_tINSD_8identityEEEEENSD_19counting_iterator_tIlEES8_S8_S8_S8_S8_S8_S8_S8_EEEEPS9_S9_NSD_9__find_if7functorIS9_EEEE10hipError_tPvRmT1_T2_T3_mT4_P12ihipStream_tbEUlT_E1_NS1_11comp_targetILNS1_3genE10ELNS1_11target_archE1200ELNS1_3gpuE4ELNS1_3repE0EEENS1_30default_config_static_selectorELNS0_4arch9wavefront6targetE0EEEvS14_,@function
_ZN7rocprim17ROCPRIM_400000_NS6detail17trampoline_kernelINS0_14default_configENS1_22reduce_config_selectorIN6thrust23THRUST_200600_302600_NS5tupleIblNS6_9null_typeES8_S8_S8_S8_S8_S8_S8_EEEEZNS1_11reduce_implILb1ES3_NS6_12zip_iteratorINS7_INS6_11hip_rocprim26transform_input_iterator_tIbNSD_35transform_pair_of_input_iterators_tIbNS6_6detail15normal_iteratorINS6_10device_ptrIKsEEEESL_NS6_8equal_toIsEEEENSG_9not_fun_tINSD_8identityEEEEENSD_19counting_iterator_tIlEES8_S8_S8_S8_S8_S8_S8_S8_EEEEPS9_S9_NSD_9__find_if7functorIS9_EEEE10hipError_tPvRmT1_T2_T3_mT4_P12ihipStream_tbEUlT_E1_NS1_11comp_targetILNS1_3genE10ELNS1_11target_archE1200ELNS1_3gpuE4ELNS1_3repE0EEENS1_30default_config_static_selectorELNS0_4arch9wavefront6targetE0EEEvS14_: ; @_ZN7rocprim17ROCPRIM_400000_NS6detail17trampoline_kernelINS0_14default_configENS1_22reduce_config_selectorIN6thrust23THRUST_200600_302600_NS5tupleIblNS6_9null_typeES8_S8_S8_S8_S8_S8_S8_EEEEZNS1_11reduce_implILb1ES3_NS6_12zip_iteratorINS7_INS6_11hip_rocprim26transform_input_iterator_tIbNSD_35transform_pair_of_input_iterators_tIbNS6_6detail15normal_iteratorINS6_10device_ptrIKsEEEESL_NS6_8equal_toIsEEEENSG_9not_fun_tINSD_8identityEEEEENSD_19counting_iterator_tIlEES8_S8_S8_S8_S8_S8_S8_S8_EEEEPS9_S9_NSD_9__find_if7functorIS9_EEEE10hipError_tPvRmT1_T2_T3_mT4_P12ihipStream_tbEUlT_E1_NS1_11comp_targetILNS1_3genE10ELNS1_11target_archE1200ELNS1_3gpuE4ELNS1_3repE0EEENS1_30default_config_static_selectorELNS0_4arch9wavefront6targetE0EEEvS14_
; %bb.0:
	.section	.rodata,"a",@progbits
	.p2align	6, 0x0
	.amdhsa_kernel _ZN7rocprim17ROCPRIM_400000_NS6detail17trampoline_kernelINS0_14default_configENS1_22reduce_config_selectorIN6thrust23THRUST_200600_302600_NS5tupleIblNS6_9null_typeES8_S8_S8_S8_S8_S8_S8_EEEEZNS1_11reduce_implILb1ES3_NS6_12zip_iteratorINS7_INS6_11hip_rocprim26transform_input_iterator_tIbNSD_35transform_pair_of_input_iterators_tIbNS6_6detail15normal_iteratorINS6_10device_ptrIKsEEEESL_NS6_8equal_toIsEEEENSG_9not_fun_tINSD_8identityEEEEENSD_19counting_iterator_tIlEES8_S8_S8_S8_S8_S8_S8_S8_EEEEPS9_S9_NSD_9__find_if7functorIS9_EEEE10hipError_tPvRmT1_T2_T3_mT4_P12ihipStream_tbEUlT_E1_NS1_11comp_targetILNS1_3genE10ELNS1_11target_archE1200ELNS1_3gpuE4ELNS1_3repE0EEENS1_30default_config_static_selectorELNS0_4arch9wavefront6targetE0EEEvS14_
		.amdhsa_group_segment_fixed_size 0
		.amdhsa_private_segment_fixed_size 0
		.amdhsa_kernarg_size 88
		.amdhsa_user_sgpr_count 2
		.amdhsa_user_sgpr_dispatch_ptr 0
		.amdhsa_user_sgpr_queue_ptr 0
		.amdhsa_user_sgpr_kernarg_segment_ptr 1
		.amdhsa_user_sgpr_dispatch_id 0
		.amdhsa_user_sgpr_kernarg_preload_length 0
		.amdhsa_user_sgpr_kernarg_preload_offset 0
		.amdhsa_user_sgpr_private_segment_size 0
		.amdhsa_wavefront_size32 1
		.amdhsa_uses_dynamic_stack 0
		.amdhsa_enable_private_segment 0
		.amdhsa_system_sgpr_workgroup_id_x 1
		.amdhsa_system_sgpr_workgroup_id_y 0
		.amdhsa_system_sgpr_workgroup_id_z 0
		.amdhsa_system_sgpr_workgroup_info 0
		.amdhsa_system_vgpr_workitem_id 0
		.amdhsa_next_free_vgpr 1
		.amdhsa_next_free_sgpr 1
		.amdhsa_named_barrier_count 0
		.amdhsa_reserve_vcc 0
		.amdhsa_float_round_mode_32 0
		.amdhsa_float_round_mode_16_64 0
		.amdhsa_float_denorm_mode_32 3
		.amdhsa_float_denorm_mode_16_64 3
		.amdhsa_fp16_overflow 0
		.amdhsa_memory_ordered 1
		.amdhsa_forward_progress 1
		.amdhsa_inst_pref_size 0
		.amdhsa_round_robin_scheduling 0
		.amdhsa_exception_fp_ieee_invalid_op 0
		.amdhsa_exception_fp_denorm_src 0
		.amdhsa_exception_fp_ieee_div_zero 0
		.amdhsa_exception_fp_ieee_overflow 0
		.amdhsa_exception_fp_ieee_underflow 0
		.amdhsa_exception_fp_ieee_inexact 0
		.amdhsa_exception_int_div_zero 0
	.end_amdhsa_kernel
	.section	.text._ZN7rocprim17ROCPRIM_400000_NS6detail17trampoline_kernelINS0_14default_configENS1_22reduce_config_selectorIN6thrust23THRUST_200600_302600_NS5tupleIblNS6_9null_typeES8_S8_S8_S8_S8_S8_S8_EEEEZNS1_11reduce_implILb1ES3_NS6_12zip_iteratorINS7_INS6_11hip_rocprim26transform_input_iterator_tIbNSD_35transform_pair_of_input_iterators_tIbNS6_6detail15normal_iteratorINS6_10device_ptrIKsEEEESL_NS6_8equal_toIsEEEENSG_9not_fun_tINSD_8identityEEEEENSD_19counting_iterator_tIlEES8_S8_S8_S8_S8_S8_S8_S8_EEEEPS9_S9_NSD_9__find_if7functorIS9_EEEE10hipError_tPvRmT1_T2_T3_mT4_P12ihipStream_tbEUlT_E1_NS1_11comp_targetILNS1_3genE10ELNS1_11target_archE1200ELNS1_3gpuE4ELNS1_3repE0EEENS1_30default_config_static_selectorELNS0_4arch9wavefront6targetE0EEEvS14_,"axG",@progbits,_ZN7rocprim17ROCPRIM_400000_NS6detail17trampoline_kernelINS0_14default_configENS1_22reduce_config_selectorIN6thrust23THRUST_200600_302600_NS5tupleIblNS6_9null_typeES8_S8_S8_S8_S8_S8_S8_EEEEZNS1_11reduce_implILb1ES3_NS6_12zip_iteratorINS7_INS6_11hip_rocprim26transform_input_iterator_tIbNSD_35transform_pair_of_input_iterators_tIbNS6_6detail15normal_iteratorINS6_10device_ptrIKsEEEESL_NS6_8equal_toIsEEEENSG_9not_fun_tINSD_8identityEEEEENSD_19counting_iterator_tIlEES8_S8_S8_S8_S8_S8_S8_S8_EEEEPS9_S9_NSD_9__find_if7functorIS9_EEEE10hipError_tPvRmT1_T2_T3_mT4_P12ihipStream_tbEUlT_E1_NS1_11comp_targetILNS1_3genE10ELNS1_11target_archE1200ELNS1_3gpuE4ELNS1_3repE0EEENS1_30default_config_static_selectorELNS0_4arch9wavefront6targetE0EEEvS14_,comdat
.Lfunc_end313:
	.size	_ZN7rocprim17ROCPRIM_400000_NS6detail17trampoline_kernelINS0_14default_configENS1_22reduce_config_selectorIN6thrust23THRUST_200600_302600_NS5tupleIblNS6_9null_typeES8_S8_S8_S8_S8_S8_S8_EEEEZNS1_11reduce_implILb1ES3_NS6_12zip_iteratorINS7_INS6_11hip_rocprim26transform_input_iterator_tIbNSD_35transform_pair_of_input_iterators_tIbNS6_6detail15normal_iteratorINS6_10device_ptrIKsEEEESL_NS6_8equal_toIsEEEENSG_9not_fun_tINSD_8identityEEEEENSD_19counting_iterator_tIlEES8_S8_S8_S8_S8_S8_S8_S8_EEEEPS9_S9_NSD_9__find_if7functorIS9_EEEE10hipError_tPvRmT1_T2_T3_mT4_P12ihipStream_tbEUlT_E1_NS1_11comp_targetILNS1_3genE10ELNS1_11target_archE1200ELNS1_3gpuE4ELNS1_3repE0EEENS1_30default_config_static_selectorELNS0_4arch9wavefront6targetE0EEEvS14_, .Lfunc_end313-_ZN7rocprim17ROCPRIM_400000_NS6detail17trampoline_kernelINS0_14default_configENS1_22reduce_config_selectorIN6thrust23THRUST_200600_302600_NS5tupleIblNS6_9null_typeES8_S8_S8_S8_S8_S8_S8_EEEEZNS1_11reduce_implILb1ES3_NS6_12zip_iteratorINS7_INS6_11hip_rocprim26transform_input_iterator_tIbNSD_35transform_pair_of_input_iterators_tIbNS6_6detail15normal_iteratorINS6_10device_ptrIKsEEEESL_NS6_8equal_toIsEEEENSG_9not_fun_tINSD_8identityEEEEENSD_19counting_iterator_tIlEES8_S8_S8_S8_S8_S8_S8_S8_EEEEPS9_S9_NSD_9__find_if7functorIS9_EEEE10hipError_tPvRmT1_T2_T3_mT4_P12ihipStream_tbEUlT_E1_NS1_11comp_targetILNS1_3genE10ELNS1_11target_archE1200ELNS1_3gpuE4ELNS1_3repE0EEENS1_30default_config_static_selectorELNS0_4arch9wavefront6targetE0EEEvS14_
                                        ; -- End function
	.set _ZN7rocprim17ROCPRIM_400000_NS6detail17trampoline_kernelINS0_14default_configENS1_22reduce_config_selectorIN6thrust23THRUST_200600_302600_NS5tupleIblNS6_9null_typeES8_S8_S8_S8_S8_S8_S8_EEEEZNS1_11reduce_implILb1ES3_NS6_12zip_iteratorINS7_INS6_11hip_rocprim26transform_input_iterator_tIbNSD_35transform_pair_of_input_iterators_tIbNS6_6detail15normal_iteratorINS6_10device_ptrIKsEEEESL_NS6_8equal_toIsEEEENSG_9not_fun_tINSD_8identityEEEEENSD_19counting_iterator_tIlEES8_S8_S8_S8_S8_S8_S8_S8_EEEEPS9_S9_NSD_9__find_if7functorIS9_EEEE10hipError_tPvRmT1_T2_T3_mT4_P12ihipStream_tbEUlT_E1_NS1_11comp_targetILNS1_3genE10ELNS1_11target_archE1200ELNS1_3gpuE4ELNS1_3repE0EEENS1_30default_config_static_selectorELNS0_4arch9wavefront6targetE0EEEvS14_.num_vgpr, 0
	.set _ZN7rocprim17ROCPRIM_400000_NS6detail17trampoline_kernelINS0_14default_configENS1_22reduce_config_selectorIN6thrust23THRUST_200600_302600_NS5tupleIblNS6_9null_typeES8_S8_S8_S8_S8_S8_S8_EEEEZNS1_11reduce_implILb1ES3_NS6_12zip_iteratorINS7_INS6_11hip_rocprim26transform_input_iterator_tIbNSD_35transform_pair_of_input_iterators_tIbNS6_6detail15normal_iteratorINS6_10device_ptrIKsEEEESL_NS6_8equal_toIsEEEENSG_9not_fun_tINSD_8identityEEEEENSD_19counting_iterator_tIlEES8_S8_S8_S8_S8_S8_S8_S8_EEEEPS9_S9_NSD_9__find_if7functorIS9_EEEE10hipError_tPvRmT1_T2_T3_mT4_P12ihipStream_tbEUlT_E1_NS1_11comp_targetILNS1_3genE10ELNS1_11target_archE1200ELNS1_3gpuE4ELNS1_3repE0EEENS1_30default_config_static_selectorELNS0_4arch9wavefront6targetE0EEEvS14_.num_agpr, 0
	.set _ZN7rocprim17ROCPRIM_400000_NS6detail17trampoline_kernelINS0_14default_configENS1_22reduce_config_selectorIN6thrust23THRUST_200600_302600_NS5tupleIblNS6_9null_typeES8_S8_S8_S8_S8_S8_S8_EEEEZNS1_11reduce_implILb1ES3_NS6_12zip_iteratorINS7_INS6_11hip_rocprim26transform_input_iterator_tIbNSD_35transform_pair_of_input_iterators_tIbNS6_6detail15normal_iteratorINS6_10device_ptrIKsEEEESL_NS6_8equal_toIsEEEENSG_9not_fun_tINSD_8identityEEEEENSD_19counting_iterator_tIlEES8_S8_S8_S8_S8_S8_S8_S8_EEEEPS9_S9_NSD_9__find_if7functorIS9_EEEE10hipError_tPvRmT1_T2_T3_mT4_P12ihipStream_tbEUlT_E1_NS1_11comp_targetILNS1_3genE10ELNS1_11target_archE1200ELNS1_3gpuE4ELNS1_3repE0EEENS1_30default_config_static_selectorELNS0_4arch9wavefront6targetE0EEEvS14_.numbered_sgpr, 0
	.set _ZN7rocprim17ROCPRIM_400000_NS6detail17trampoline_kernelINS0_14default_configENS1_22reduce_config_selectorIN6thrust23THRUST_200600_302600_NS5tupleIblNS6_9null_typeES8_S8_S8_S8_S8_S8_S8_EEEEZNS1_11reduce_implILb1ES3_NS6_12zip_iteratorINS7_INS6_11hip_rocprim26transform_input_iterator_tIbNSD_35transform_pair_of_input_iterators_tIbNS6_6detail15normal_iteratorINS6_10device_ptrIKsEEEESL_NS6_8equal_toIsEEEENSG_9not_fun_tINSD_8identityEEEEENSD_19counting_iterator_tIlEES8_S8_S8_S8_S8_S8_S8_S8_EEEEPS9_S9_NSD_9__find_if7functorIS9_EEEE10hipError_tPvRmT1_T2_T3_mT4_P12ihipStream_tbEUlT_E1_NS1_11comp_targetILNS1_3genE10ELNS1_11target_archE1200ELNS1_3gpuE4ELNS1_3repE0EEENS1_30default_config_static_selectorELNS0_4arch9wavefront6targetE0EEEvS14_.num_named_barrier, 0
	.set _ZN7rocprim17ROCPRIM_400000_NS6detail17trampoline_kernelINS0_14default_configENS1_22reduce_config_selectorIN6thrust23THRUST_200600_302600_NS5tupleIblNS6_9null_typeES8_S8_S8_S8_S8_S8_S8_EEEEZNS1_11reduce_implILb1ES3_NS6_12zip_iteratorINS7_INS6_11hip_rocprim26transform_input_iterator_tIbNSD_35transform_pair_of_input_iterators_tIbNS6_6detail15normal_iteratorINS6_10device_ptrIKsEEEESL_NS6_8equal_toIsEEEENSG_9not_fun_tINSD_8identityEEEEENSD_19counting_iterator_tIlEES8_S8_S8_S8_S8_S8_S8_S8_EEEEPS9_S9_NSD_9__find_if7functorIS9_EEEE10hipError_tPvRmT1_T2_T3_mT4_P12ihipStream_tbEUlT_E1_NS1_11comp_targetILNS1_3genE10ELNS1_11target_archE1200ELNS1_3gpuE4ELNS1_3repE0EEENS1_30default_config_static_selectorELNS0_4arch9wavefront6targetE0EEEvS14_.private_seg_size, 0
	.set _ZN7rocprim17ROCPRIM_400000_NS6detail17trampoline_kernelINS0_14default_configENS1_22reduce_config_selectorIN6thrust23THRUST_200600_302600_NS5tupleIblNS6_9null_typeES8_S8_S8_S8_S8_S8_S8_EEEEZNS1_11reduce_implILb1ES3_NS6_12zip_iteratorINS7_INS6_11hip_rocprim26transform_input_iterator_tIbNSD_35transform_pair_of_input_iterators_tIbNS6_6detail15normal_iteratorINS6_10device_ptrIKsEEEESL_NS6_8equal_toIsEEEENSG_9not_fun_tINSD_8identityEEEEENSD_19counting_iterator_tIlEES8_S8_S8_S8_S8_S8_S8_S8_EEEEPS9_S9_NSD_9__find_if7functorIS9_EEEE10hipError_tPvRmT1_T2_T3_mT4_P12ihipStream_tbEUlT_E1_NS1_11comp_targetILNS1_3genE10ELNS1_11target_archE1200ELNS1_3gpuE4ELNS1_3repE0EEENS1_30default_config_static_selectorELNS0_4arch9wavefront6targetE0EEEvS14_.uses_vcc, 0
	.set _ZN7rocprim17ROCPRIM_400000_NS6detail17trampoline_kernelINS0_14default_configENS1_22reduce_config_selectorIN6thrust23THRUST_200600_302600_NS5tupleIblNS6_9null_typeES8_S8_S8_S8_S8_S8_S8_EEEEZNS1_11reduce_implILb1ES3_NS6_12zip_iteratorINS7_INS6_11hip_rocprim26transform_input_iterator_tIbNSD_35transform_pair_of_input_iterators_tIbNS6_6detail15normal_iteratorINS6_10device_ptrIKsEEEESL_NS6_8equal_toIsEEEENSG_9not_fun_tINSD_8identityEEEEENSD_19counting_iterator_tIlEES8_S8_S8_S8_S8_S8_S8_S8_EEEEPS9_S9_NSD_9__find_if7functorIS9_EEEE10hipError_tPvRmT1_T2_T3_mT4_P12ihipStream_tbEUlT_E1_NS1_11comp_targetILNS1_3genE10ELNS1_11target_archE1200ELNS1_3gpuE4ELNS1_3repE0EEENS1_30default_config_static_selectorELNS0_4arch9wavefront6targetE0EEEvS14_.uses_flat_scratch, 0
	.set _ZN7rocprim17ROCPRIM_400000_NS6detail17trampoline_kernelINS0_14default_configENS1_22reduce_config_selectorIN6thrust23THRUST_200600_302600_NS5tupleIblNS6_9null_typeES8_S8_S8_S8_S8_S8_S8_EEEEZNS1_11reduce_implILb1ES3_NS6_12zip_iteratorINS7_INS6_11hip_rocprim26transform_input_iterator_tIbNSD_35transform_pair_of_input_iterators_tIbNS6_6detail15normal_iteratorINS6_10device_ptrIKsEEEESL_NS6_8equal_toIsEEEENSG_9not_fun_tINSD_8identityEEEEENSD_19counting_iterator_tIlEES8_S8_S8_S8_S8_S8_S8_S8_EEEEPS9_S9_NSD_9__find_if7functorIS9_EEEE10hipError_tPvRmT1_T2_T3_mT4_P12ihipStream_tbEUlT_E1_NS1_11comp_targetILNS1_3genE10ELNS1_11target_archE1200ELNS1_3gpuE4ELNS1_3repE0EEENS1_30default_config_static_selectorELNS0_4arch9wavefront6targetE0EEEvS14_.has_dyn_sized_stack, 0
	.set _ZN7rocprim17ROCPRIM_400000_NS6detail17trampoline_kernelINS0_14default_configENS1_22reduce_config_selectorIN6thrust23THRUST_200600_302600_NS5tupleIblNS6_9null_typeES8_S8_S8_S8_S8_S8_S8_EEEEZNS1_11reduce_implILb1ES3_NS6_12zip_iteratorINS7_INS6_11hip_rocprim26transform_input_iterator_tIbNSD_35transform_pair_of_input_iterators_tIbNS6_6detail15normal_iteratorINS6_10device_ptrIKsEEEESL_NS6_8equal_toIsEEEENSG_9not_fun_tINSD_8identityEEEEENSD_19counting_iterator_tIlEES8_S8_S8_S8_S8_S8_S8_S8_EEEEPS9_S9_NSD_9__find_if7functorIS9_EEEE10hipError_tPvRmT1_T2_T3_mT4_P12ihipStream_tbEUlT_E1_NS1_11comp_targetILNS1_3genE10ELNS1_11target_archE1200ELNS1_3gpuE4ELNS1_3repE0EEENS1_30default_config_static_selectorELNS0_4arch9wavefront6targetE0EEEvS14_.has_recursion, 0
	.set _ZN7rocprim17ROCPRIM_400000_NS6detail17trampoline_kernelINS0_14default_configENS1_22reduce_config_selectorIN6thrust23THRUST_200600_302600_NS5tupleIblNS6_9null_typeES8_S8_S8_S8_S8_S8_S8_EEEEZNS1_11reduce_implILb1ES3_NS6_12zip_iteratorINS7_INS6_11hip_rocprim26transform_input_iterator_tIbNSD_35transform_pair_of_input_iterators_tIbNS6_6detail15normal_iteratorINS6_10device_ptrIKsEEEESL_NS6_8equal_toIsEEEENSG_9not_fun_tINSD_8identityEEEEENSD_19counting_iterator_tIlEES8_S8_S8_S8_S8_S8_S8_S8_EEEEPS9_S9_NSD_9__find_if7functorIS9_EEEE10hipError_tPvRmT1_T2_T3_mT4_P12ihipStream_tbEUlT_E1_NS1_11comp_targetILNS1_3genE10ELNS1_11target_archE1200ELNS1_3gpuE4ELNS1_3repE0EEENS1_30default_config_static_selectorELNS0_4arch9wavefront6targetE0EEEvS14_.has_indirect_call, 0
	.section	.AMDGPU.csdata,"",@progbits
; Kernel info:
; codeLenInByte = 0
; TotalNumSgprs: 0
; NumVgprs: 0
; ScratchSize: 0
; MemoryBound: 0
; FloatMode: 240
; IeeeMode: 1
; LDSByteSize: 0 bytes/workgroup (compile time only)
; SGPRBlocks: 0
; VGPRBlocks: 0
; NumSGPRsForWavesPerEU: 1
; NumVGPRsForWavesPerEU: 1
; NamedBarCnt: 0
; Occupancy: 16
; WaveLimiterHint : 0
; COMPUTE_PGM_RSRC2:SCRATCH_EN: 0
; COMPUTE_PGM_RSRC2:USER_SGPR: 2
; COMPUTE_PGM_RSRC2:TRAP_HANDLER: 0
; COMPUTE_PGM_RSRC2:TGID_X_EN: 1
; COMPUTE_PGM_RSRC2:TGID_Y_EN: 0
; COMPUTE_PGM_RSRC2:TGID_Z_EN: 0
; COMPUTE_PGM_RSRC2:TIDIG_COMP_CNT: 0
	.section	.text._ZN7rocprim17ROCPRIM_400000_NS6detail17trampoline_kernelINS0_14default_configENS1_22reduce_config_selectorIN6thrust23THRUST_200600_302600_NS5tupleIblNS6_9null_typeES8_S8_S8_S8_S8_S8_S8_EEEEZNS1_11reduce_implILb1ES3_NS6_12zip_iteratorINS7_INS6_11hip_rocprim26transform_input_iterator_tIbNSD_35transform_pair_of_input_iterators_tIbNS6_6detail15normal_iteratorINS6_10device_ptrIKsEEEESL_NS6_8equal_toIsEEEENSG_9not_fun_tINSD_8identityEEEEENSD_19counting_iterator_tIlEES8_S8_S8_S8_S8_S8_S8_S8_EEEEPS9_S9_NSD_9__find_if7functorIS9_EEEE10hipError_tPvRmT1_T2_T3_mT4_P12ihipStream_tbEUlT_E1_NS1_11comp_targetILNS1_3genE9ELNS1_11target_archE1100ELNS1_3gpuE3ELNS1_3repE0EEENS1_30default_config_static_selectorELNS0_4arch9wavefront6targetE0EEEvS14_,"axG",@progbits,_ZN7rocprim17ROCPRIM_400000_NS6detail17trampoline_kernelINS0_14default_configENS1_22reduce_config_selectorIN6thrust23THRUST_200600_302600_NS5tupleIblNS6_9null_typeES8_S8_S8_S8_S8_S8_S8_EEEEZNS1_11reduce_implILb1ES3_NS6_12zip_iteratorINS7_INS6_11hip_rocprim26transform_input_iterator_tIbNSD_35transform_pair_of_input_iterators_tIbNS6_6detail15normal_iteratorINS6_10device_ptrIKsEEEESL_NS6_8equal_toIsEEEENSG_9not_fun_tINSD_8identityEEEEENSD_19counting_iterator_tIlEES8_S8_S8_S8_S8_S8_S8_S8_EEEEPS9_S9_NSD_9__find_if7functorIS9_EEEE10hipError_tPvRmT1_T2_T3_mT4_P12ihipStream_tbEUlT_E1_NS1_11comp_targetILNS1_3genE9ELNS1_11target_archE1100ELNS1_3gpuE3ELNS1_3repE0EEENS1_30default_config_static_selectorELNS0_4arch9wavefront6targetE0EEEvS14_,comdat
	.protected	_ZN7rocprim17ROCPRIM_400000_NS6detail17trampoline_kernelINS0_14default_configENS1_22reduce_config_selectorIN6thrust23THRUST_200600_302600_NS5tupleIblNS6_9null_typeES8_S8_S8_S8_S8_S8_S8_EEEEZNS1_11reduce_implILb1ES3_NS6_12zip_iteratorINS7_INS6_11hip_rocprim26transform_input_iterator_tIbNSD_35transform_pair_of_input_iterators_tIbNS6_6detail15normal_iteratorINS6_10device_ptrIKsEEEESL_NS6_8equal_toIsEEEENSG_9not_fun_tINSD_8identityEEEEENSD_19counting_iterator_tIlEES8_S8_S8_S8_S8_S8_S8_S8_EEEEPS9_S9_NSD_9__find_if7functorIS9_EEEE10hipError_tPvRmT1_T2_T3_mT4_P12ihipStream_tbEUlT_E1_NS1_11comp_targetILNS1_3genE9ELNS1_11target_archE1100ELNS1_3gpuE3ELNS1_3repE0EEENS1_30default_config_static_selectorELNS0_4arch9wavefront6targetE0EEEvS14_ ; -- Begin function _ZN7rocprim17ROCPRIM_400000_NS6detail17trampoline_kernelINS0_14default_configENS1_22reduce_config_selectorIN6thrust23THRUST_200600_302600_NS5tupleIblNS6_9null_typeES8_S8_S8_S8_S8_S8_S8_EEEEZNS1_11reduce_implILb1ES3_NS6_12zip_iteratorINS7_INS6_11hip_rocprim26transform_input_iterator_tIbNSD_35transform_pair_of_input_iterators_tIbNS6_6detail15normal_iteratorINS6_10device_ptrIKsEEEESL_NS6_8equal_toIsEEEENSG_9not_fun_tINSD_8identityEEEEENSD_19counting_iterator_tIlEES8_S8_S8_S8_S8_S8_S8_S8_EEEEPS9_S9_NSD_9__find_if7functorIS9_EEEE10hipError_tPvRmT1_T2_T3_mT4_P12ihipStream_tbEUlT_E1_NS1_11comp_targetILNS1_3genE9ELNS1_11target_archE1100ELNS1_3gpuE3ELNS1_3repE0EEENS1_30default_config_static_selectorELNS0_4arch9wavefront6targetE0EEEvS14_
	.globl	_ZN7rocprim17ROCPRIM_400000_NS6detail17trampoline_kernelINS0_14default_configENS1_22reduce_config_selectorIN6thrust23THRUST_200600_302600_NS5tupleIblNS6_9null_typeES8_S8_S8_S8_S8_S8_S8_EEEEZNS1_11reduce_implILb1ES3_NS6_12zip_iteratorINS7_INS6_11hip_rocprim26transform_input_iterator_tIbNSD_35transform_pair_of_input_iterators_tIbNS6_6detail15normal_iteratorINS6_10device_ptrIKsEEEESL_NS6_8equal_toIsEEEENSG_9not_fun_tINSD_8identityEEEEENSD_19counting_iterator_tIlEES8_S8_S8_S8_S8_S8_S8_S8_EEEEPS9_S9_NSD_9__find_if7functorIS9_EEEE10hipError_tPvRmT1_T2_T3_mT4_P12ihipStream_tbEUlT_E1_NS1_11comp_targetILNS1_3genE9ELNS1_11target_archE1100ELNS1_3gpuE3ELNS1_3repE0EEENS1_30default_config_static_selectorELNS0_4arch9wavefront6targetE0EEEvS14_
	.p2align	8
	.type	_ZN7rocprim17ROCPRIM_400000_NS6detail17trampoline_kernelINS0_14default_configENS1_22reduce_config_selectorIN6thrust23THRUST_200600_302600_NS5tupleIblNS6_9null_typeES8_S8_S8_S8_S8_S8_S8_EEEEZNS1_11reduce_implILb1ES3_NS6_12zip_iteratorINS7_INS6_11hip_rocprim26transform_input_iterator_tIbNSD_35transform_pair_of_input_iterators_tIbNS6_6detail15normal_iteratorINS6_10device_ptrIKsEEEESL_NS6_8equal_toIsEEEENSG_9not_fun_tINSD_8identityEEEEENSD_19counting_iterator_tIlEES8_S8_S8_S8_S8_S8_S8_S8_EEEEPS9_S9_NSD_9__find_if7functorIS9_EEEE10hipError_tPvRmT1_T2_T3_mT4_P12ihipStream_tbEUlT_E1_NS1_11comp_targetILNS1_3genE9ELNS1_11target_archE1100ELNS1_3gpuE3ELNS1_3repE0EEENS1_30default_config_static_selectorELNS0_4arch9wavefront6targetE0EEEvS14_,@function
_ZN7rocprim17ROCPRIM_400000_NS6detail17trampoline_kernelINS0_14default_configENS1_22reduce_config_selectorIN6thrust23THRUST_200600_302600_NS5tupleIblNS6_9null_typeES8_S8_S8_S8_S8_S8_S8_EEEEZNS1_11reduce_implILb1ES3_NS6_12zip_iteratorINS7_INS6_11hip_rocprim26transform_input_iterator_tIbNSD_35transform_pair_of_input_iterators_tIbNS6_6detail15normal_iteratorINS6_10device_ptrIKsEEEESL_NS6_8equal_toIsEEEENSG_9not_fun_tINSD_8identityEEEEENSD_19counting_iterator_tIlEES8_S8_S8_S8_S8_S8_S8_S8_EEEEPS9_S9_NSD_9__find_if7functorIS9_EEEE10hipError_tPvRmT1_T2_T3_mT4_P12ihipStream_tbEUlT_E1_NS1_11comp_targetILNS1_3genE9ELNS1_11target_archE1100ELNS1_3gpuE3ELNS1_3repE0EEENS1_30default_config_static_selectorELNS0_4arch9wavefront6targetE0EEEvS14_: ; @_ZN7rocprim17ROCPRIM_400000_NS6detail17trampoline_kernelINS0_14default_configENS1_22reduce_config_selectorIN6thrust23THRUST_200600_302600_NS5tupleIblNS6_9null_typeES8_S8_S8_S8_S8_S8_S8_EEEEZNS1_11reduce_implILb1ES3_NS6_12zip_iteratorINS7_INS6_11hip_rocprim26transform_input_iterator_tIbNSD_35transform_pair_of_input_iterators_tIbNS6_6detail15normal_iteratorINS6_10device_ptrIKsEEEESL_NS6_8equal_toIsEEEENSG_9not_fun_tINSD_8identityEEEEENSD_19counting_iterator_tIlEES8_S8_S8_S8_S8_S8_S8_S8_EEEEPS9_S9_NSD_9__find_if7functorIS9_EEEE10hipError_tPvRmT1_T2_T3_mT4_P12ihipStream_tbEUlT_E1_NS1_11comp_targetILNS1_3genE9ELNS1_11target_archE1100ELNS1_3gpuE3ELNS1_3repE0EEENS1_30default_config_static_selectorELNS0_4arch9wavefront6targetE0EEEvS14_
; %bb.0:
	.section	.rodata,"a",@progbits
	.p2align	6, 0x0
	.amdhsa_kernel _ZN7rocprim17ROCPRIM_400000_NS6detail17trampoline_kernelINS0_14default_configENS1_22reduce_config_selectorIN6thrust23THRUST_200600_302600_NS5tupleIblNS6_9null_typeES8_S8_S8_S8_S8_S8_S8_EEEEZNS1_11reduce_implILb1ES3_NS6_12zip_iteratorINS7_INS6_11hip_rocprim26transform_input_iterator_tIbNSD_35transform_pair_of_input_iterators_tIbNS6_6detail15normal_iteratorINS6_10device_ptrIKsEEEESL_NS6_8equal_toIsEEEENSG_9not_fun_tINSD_8identityEEEEENSD_19counting_iterator_tIlEES8_S8_S8_S8_S8_S8_S8_S8_EEEEPS9_S9_NSD_9__find_if7functorIS9_EEEE10hipError_tPvRmT1_T2_T3_mT4_P12ihipStream_tbEUlT_E1_NS1_11comp_targetILNS1_3genE9ELNS1_11target_archE1100ELNS1_3gpuE3ELNS1_3repE0EEENS1_30default_config_static_selectorELNS0_4arch9wavefront6targetE0EEEvS14_
		.amdhsa_group_segment_fixed_size 0
		.amdhsa_private_segment_fixed_size 0
		.amdhsa_kernarg_size 88
		.amdhsa_user_sgpr_count 2
		.amdhsa_user_sgpr_dispatch_ptr 0
		.amdhsa_user_sgpr_queue_ptr 0
		.amdhsa_user_sgpr_kernarg_segment_ptr 1
		.amdhsa_user_sgpr_dispatch_id 0
		.amdhsa_user_sgpr_kernarg_preload_length 0
		.amdhsa_user_sgpr_kernarg_preload_offset 0
		.amdhsa_user_sgpr_private_segment_size 0
		.amdhsa_wavefront_size32 1
		.amdhsa_uses_dynamic_stack 0
		.amdhsa_enable_private_segment 0
		.amdhsa_system_sgpr_workgroup_id_x 1
		.amdhsa_system_sgpr_workgroup_id_y 0
		.amdhsa_system_sgpr_workgroup_id_z 0
		.amdhsa_system_sgpr_workgroup_info 0
		.amdhsa_system_vgpr_workitem_id 0
		.amdhsa_next_free_vgpr 1
		.amdhsa_next_free_sgpr 1
		.amdhsa_named_barrier_count 0
		.amdhsa_reserve_vcc 0
		.amdhsa_float_round_mode_32 0
		.amdhsa_float_round_mode_16_64 0
		.amdhsa_float_denorm_mode_32 3
		.amdhsa_float_denorm_mode_16_64 3
		.amdhsa_fp16_overflow 0
		.amdhsa_memory_ordered 1
		.amdhsa_forward_progress 1
		.amdhsa_inst_pref_size 0
		.amdhsa_round_robin_scheduling 0
		.amdhsa_exception_fp_ieee_invalid_op 0
		.amdhsa_exception_fp_denorm_src 0
		.amdhsa_exception_fp_ieee_div_zero 0
		.amdhsa_exception_fp_ieee_overflow 0
		.amdhsa_exception_fp_ieee_underflow 0
		.amdhsa_exception_fp_ieee_inexact 0
		.amdhsa_exception_int_div_zero 0
	.end_amdhsa_kernel
	.section	.text._ZN7rocprim17ROCPRIM_400000_NS6detail17trampoline_kernelINS0_14default_configENS1_22reduce_config_selectorIN6thrust23THRUST_200600_302600_NS5tupleIblNS6_9null_typeES8_S8_S8_S8_S8_S8_S8_EEEEZNS1_11reduce_implILb1ES3_NS6_12zip_iteratorINS7_INS6_11hip_rocprim26transform_input_iterator_tIbNSD_35transform_pair_of_input_iterators_tIbNS6_6detail15normal_iteratorINS6_10device_ptrIKsEEEESL_NS6_8equal_toIsEEEENSG_9not_fun_tINSD_8identityEEEEENSD_19counting_iterator_tIlEES8_S8_S8_S8_S8_S8_S8_S8_EEEEPS9_S9_NSD_9__find_if7functorIS9_EEEE10hipError_tPvRmT1_T2_T3_mT4_P12ihipStream_tbEUlT_E1_NS1_11comp_targetILNS1_3genE9ELNS1_11target_archE1100ELNS1_3gpuE3ELNS1_3repE0EEENS1_30default_config_static_selectorELNS0_4arch9wavefront6targetE0EEEvS14_,"axG",@progbits,_ZN7rocprim17ROCPRIM_400000_NS6detail17trampoline_kernelINS0_14default_configENS1_22reduce_config_selectorIN6thrust23THRUST_200600_302600_NS5tupleIblNS6_9null_typeES8_S8_S8_S8_S8_S8_S8_EEEEZNS1_11reduce_implILb1ES3_NS6_12zip_iteratorINS7_INS6_11hip_rocprim26transform_input_iterator_tIbNSD_35transform_pair_of_input_iterators_tIbNS6_6detail15normal_iteratorINS6_10device_ptrIKsEEEESL_NS6_8equal_toIsEEEENSG_9not_fun_tINSD_8identityEEEEENSD_19counting_iterator_tIlEES8_S8_S8_S8_S8_S8_S8_S8_EEEEPS9_S9_NSD_9__find_if7functorIS9_EEEE10hipError_tPvRmT1_T2_T3_mT4_P12ihipStream_tbEUlT_E1_NS1_11comp_targetILNS1_3genE9ELNS1_11target_archE1100ELNS1_3gpuE3ELNS1_3repE0EEENS1_30default_config_static_selectorELNS0_4arch9wavefront6targetE0EEEvS14_,comdat
.Lfunc_end314:
	.size	_ZN7rocprim17ROCPRIM_400000_NS6detail17trampoline_kernelINS0_14default_configENS1_22reduce_config_selectorIN6thrust23THRUST_200600_302600_NS5tupleIblNS6_9null_typeES8_S8_S8_S8_S8_S8_S8_EEEEZNS1_11reduce_implILb1ES3_NS6_12zip_iteratorINS7_INS6_11hip_rocprim26transform_input_iterator_tIbNSD_35transform_pair_of_input_iterators_tIbNS6_6detail15normal_iteratorINS6_10device_ptrIKsEEEESL_NS6_8equal_toIsEEEENSG_9not_fun_tINSD_8identityEEEEENSD_19counting_iterator_tIlEES8_S8_S8_S8_S8_S8_S8_S8_EEEEPS9_S9_NSD_9__find_if7functorIS9_EEEE10hipError_tPvRmT1_T2_T3_mT4_P12ihipStream_tbEUlT_E1_NS1_11comp_targetILNS1_3genE9ELNS1_11target_archE1100ELNS1_3gpuE3ELNS1_3repE0EEENS1_30default_config_static_selectorELNS0_4arch9wavefront6targetE0EEEvS14_, .Lfunc_end314-_ZN7rocprim17ROCPRIM_400000_NS6detail17trampoline_kernelINS0_14default_configENS1_22reduce_config_selectorIN6thrust23THRUST_200600_302600_NS5tupleIblNS6_9null_typeES8_S8_S8_S8_S8_S8_S8_EEEEZNS1_11reduce_implILb1ES3_NS6_12zip_iteratorINS7_INS6_11hip_rocprim26transform_input_iterator_tIbNSD_35transform_pair_of_input_iterators_tIbNS6_6detail15normal_iteratorINS6_10device_ptrIKsEEEESL_NS6_8equal_toIsEEEENSG_9not_fun_tINSD_8identityEEEEENSD_19counting_iterator_tIlEES8_S8_S8_S8_S8_S8_S8_S8_EEEEPS9_S9_NSD_9__find_if7functorIS9_EEEE10hipError_tPvRmT1_T2_T3_mT4_P12ihipStream_tbEUlT_E1_NS1_11comp_targetILNS1_3genE9ELNS1_11target_archE1100ELNS1_3gpuE3ELNS1_3repE0EEENS1_30default_config_static_selectorELNS0_4arch9wavefront6targetE0EEEvS14_
                                        ; -- End function
	.set _ZN7rocprim17ROCPRIM_400000_NS6detail17trampoline_kernelINS0_14default_configENS1_22reduce_config_selectorIN6thrust23THRUST_200600_302600_NS5tupleIblNS6_9null_typeES8_S8_S8_S8_S8_S8_S8_EEEEZNS1_11reduce_implILb1ES3_NS6_12zip_iteratorINS7_INS6_11hip_rocprim26transform_input_iterator_tIbNSD_35transform_pair_of_input_iterators_tIbNS6_6detail15normal_iteratorINS6_10device_ptrIKsEEEESL_NS6_8equal_toIsEEEENSG_9not_fun_tINSD_8identityEEEEENSD_19counting_iterator_tIlEES8_S8_S8_S8_S8_S8_S8_S8_EEEEPS9_S9_NSD_9__find_if7functorIS9_EEEE10hipError_tPvRmT1_T2_T3_mT4_P12ihipStream_tbEUlT_E1_NS1_11comp_targetILNS1_3genE9ELNS1_11target_archE1100ELNS1_3gpuE3ELNS1_3repE0EEENS1_30default_config_static_selectorELNS0_4arch9wavefront6targetE0EEEvS14_.num_vgpr, 0
	.set _ZN7rocprim17ROCPRIM_400000_NS6detail17trampoline_kernelINS0_14default_configENS1_22reduce_config_selectorIN6thrust23THRUST_200600_302600_NS5tupleIblNS6_9null_typeES8_S8_S8_S8_S8_S8_S8_EEEEZNS1_11reduce_implILb1ES3_NS6_12zip_iteratorINS7_INS6_11hip_rocprim26transform_input_iterator_tIbNSD_35transform_pair_of_input_iterators_tIbNS6_6detail15normal_iteratorINS6_10device_ptrIKsEEEESL_NS6_8equal_toIsEEEENSG_9not_fun_tINSD_8identityEEEEENSD_19counting_iterator_tIlEES8_S8_S8_S8_S8_S8_S8_S8_EEEEPS9_S9_NSD_9__find_if7functorIS9_EEEE10hipError_tPvRmT1_T2_T3_mT4_P12ihipStream_tbEUlT_E1_NS1_11comp_targetILNS1_3genE9ELNS1_11target_archE1100ELNS1_3gpuE3ELNS1_3repE0EEENS1_30default_config_static_selectorELNS0_4arch9wavefront6targetE0EEEvS14_.num_agpr, 0
	.set _ZN7rocprim17ROCPRIM_400000_NS6detail17trampoline_kernelINS0_14default_configENS1_22reduce_config_selectorIN6thrust23THRUST_200600_302600_NS5tupleIblNS6_9null_typeES8_S8_S8_S8_S8_S8_S8_EEEEZNS1_11reduce_implILb1ES3_NS6_12zip_iteratorINS7_INS6_11hip_rocprim26transform_input_iterator_tIbNSD_35transform_pair_of_input_iterators_tIbNS6_6detail15normal_iteratorINS6_10device_ptrIKsEEEESL_NS6_8equal_toIsEEEENSG_9not_fun_tINSD_8identityEEEEENSD_19counting_iterator_tIlEES8_S8_S8_S8_S8_S8_S8_S8_EEEEPS9_S9_NSD_9__find_if7functorIS9_EEEE10hipError_tPvRmT1_T2_T3_mT4_P12ihipStream_tbEUlT_E1_NS1_11comp_targetILNS1_3genE9ELNS1_11target_archE1100ELNS1_3gpuE3ELNS1_3repE0EEENS1_30default_config_static_selectorELNS0_4arch9wavefront6targetE0EEEvS14_.numbered_sgpr, 0
	.set _ZN7rocprim17ROCPRIM_400000_NS6detail17trampoline_kernelINS0_14default_configENS1_22reduce_config_selectorIN6thrust23THRUST_200600_302600_NS5tupleIblNS6_9null_typeES8_S8_S8_S8_S8_S8_S8_EEEEZNS1_11reduce_implILb1ES3_NS6_12zip_iteratorINS7_INS6_11hip_rocprim26transform_input_iterator_tIbNSD_35transform_pair_of_input_iterators_tIbNS6_6detail15normal_iteratorINS6_10device_ptrIKsEEEESL_NS6_8equal_toIsEEEENSG_9not_fun_tINSD_8identityEEEEENSD_19counting_iterator_tIlEES8_S8_S8_S8_S8_S8_S8_S8_EEEEPS9_S9_NSD_9__find_if7functorIS9_EEEE10hipError_tPvRmT1_T2_T3_mT4_P12ihipStream_tbEUlT_E1_NS1_11comp_targetILNS1_3genE9ELNS1_11target_archE1100ELNS1_3gpuE3ELNS1_3repE0EEENS1_30default_config_static_selectorELNS0_4arch9wavefront6targetE0EEEvS14_.num_named_barrier, 0
	.set _ZN7rocprim17ROCPRIM_400000_NS6detail17trampoline_kernelINS0_14default_configENS1_22reduce_config_selectorIN6thrust23THRUST_200600_302600_NS5tupleIblNS6_9null_typeES8_S8_S8_S8_S8_S8_S8_EEEEZNS1_11reduce_implILb1ES3_NS6_12zip_iteratorINS7_INS6_11hip_rocprim26transform_input_iterator_tIbNSD_35transform_pair_of_input_iterators_tIbNS6_6detail15normal_iteratorINS6_10device_ptrIKsEEEESL_NS6_8equal_toIsEEEENSG_9not_fun_tINSD_8identityEEEEENSD_19counting_iterator_tIlEES8_S8_S8_S8_S8_S8_S8_S8_EEEEPS9_S9_NSD_9__find_if7functorIS9_EEEE10hipError_tPvRmT1_T2_T3_mT4_P12ihipStream_tbEUlT_E1_NS1_11comp_targetILNS1_3genE9ELNS1_11target_archE1100ELNS1_3gpuE3ELNS1_3repE0EEENS1_30default_config_static_selectorELNS0_4arch9wavefront6targetE0EEEvS14_.private_seg_size, 0
	.set _ZN7rocprim17ROCPRIM_400000_NS6detail17trampoline_kernelINS0_14default_configENS1_22reduce_config_selectorIN6thrust23THRUST_200600_302600_NS5tupleIblNS6_9null_typeES8_S8_S8_S8_S8_S8_S8_EEEEZNS1_11reduce_implILb1ES3_NS6_12zip_iteratorINS7_INS6_11hip_rocprim26transform_input_iterator_tIbNSD_35transform_pair_of_input_iterators_tIbNS6_6detail15normal_iteratorINS6_10device_ptrIKsEEEESL_NS6_8equal_toIsEEEENSG_9not_fun_tINSD_8identityEEEEENSD_19counting_iterator_tIlEES8_S8_S8_S8_S8_S8_S8_S8_EEEEPS9_S9_NSD_9__find_if7functorIS9_EEEE10hipError_tPvRmT1_T2_T3_mT4_P12ihipStream_tbEUlT_E1_NS1_11comp_targetILNS1_3genE9ELNS1_11target_archE1100ELNS1_3gpuE3ELNS1_3repE0EEENS1_30default_config_static_selectorELNS0_4arch9wavefront6targetE0EEEvS14_.uses_vcc, 0
	.set _ZN7rocprim17ROCPRIM_400000_NS6detail17trampoline_kernelINS0_14default_configENS1_22reduce_config_selectorIN6thrust23THRUST_200600_302600_NS5tupleIblNS6_9null_typeES8_S8_S8_S8_S8_S8_S8_EEEEZNS1_11reduce_implILb1ES3_NS6_12zip_iteratorINS7_INS6_11hip_rocprim26transform_input_iterator_tIbNSD_35transform_pair_of_input_iterators_tIbNS6_6detail15normal_iteratorINS6_10device_ptrIKsEEEESL_NS6_8equal_toIsEEEENSG_9not_fun_tINSD_8identityEEEEENSD_19counting_iterator_tIlEES8_S8_S8_S8_S8_S8_S8_S8_EEEEPS9_S9_NSD_9__find_if7functorIS9_EEEE10hipError_tPvRmT1_T2_T3_mT4_P12ihipStream_tbEUlT_E1_NS1_11comp_targetILNS1_3genE9ELNS1_11target_archE1100ELNS1_3gpuE3ELNS1_3repE0EEENS1_30default_config_static_selectorELNS0_4arch9wavefront6targetE0EEEvS14_.uses_flat_scratch, 0
	.set _ZN7rocprim17ROCPRIM_400000_NS6detail17trampoline_kernelINS0_14default_configENS1_22reduce_config_selectorIN6thrust23THRUST_200600_302600_NS5tupleIblNS6_9null_typeES8_S8_S8_S8_S8_S8_S8_EEEEZNS1_11reduce_implILb1ES3_NS6_12zip_iteratorINS7_INS6_11hip_rocprim26transform_input_iterator_tIbNSD_35transform_pair_of_input_iterators_tIbNS6_6detail15normal_iteratorINS6_10device_ptrIKsEEEESL_NS6_8equal_toIsEEEENSG_9not_fun_tINSD_8identityEEEEENSD_19counting_iterator_tIlEES8_S8_S8_S8_S8_S8_S8_S8_EEEEPS9_S9_NSD_9__find_if7functorIS9_EEEE10hipError_tPvRmT1_T2_T3_mT4_P12ihipStream_tbEUlT_E1_NS1_11comp_targetILNS1_3genE9ELNS1_11target_archE1100ELNS1_3gpuE3ELNS1_3repE0EEENS1_30default_config_static_selectorELNS0_4arch9wavefront6targetE0EEEvS14_.has_dyn_sized_stack, 0
	.set _ZN7rocprim17ROCPRIM_400000_NS6detail17trampoline_kernelINS0_14default_configENS1_22reduce_config_selectorIN6thrust23THRUST_200600_302600_NS5tupleIblNS6_9null_typeES8_S8_S8_S8_S8_S8_S8_EEEEZNS1_11reduce_implILb1ES3_NS6_12zip_iteratorINS7_INS6_11hip_rocprim26transform_input_iterator_tIbNSD_35transform_pair_of_input_iterators_tIbNS6_6detail15normal_iteratorINS6_10device_ptrIKsEEEESL_NS6_8equal_toIsEEEENSG_9not_fun_tINSD_8identityEEEEENSD_19counting_iterator_tIlEES8_S8_S8_S8_S8_S8_S8_S8_EEEEPS9_S9_NSD_9__find_if7functorIS9_EEEE10hipError_tPvRmT1_T2_T3_mT4_P12ihipStream_tbEUlT_E1_NS1_11comp_targetILNS1_3genE9ELNS1_11target_archE1100ELNS1_3gpuE3ELNS1_3repE0EEENS1_30default_config_static_selectorELNS0_4arch9wavefront6targetE0EEEvS14_.has_recursion, 0
	.set _ZN7rocprim17ROCPRIM_400000_NS6detail17trampoline_kernelINS0_14default_configENS1_22reduce_config_selectorIN6thrust23THRUST_200600_302600_NS5tupleIblNS6_9null_typeES8_S8_S8_S8_S8_S8_S8_EEEEZNS1_11reduce_implILb1ES3_NS6_12zip_iteratorINS7_INS6_11hip_rocprim26transform_input_iterator_tIbNSD_35transform_pair_of_input_iterators_tIbNS6_6detail15normal_iteratorINS6_10device_ptrIKsEEEESL_NS6_8equal_toIsEEEENSG_9not_fun_tINSD_8identityEEEEENSD_19counting_iterator_tIlEES8_S8_S8_S8_S8_S8_S8_S8_EEEEPS9_S9_NSD_9__find_if7functorIS9_EEEE10hipError_tPvRmT1_T2_T3_mT4_P12ihipStream_tbEUlT_E1_NS1_11comp_targetILNS1_3genE9ELNS1_11target_archE1100ELNS1_3gpuE3ELNS1_3repE0EEENS1_30default_config_static_selectorELNS0_4arch9wavefront6targetE0EEEvS14_.has_indirect_call, 0
	.section	.AMDGPU.csdata,"",@progbits
; Kernel info:
; codeLenInByte = 0
; TotalNumSgprs: 0
; NumVgprs: 0
; ScratchSize: 0
; MemoryBound: 0
; FloatMode: 240
; IeeeMode: 1
; LDSByteSize: 0 bytes/workgroup (compile time only)
; SGPRBlocks: 0
; VGPRBlocks: 0
; NumSGPRsForWavesPerEU: 1
; NumVGPRsForWavesPerEU: 1
; NamedBarCnt: 0
; Occupancy: 16
; WaveLimiterHint : 0
; COMPUTE_PGM_RSRC2:SCRATCH_EN: 0
; COMPUTE_PGM_RSRC2:USER_SGPR: 2
; COMPUTE_PGM_RSRC2:TRAP_HANDLER: 0
; COMPUTE_PGM_RSRC2:TGID_X_EN: 1
; COMPUTE_PGM_RSRC2:TGID_Y_EN: 0
; COMPUTE_PGM_RSRC2:TGID_Z_EN: 0
; COMPUTE_PGM_RSRC2:TIDIG_COMP_CNT: 0
	.section	.text._ZN7rocprim17ROCPRIM_400000_NS6detail17trampoline_kernelINS0_14default_configENS1_22reduce_config_selectorIN6thrust23THRUST_200600_302600_NS5tupleIblNS6_9null_typeES8_S8_S8_S8_S8_S8_S8_EEEEZNS1_11reduce_implILb1ES3_NS6_12zip_iteratorINS7_INS6_11hip_rocprim26transform_input_iterator_tIbNSD_35transform_pair_of_input_iterators_tIbNS6_6detail15normal_iteratorINS6_10device_ptrIKsEEEESL_NS6_8equal_toIsEEEENSG_9not_fun_tINSD_8identityEEEEENSD_19counting_iterator_tIlEES8_S8_S8_S8_S8_S8_S8_S8_EEEEPS9_S9_NSD_9__find_if7functorIS9_EEEE10hipError_tPvRmT1_T2_T3_mT4_P12ihipStream_tbEUlT_E1_NS1_11comp_targetILNS1_3genE8ELNS1_11target_archE1030ELNS1_3gpuE2ELNS1_3repE0EEENS1_30default_config_static_selectorELNS0_4arch9wavefront6targetE0EEEvS14_,"axG",@progbits,_ZN7rocprim17ROCPRIM_400000_NS6detail17trampoline_kernelINS0_14default_configENS1_22reduce_config_selectorIN6thrust23THRUST_200600_302600_NS5tupleIblNS6_9null_typeES8_S8_S8_S8_S8_S8_S8_EEEEZNS1_11reduce_implILb1ES3_NS6_12zip_iteratorINS7_INS6_11hip_rocprim26transform_input_iterator_tIbNSD_35transform_pair_of_input_iterators_tIbNS6_6detail15normal_iteratorINS6_10device_ptrIKsEEEESL_NS6_8equal_toIsEEEENSG_9not_fun_tINSD_8identityEEEEENSD_19counting_iterator_tIlEES8_S8_S8_S8_S8_S8_S8_S8_EEEEPS9_S9_NSD_9__find_if7functorIS9_EEEE10hipError_tPvRmT1_T2_T3_mT4_P12ihipStream_tbEUlT_E1_NS1_11comp_targetILNS1_3genE8ELNS1_11target_archE1030ELNS1_3gpuE2ELNS1_3repE0EEENS1_30default_config_static_selectorELNS0_4arch9wavefront6targetE0EEEvS14_,comdat
	.protected	_ZN7rocprim17ROCPRIM_400000_NS6detail17trampoline_kernelINS0_14default_configENS1_22reduce_config_selectorIN6thrust23THRUST_200600_302600_NS5tupleIblNS6_9null_typeES8_S8_S8_S8_S8_S8_S8_EEEEZNS1_11reduce_implILb1ES3_NS6_12zip_iteratorINS7_INS6_11hip_rocprim26transform_input_iterator_tIbNSD_35transform_pair_of_input_iterators_tIbNS6_6detail15normal_iteratorINS6_10device_ptrIKsEEEESL_NS6_8equal_toIsEEEENSG_9not_fun_tINSD_8identityEEEEENSD_19counting_iterator_tIlEES8_S8_S8_S8_S8_S8_S8_S8_EEEEPS9_S9_NSD_9__find_if7functorIS9_EEEE10hipError_tPvRmT1_T2_T3_mT4_P12ihipStream_tbEUlT_E1_NS1_11comp_targetILNS1_3genE8ELNS1_11target_archE1030ELNS1_3gpuE2ELNS1_3repE0EEENS1_30default_config_static_selectorELNS0_4arch9wavefront6targetE0EEEvS14_ ; -- Begin function _ZN7rocprim17ROCPRIM_400000_NS6detail17trampoline_kernelINS0_14default_configENS1_22reduce_config_selectorIN6thrust23THRUST_200600_302600_NS5tupleIblNS6_9null_typeES8_S8_S8_S8_S8_S8_S8_EEEEZNS1_11reduce_implILb1ES3_NS6_12zip_iteratorINS7_INS6_11hip_rocprim26transform_input_iterator_tIbNSD_35transform_pair_of_input_iterators_tIbNS6_6detail15normal_iteratorINS6_10device_ptrIKsEEEESL_NS6_8equal_toIsEEEENSG_9not_fun_tINSD_8identityEEEEENSD_19counting_iterator_tIlEES8_S8_S8_S8_S8_S8_S8_S8_EEEEPS9_S9_NSD_9__find_if7functorIS9_EEEE10hipError_tPvRmT1_T2_T3_mT4_P12ihipStream_tbEUlT_E1_NS1_11comp_targetILNS1_3genE8ELNS1_11target_archE1030ELNS1_3gpuE2ELNS1_3repE0EEENS1_30default_config_static_selectorELNS0_4arch9wavefront6targetE0EEEvS14_
	.globl	_ZN7rocprim17ROCPRIM_400000_NS6detail17trampoline_kernelINS0_14default_configENS1_22reduce_config_selectorIN6thrust23THRUST_200600_302600_NS5tupleIblNS6_9null_typeES8_S8_S8_S8_S8_S8_S8_EEEEZNS1_11reduce_implILb1ES3_NS6_12zip_iteratorINS7_INS6_11hip_rocprim26transform_input_iterator_tIbNSD_35transform_pair_of_input_iterators_tIbNS6_6detail15normal_iteratorINS6_10device_ptrIKsEEEESL_NS6_8equal_toIsEEEENSG_9not_fun_tINSD_8identityEEEEENSD_19counting_iterator_tIlEES8_S8_S8_S8_S8_S8_S8_S8_EEEEPS9_S9_NSD_9__find_if7functorIS9_EEEE10hipError_tPvRmT1_T2_T3_mT4_P12ihipStream_tbEUlT_E1_NS1_11comp_targetILNS1_3genE8ELNS1_11target_archE1030ELNS1_3gpuE2ELNS1_3repE0EEENS1_30default_config_static_selectorELNS0_4arch9wavefront6targetE0EEEvS14_
	.p2align	8
	.type	_ZN7rocprim17ROCPRIM_400000_NS6detail17trampoline_kernelINS0_14default_configENS1_22reduce_config_selectorIN6thrust23THRUST_200600_302600_NS5tupleIblNS6_9null_typeES8_S8_S8_S8_S8_S8_S8_EEEEZNS1_11reduce_implILb1ES3_NS6_12zip_iteratorINS7_INS6_11hip_rocprim26transform_input_iterator_tIbNSD_35transform_pair_of_input_iterators_tIbNS6_6detail15normal_iteratorINS6_10device_ptrIKsEEEESL_NS6_8equal_toIsEEEENSG_9not_fun_tINSD_8identityEEEEENSD_19counting_iterator_tIlEES8_S8_S8_S8_S8_S8_S8_S8_EEEEPS9_S9_NSD_9__find_if7functorIS9_EEEE10hipError_tPvRmT1_T2_T3_mT4_P12ihipStream_tbEUlT_E1_NS1_11comp_targetILNS1_3genE8ELNS1_11target_archE1030ELNS1_3gpuE2ELNS1_3repE0EEENS1_30default_config_static_selectorELNS0_4arch9wavefront6targetE0EEEvS14_,@function
_ZN7rocprim17ROCPRIM_400000_NS6detail17trampoline_kernelINS0_14default_configENS1_22reduce_config_selectorIN6thrust23THRUST_200600_302600_NS5tupleIblNS6_9null_typeES8_S8_S8_S8_S8_S8_S8_EEEEZNS1_11reduce_implILb1ES3_NS6_12zip_iteratorINS7_INS6_11hip_rocprim26transform_input_iterator_tIbNSD_35transform_pair_of_input_iterators_tIbNS6_6detail15normal_iteratorINS6_10device_ptrIKsEEEESL_NS6_8equal_toIsEEEENSG_9not_fun_tINSD_8identityEEEEENSD_19counting_iterator_tIlEES8_S8_S8_S8_S8_S8_S8_S8_EEEEPS9_S9_NSD_9__find_if7functorIS9_EEEE10hipError_tPvRmT1_T2_T3_mT4_P12ihipStream_tbEUlT_E1_NS1_11comp_targetILNS1_3genE8ELNS1_11target_archE1030ELNS1_3gpuE2ELNS1_3repE0EEENS1_30default_config_static_selectorELNS0_4arch9wavefront6targetE0EEEvS14_: ; @_ZN7rocprim17ROCPRIM_400000_NS6detail17trampoline_kernelINS0_14default_configENS1_22reduce_config_selectorIN6thrust23THRUST_200600_302600_NS5tupleIblNS6_9null_typeES8_S8_S8_S8_S8_S8_S8_EEEEZNS1_11reduce_implILb1ES3_NS6_12zip_iteratorINS7_INS6_11hip_rocprim26transform_input_iterator_tIbNSD_35transform_pair_of_input_iterators_tIbNS6_6detail15normal_iteratorINS6_10device_ptrIKsEEEESL_NS6_8equal_toIsEEEENSG_9not_fun_tINSD_8identityEEEEENSD_19counting_iterator_tIlEES8_S8_S8_S8_S8_S8_S8_S8_EEEEPS9_S9_NSD_9__find_if7functorIS9_EEEE10hipError_tPvRmT1_T2_T3_mT4_P12ihipStream_tbEUlT_E1_NS1_11comp_targetILNS1_3genE8ELNS1_11target_archE1030ELNS1_3gpuE2ELNS1_3repE0EEENS1_30default_config_static_selectorELNS0_4arch9wavefront6targetE0EEEvS14_
; %bb.0:
	.section	.rodata,"a",@progbits
	.p2align	6, 0x0
	.amdhsa_kernel _ZN7rocprim17ROCPRIM_400000_NS6detail17trampoline_kernelINS0_14default_configENS1_22reduce_config_selectorIN6thrust23THRUST_200600_302600_NS5tupleIblNS6_9null_typeES8_S8_S8_S8_S8_S8_S8_EEEEZNS1_11reduce_implILb1ES3_NS6_12zip_iteratorINS7_INS6_11hip_rocprim26transform_input_iterator_tIbNSD_35transform_pair_of_input_iterators_tIbNS6_6detail15normal_iteratorINS6_10device_ptrIKsEEEESL_NS6_8equal_toIsEEEENSG_9not_fun_tINSD_8identityEEEEENSD_19counting_iterator_tIlEES8_S8_S8_S8_S8_S8_S8_S8_EEEEPS9_S9_NSD_9__find_if7functorIS9_EEEE10hipError_tPvRmT1_T2_T3_mT4_P12ihipStream_tbEUlT_E1_NS1_11comp_targetILNS1_3genE8ELNS1_11target_archE1030ELNS1_3gpuE2ELNS1_3repE0EEENS1_30default_config_static_selectorELNS0_4arch9wavefront6targetE0EEEvS14_
		.amdhsa_group_segment_fixed_size 0
		.amdhsa_private_segment_fixed_size 0
		.amdhsa_kernarg_size 88
		.amdhsa_user_sgpr_count 2
		.amdhsa_user_sgpr_dispatch_ptr 0
		.amdhsa_user_sgpr_queue_ptr 0
		.amdhsa_user_sgpr_kernarg_segment_ptr 1
		.amdhsa_user_sgpr_dispatch_id 0
		.amdhsa_user_sgpr_kernarg_preload_length 0
		.amdhsa_user_sgpr_kernarg_preload_offset 0
		.amdhsa_user_sgpr_private_segment_size 0
		.amdhsa_wavefront_size32 1
		.amdhsa_uses_dynamic_stack 0
		.amdhsa_enable_private_segment 0
		.amdhsa_system_sgpr_workgroup_id_x 1
		.amdhsa_system_sgpr_workgroup_id_y 0
		.amdhsa_system_sgpr_workgroup_id_z 0
		.amdhsa_system_sgpr_workgroup_info 0
		.amdhsa_system_vgpr_workitem_id 0
		.amdhsa_next_free_vgpr 1
		.amdhsa_next_free_sgpr 1
		.amdhsa_named_barrier_count 0
		.amdhsa_reserve_vcc 0
		.amdhsa_float_round_mode_32 0
		.amdhsa_float_round_mode_16_64 0
		.amdhsa_float_denorm_mode_32 3
		.amdhsa_float_denorm_mode_16_64 3
		.amdhsa_fp16_overflow 0
		.amdhsa_memory_ordered 1
		.amdhsa_forward_progress 1
		.amdhsa_inst_pref_size 0
		.amdhsa_round_robin_scheduling 0
		.amdhsa_exception_fp_ieee_invalid_op 0
		.amdhsa_exception_fp_denorm_src 0
		.amdhsa_exception_fp_ieee_div_zero 0
		.amdhsa_exception_fp_ieee_overflow 0
		.amdhsa_exception_fp_ieee_underflow 0
		.amdhsa_exception_fp_ieee_inexact 0
		.amdhsa_exception_int_div_zero 0
	.end_amdhsa_kernel
	.section	.text._ZN7rocprim17ROCPRIM_400000_NS6detail17trampoline_kernelINS0_14default_configENS1_22reduce_config_selectorIN6thrust23THRUST_200600_302600_NS5tupleIblNS6_9null_typeES8_S8_S8_S8_S8_S8_S8_EEEEZNS1_11reduce_implILb1ES3_NS6_12zip_iteratorINS7_INS6_11hip_rocprim26transform_input_iterator_tIbNSD_35transform_pair_of_input_iterators_tIbNS6_6detail15normal_iteratorINS6_10device_ptrIKsEEEESL_NS6_8equal_toIsEEEENSG_9not_fun_tINSD_8identityEEEEENSD_19counting_iterator_tIlEES8_S8_S8_S8_S8_S8_S8_S8_EEEEPS9_S9_NSD_9__find_if7functorIS9_EEEE10hipError_tPvRmT1_T2_T3_mT4_P12ihipStream_tbEUlT_E1_NS1_11comp_targetILNS1_3genE8ELNS1_11target_archE1030ELNS1_3gpuE2ELNS1_3repE0EEENS1_30default_config_static_selectorELNS0_4arch9wavefront6targetE0EEEvS14_,"axG",@progbits,_ZN7rocprim17ROCPRIM_400000_NS6detail17trampoline_kernelINS0_14default_configENS1_22reduce_config_selectorIN6thrust23THRUST_200600_302600_NS5tupleIblNS6_9null_typeES8_S8_S8_S8_S8_S8_S8_EEEEZNS1_11reduce_implILb1ES3_NS6_12zip_iteratorINS7_INS6_11hip_rocprim26transform_input_iterator_tIbNSD_35transform_pair_of_input_iterators_tIbNS6_6detail15normal_iteratorINS6_10device_ptrIKsEEEESL_NS6_8equal_toIsEEEENSG_9not_fun_tINSD_8identityEEEEENSD_19counting_iterator_tIlEES8_S8_S8_S8_S8_S8_S8_S8_EEEEPS9_S9_NSD_9__find_if7functorIS9_EEEE10hipError_tPvRmT1_T2_T3_mT4_P12ihipStream_tbEUlT_E1_NS1_11comp_targetILNS1_3genE8ELNS1_11target_archE1030ELNS1_3gpuE2ELNS1_3repE0EEENS1_30default_config_static_selectorELNS0_4arch9wavefront6targetE0EEEvS14_,comdat
.Lfunc_end315:
	.size	_ZN7rocprim17ROCPRIM_400000_NS6detail17trampoline_kernelINS0_14default_configENS1_22reduce_config_selectorIN6thrust23THRUST_200600_302600_NS5tupleIblNS6_9null_typeES8_S8_S8_S8_S8_S8_S8_EEEEZNS1_11reduce_implILb1ES3_NS6_12zip_iteratorINS7_INS6_11hip_rocprim26transform_input_iterator_tIbNSD_35transform_pair_of_input_iterators_tIbNS6_6detail15normal_iteratorINS6_10device_ptrIKsEEEESL_NS6_8equal_toIsEEEENSG_9not_fun_tINSD_8identityEEEEENSD_19counting_iterator_tIlEES8_S8_S8_S8_S8_S8_S8_S8_EEEEPS9_S9_NSD_9__find_if7functorIS9_EEEE10hipError_tPvRmT1_T2_T3_mT4_P12ihipStream_tbEUlT_E1_NS1_11comp_targetILNS1_3genE8ELNS1_11target_archE1030ELNS1_3gpuE2ELNS1_3repE0EEENS1_30default_config_static_selectorELNS0_4arch9wavefront6targetE0EEEvS14_, .Lfunc_end315-_ZN7rocprim17ROCPRIM_400000_NS6detail17trampoline_kernelINS0_14default_configENS1_22reduce_config_selectorIN6thrust23THRUST_200600_302600_NS5tupleIblNS6_9null_typeES8_S8_S8_S8_S8_S8_S8_EEEEZNS1_11reduce_implILb1ES3_NS6_12zip_iteratorINS7_INS6_11hip_rocprim26transform_input_iterator_tIbNSD_35transform_pair_of_input_iterators_tIbNS6_6detail15normal_iteratorINS6_10device_ptrIKsEEEESL_NS6_8equal_toIsEEEENSG_9not_fun_tINSD_8identityEEEEENSD_19counting_iterator_tIlEES8_S8_S8_S8_S8_S8_S8_S8_EEEEPS9_S9_NSD_9__find_if7functorIS9_EEEE10hipError_tPvRmT1_T2_T3_mT4_P12ihipStream_tbEUlT_E1_NS1_11comp_targetILNS1_3genE8ELNS1_11target_archE1030ELNS1_3gpuE2ELNS1_3repE0EEENS1_30default_config_static_selectorELNS0_4arch9wavefront6targetE0EEEvS14_
                                        ; -- End function
	.set _ZN7rocprim17ROCPRIM_400000_NS6detail17trampoline_kernelINS0_14default_configENS1_22reduce_config_selectorIN6thrust23THRUST_200600_302600_NS5tupleIblNS6_9null_typeES8_S8_S8_S8_S8_S8_S8_EEEEZNS1_11reduce_implILb1ES3_NS6_12zip_iteratorINS7_INS6_11hip_rocprim26transform_input_iterator_tIbNSD_35transform_pair_of_input_iterators_tIbNS6_6detail15normal_iteratorINS6_10device_ptrIKsEEEESL_NS6_8equal_toIsEEEENSG_9not_fun_tINSD_8identityEEEEENSD_19counting_iterator_tIlEES8_S8_S8_S8_S8_S8_S8_S8_EEEEPS9_S9_NSD_9__find_if7functorIS9_EEEE10hipError_tPvRmT1_T2_T3_mT4_P12ihipStream_tbEUlT_E1_NS1_11comp_targetILNS1_3genE8ELNS1_11target_archE1030ELNS1_3gpuE2ELNS1_3repE0EEENS1_30default_config_static_selectorELNS0_4arch9wavefront6targetE0EEEvS14_.num_vgpr, 0
	.set _ZN7rocprim17ROCPRIM_400000_NS6detail17trampoline_kernelINS0_14default_configENS1_22reduce_config_selectorIN6thrust23THRUST_200600_302600_NS5tupleIblNS6_9null_typeES8_S8_S8_S8_S8_S8_S8_EEEEZNS1_11reduce_implILb1ES3_NS6_12zip_iteratorINS7_INS6_11hip_rocprim26transform_input_iterator_tIbNSD_35transform_pair_of_input_iterators_tIbNS6_6detail15normal_iteratorINS6_10device_ptrIKsEEEESL_NS6_8equal_toIsEEEENSG_9not_fun_tINSD_8identityEEEEENSD_19counting_iterator_tIlEES8_S8_S8_S8_S8_S8_S8_S8_EEEEPS9_S9_NSD_9__find_if7functorIS9_EEEE10hipError_tPvRmT1_T2_T3_mT4_P12ihipStream_tbEUlT_E1_NS1_11comp_targetILNS1_3genE8ELNS1_11target_archE1030ELNS1_3gpuE2ELNS1_3repE0EEENS1_30default_config_static_selectorELNS0_4arch9wavefront6targetE0EEEvS14_.num_agpr, 0
	.set _ZN7rocprim17ROCPRIM_400000_NS6detail17trampoline_kernelINS0_14default_configENS1_22reduce_config_selectorIN6thrust23THRUST_200600_302600_NS5tupleIblNS6_9null_typeES8_S8_S8_S8_S8_S8_S8_EEEEZNS1_11reduce_implILb1ES3_NS6_12zip_iteratorINS7_INS6_11hip_rocprim26transform_input_iterator_tIbNSD_35transform_pair_of_input_iterators_tIbNS6_6detail15normal_iteratorINS6_10device_ptrIKsEEEESL_NS6_8equal_toIsEEEENSG_9not_fun_tINSD_8identityEEEEENSD_19counting_iterator_tIlEES8_S8_S8_S8_S8_S8_S8_S8_EEEEPS9_S9_NSD_9__find_if7functorIS9_EEEE10hipError_tPvRmT1_T2_T3_mT4_P12ihipStream_tbEUlT_E1_NS1_11comp_targetILNS1_3genE8ELNS1_11target_archE1030ELNS1_3gpuE2ELNS1_3repE0EEENS1_30default_config_static_selectorELNS0_4arch9wavefront6targetE0EEEvS14_.numbered_sgpr, 0
	.set _ZN7rocprim17ROCPRIM_400000_NS6detail17trampoline_kernelINS0_14default_configENS1_22reduce_config_selectorIN6thrust23THRUST_200600_302600_NS5tupleIblNS6_9null_typeES8_S8_S8_S8_S8_S8_S8_EEEEZNS1_11reduce_implILb1ES3_NS6_12zip_iteratorINS7_INS6_11hip_rocprim26transform_input_iterator_tIbNSD_35transform_pair_of_input_iterators_tIbNS6_6detail15normal_iteratorINS6_10device_ptrIKsEEEESL_NS6_8equal_toIsEEEENSG_9not_fun_tINSD_8identityEEEEENSD_19counting_iterator_tIlEES8_S8_S8_S8_S8_S8_S8_S8_EEEEPS9_S9_NSD_9__find_if7functorIS9_EEEE10hipError_tPvRmT1_T2_T3_mT4_P12ihipStream_tbEUlT_E1_NS1_11comp_targetILNS1_3genE8ELNS1_11target_archE1030ELNS1_3gpuE2ELNS1_3repE0EEENS1_30default_config_static_selectorELNS0_4arch9wavefront6targetE0EEEvS14_.num_named_barrier, 0
	.set _ZN7rocprim17ROCPRIM_400000_NS6detail17trampoline_kernelINS0_14default_configENS1_22reduce_config_selectorIN6thrust23THRUST_200600_302600_NS5tupleIblNS6_9null_typeES8_S8_S8_S8_S8_S8_S8_EEEEZNS1_11reduce_implILb1ES3_NS6_12zip_iteratorINS7_INS6_11hip_rocprim26transform_input_iterator_tIbNSD_35transform_pair_of_input_iterators_tIbNS6_6detail15normal_iteratorINS6_10device_ptrIKsEEEESL_NS6_8equal_toIsEEEENSG_9not_fun_tINSD_8identityEEEEENSD_19counting_iterator_tIlEES8_S8_S8_S8_S8_S8_S8_S8_EEEEPS9_S9_NSD_9__find_if7functorIS9_EEEE10hipError_tPvRmT1_T2_T3_mT4_P12ihipStream_tbEUlT_E1_NS1_11comp_targetILNS1_3genE8ELNS1_11target_archE1030ELNS1_3gpuE2ELNS1_3repE0EEENS1_30default_config_static_selectorELNS0_4arch9wavefront6targetE0EEEvS14_.private_seg_size, 0
	.set _ZN7rocprim17ROCPRIM_400000_NS6detail17trampoline_kernelINS0_14default_configENS1_22reduce_config_selectorIN6thrust23THRUST_200600_302600_NS5tupleIblNS6_9null_typeES8_S8_S8_S8_S8_S8_S8_EEEEZNS1_11reduce_implILb1ES3_NS6_12zip_iteratorINS7_INS6_11hip_rocprim26transform_input_iterator_tIbNSD_35transform_pair_of_input_iterators_tIbNS6_6detail15normal_iteratorINS6_10device_ptrIKsEEEESL_NS6_8equal_toIsEEEENSG_9not_fun_tINSD_8identityEEEEENSD_19counting_iterator_tIlEES8_S8_S8_S8_S8_S8_S8_S8_EEEEPS9_S9_NSD_9__find_if7functorIS9_EEEE10hipError_tPvRmT1_T2_T3_mT4_P12ihipStream_tbEUlT_E1_NS1_11comp_targetILNS1_3genE8ELNS1_11target_archE1030ELNS1_3gpuE2ELNS1_3repE0EEENS1_30default_config_static_selectorELNS0_4arch9wavefront6targetE0EEEvS14_.uses_vcc, 0
	.set _ZN7rocprim17ROCPRIM_400000_NS6detail17trampoline_kernelINS0_14default_configENS1_22reduce_config_selectorIN6thrust23THRUST_200600_302600_NS5tupleIblNS6_9null_typeES8_S8_S8_S8_S8_S8_S8_EEEEZNS1_11reduce_implILb1ES3_NS6_12zip_iteratorINS7_INS6_11hip_rocprim26transform_input_iterator_tIbNSD_35transform_pair_of_input_iterators_tIbNS6_6detail15normal_iteratorINS6_10device_ptrIKsEEEESL_NS6_8equal_toIsEEEENSG_9not_fun_tINSD_8identityEEEEENSD_19counting_iterator_tIlEES8_S8_S8_S8_S8_S8_S8_S8_EEEEPS9_S9_NSD_9__find_if7functorIS9_EEEE10hipError_tPvRmT1_T2_T3_mT4_P12ihipStream_tbEUlT_E1_NS1_11comp_targetILNS1_3genE8ELNS1_11target_archE1030ELNS1_3gpuE2ELNS1_3repE0EEENS1_30default_config_static_selectorELNS0_4arch9wavefront6targetE0EEEvS14_.uses_flat_scratch, 0
	.set _ZN7rocprim17ROCPRIM_400000_NS6detail17trampoline_kernelINS0_14default_configENS1_22reduce_config_selectorIN6thrust23THRUST_200600_302600_NS5tupleIblNS6_9null_typeES8_S8_S8_S8_S8_S8_S8_EEEEZNS1_11reduce_implILb1ES3_NS6_12zip_iteratorINS7_INS6_11hip_rocprim26transform_input_iterator_tIbNSD_35transform_pair_of_input_iterators_tIbNS6_6detail15normal_iteratorINS6_10device_ptrIKsEEEESL_NS6_8equal_toIsEEEENSG_9not_fun_tINSD_8identityEEEEENSD_19counting_iterator_tIlEES8_S8_S8_S8_S8_S8_S8_S8_EEEEPS9_S9_NSD_9__find_if7functorIS9_EEEE10hipError_tPvRmT1_T2_T3_mT4_P12ihipStream_tbEUlT_E1_NS1_11comp_targetILNS1_3genE8ELNS1_11target_archE1030ELNS1_3gpuE2ELNS1_3repE0EEENS1_30default_config_static_selectorELNS0_4arch9wavefront6targetE0EEEvS14_.has_dyn_sized_stack, 0
	.set _ZN7rocprim17ROCPRIM_400000_NS6detail17trampoline_kernelINS0_14default_configENS1_22reduce_config_selectorIN6thrust23THRUST_200600_302600_NS5tupleIblNS6_9null_typeES8_S8_S8_S8_S8_S8_S8_EEEEZNS1_11reduce_implILb1ES3_NS6_12zip_iteratorINS7_INS6_11hip_rocprim26transform_input_iterator_tIbNSD_35transform_pair_of_input_iterators_tIbNS6_6detail15normal_iteratorINS6_10device_ptrIKsEEEESL_NS6_8equal_toIsEEEENSG_9not_fun_tINSD_8identityEEEEENSD_19counting_iterator_tIlEES8_S8_S8_S8_S8_S8_S8_S8_EEEEPS9_S9_NSD_9__find_if7functorIS9_EEEE10hipError_tPvRmT1_T2_T3_mT4_P12ihipStream_tbEUlT_E1_NS1_11comp_targetILNS1_3genE8ELNS1_11target_archE1030ELNS1_3gpuE2ELNS1_3repE0EEENS1_30default_config_static_selectorELNS0_4arch9wavefront6targetE0EEEvS14_.has_recursion, 0
	.set _ZN7rocprim17ROCPRIM_400000_NS6detail17trampoline_kernelINS0_14default_configENS1_22reduce_config_selectorIN6thrust23THRUST_200600_302600_NS5tupleIblNS6_9null_typeES8_S8_S8_S8_S8_S8_S8_EEEEZNS1_11reduce_implILb1ES3_NS6_12zip_iteratorINS7_INS6_11hip_rocprim26transform_input_iterator_tIbNSD_35transform_pair_of_input_iterators_tIbNS6_6detail15normal_iteratorINS6_10device_ptrIKsEEEESL_NS6_8equal_toIsEEEENSG_9not_fun_tINSD_8identityEEEEENSD_19counting_iterator_tIlEES8_S8_S8_S8_S8_S8_S8_S8_EEEEPS9_S9_NSD_9__find_if7functorIS9_EEEE10hipError_tPvRmT1_T2_T3_mT4_P12ihipStream_tbEUlT_E1_NS1_11comp_targetILNS1_3genE8ELNS1_11target_archE1030ELNS1_3gpuE2ELNS1_3repE0EEENS1_30default_config_static_selectorELNS0_4arch9wavefront6targetE0EEEvS14_.has_indirect_call, 0
	.section	.AMDGPU.csdata,"",@progbits
; Kernel info:
; codeLenInByte = 0
; TotalNumSgprs: 0
; NumVgprs: 0
; ScratchSize: 0
; MemoryBound: 0
; FloatMode: 240
; IeeeMode: 1
; LDSByteSize: 0 bytes/workgroup (compile time only)
; SGPRBlocks: 0
; VGPRBlocks: 0
; NumSGPRsForWavesPerEU: 1
; NumVGPRsForWavesPerEU: 1
; NamedBarCnt: 0
; Occupancy: 16
; WaveLimiterHint : 0
; COMPUTE_PGM_RSRC2:SCRATCH_EN: 0
; COMPUTE_PGM_RSRC2:USER_SGPR: 2
; COMPUTE_PGM_RSRC2:TRAP_HANDLER: 0
; COMPUTE_PGM_RSRC2:TGID_X_EN: 1
; COMPUTE_PGM_RSRC2:TGID_Y_EN: 0
; COMPUTE_PGM_RSRC2:TGID_Z_EN: 0
; COMPUTE_PGM_RSRC2:TIDIG_COMP_CNT: 0
	.section	.text._ZN6thrust23THRUST_200600_302600_NS11hip_rocprim14__parallel_for6kernelILj256ENS1_20__uninitialized_fill7functorINS0_10device_ptrIiEEiEEmLj1EEEvT0_T1_SA_,"axG",@progbits,_ZN6thrust23THRUST_200600_302600_NS11hip_rocprim14__parallel_for6kernelILj256ENS1_20__uninitialized_fill7functorINS0_10device_ptrIiEEiEEmLj1EEEvT0_T1_SA_,comdat
	.protected	_ZN6thrust23THRUST_200600_302600_NS11hip_rocprim14__parallel_for6kernelILj256ENS1_20__uninitialized_fill7functorINS0_10device_ptrIiEEiEEmLj1EEEvT0_T1_SA_ ; -- Begin function _ZN6thrust23THRUST_200600_302600_NS11hip_rocprim14__parallel_for6kernelILj256ENS1_20__uninitialized_fill7functorINS0_10device_ptrIiEEiEEmLj1EEEvT0_T1_SA_
	.globl	_ZN6thrust23THRUST_200600_302600_NS11hip_rocprim14__parallel_for6kernelILj256ENS1_20__uninitialized_fill7functorINS0_10device_ptrIiEEiEEmLj1EEEvT0_T1_SA_
	.p2align	8
	.type	_ZN6thrust23THRUST_200600_302600_NS11hip_rocprim14__parallel_for6kernelILj256ENS1_20__uninitialized_fill7functorINS0_10device_ptrIiEEiEEmLj1EEEvT0_T1_SA_,@function
_ZN6thrust23THRUST_200600_302600_NS11hip_rocprim14__parallel_for6kernelILj256ENS1_20__uninitialized_fill7functorINS0_10device_ptrIiEEiEEmLj1EEEvT0_T1_SA_: ; @_ZN6thrust23THRUST_200600_302600_NS11hip_rocprim14__parallel_for6kernelILj256ENS1_20__uninitialized_fill7functorINS0_10device_ptrIiEEiEEmLj1EEEvT0_T1_SA_
; %bb.0:
	s_load_b128 s[8:11], s[0:1], 0x10
	s_bfe_u32 s2, ttmp6, 0x4000c
	s_and_b32 s3, ttmp6, 15
	s_add_co_i32 s2, s2, 1
	s_getreg_b32 s4, hwreg(HW_REG_IB_STS2, 6, 4)
	s_mul_i32 s2, ttmp9, s2
	s_delay_alu instid0(SALU_CYCLE_1)
	s_add_co_i32 s3, s3, s2
	s_cmp_eq_u32 s4, 0
	s_load_b96 s[4:6], s[0:1], 0x0
	s_wait_xcnt 0x0
	s_cselect_b32 s0, ttmp9, s3
	s_mov_b32 s1, 0
	s_lshl_b32 s0, s0, 8
	s_wait_kmcnt 0x0
	s_add_nc_u64 s[0:1], s[10:11], s[0:1]
	s_delay_alu instid0(SALU_CYCLE_1) | instskip(NEXT) | instid1(SALU_CYCLE_1)
	s_sub_nc_u64 s[2:3], s[8:9], s[0:1]
	v_cmp_lt_u64_e64 s3, 0xff, s[2:3]
	s_and_b32 vcc_lo, exec_lo, s3
	s_mov_b32 s3, -1
	s_cbranch_vccz .LBB316_3
; %bb.1:
	s_and_not1_b32 vcc_lo, exec_lo, s3
	s_cbranch_vccz .LBB316_6
.LBB316_2:
	s_endpgm
.LBB316_3:
	v_cmp_gt_u32_e32 vcc_lo, s2, v0
	s_and_saveexec_b32 s2, vcc_lo
	s_cbranch_execz .LBB316_5
; %bb.4:
	v_mov_b32_e32 v1, s6
	s_lshl_b64 s[8:9], s[0:1], 2
	s_delay_alu instid0(SALU_CYCLE_1)
	s_add_nc_u64 s[8:9], s[4:5], s[8:9]
	flat_store_b32 v0, v1, s[8:9] scale_offset
.LBB316_5:
	s_wait_xcnt 0x0
	s_or_b32 exec_lo, exec_lo, s2
	s_cbranch_execnz .LBB316_2
.LBB316_6:
	v_mov_b32_e32 v1, s6
	s_lshl_b64 s[0:1], s[0:1], 2
	s_delay_alu instid0(SALU_CYCLE_1)
	s_add_nc_u64 s[0:1], s[4:5], s[0:1]
	flat_store_b32 v0, v1, s[0:1] scale_offset
	s_endpgm
	.section	.rodata,"a",@progbits
	.p2align	6, 0x0
	.amdhsa_kernel _ZN6thrust23THRUST_200600_302600_NS11hip_rocprim14__parallel_for6kernelILj256ENS1_20__uninitialized_fill7functorINS0_10device_ptrIiEEiEEmLj1EEEvT0_T1_SA_
		.amdhsa_group_segment_fixed_size 0
		.amdhsa_private_segment_fixed_size 0
		.amdhsa_kernarg_size 32
		.amdhsa_user_sgpr_count 2
		.amdhsa_user_sgpr_dispatch_ptr 0
		.amdhsa_user_sgpr_queue_ptr 0
		.amdhsa_user_sgpr_kernarg_segment_ptr 1
		.amdhsa_user_sgpr_dispatch_id 0
		.amdhsa_user_sgpr_kernarg_preload_length 0
		.amdhsa_user_sgpr_kernarg_preload_offset 0
		.amdhsa_user_sgpr_private_segment_size 0
		.amdhsa_wavefront_size32 1
		.amdhsa_uses_dynamic_stack 0
		.amdhsa_enable_private_segment 0
		.amdhsa_system_sgpr_workgroup_id_x 1
		.amdhsa_system_sgpr_workgroup_id_y 0
		.amdhsa_system_sgpr_workgroup_id_z 0
		.amdhsa_system_sgpr_workgroup_info 0
		.amdhsa_system_vgpr_workitem_id 0
		.amdhsa_next_free_vgpr 2
		.amdhsa_next_free_sgpr 12
		.amdhsa_named_barrier_count 0
		.amdhsa_reserve_vcc 1
		.amdhsa_float_round_mode_32 0
		.amdhsa_float_round_mode_16_64 0
		.amdhsa_float_denorm_mode_32 3
		.amdhsa_float_denorm_mode_16_64 3
		.amdhsa_fp16_overflow 0
		.amdhsa_memory_ordered 1
		.amdhsa_forward_progress 1
		.amdhsa_inst_pref_size 2
		.amdhsa_round_robin_scheduling 0
		.amdhsa_exception_fp_ieee_invalid_op 0
		.amdhsa_exception_fp_denorm_src 0
		.amdhsa_exception_fp_ieee_div_zero 0
		.amdhsa_exception_fp_ieee_overflow 0
		.amdhsa_exception_fp_ieee_underflow 0
		.amdhsa_exception_fp_ieee_inexact 0
		.amdhsa_exception_int_div_zero 0
	.end_amdhsa_kernel
	.section	.text._ZN6thrust23THRUST_200600_302600_NS11hip_rocprim14__parallel_for6kernelILj256ENS1_20__uninitialized_fill7functorINS0_10device_ptrIiEEiEEmLj1EEEvT0_T1_SA_,"axG",@progbits,_ZN6thrust23THRUST_200600_302600_NS11hip_rocprim14__parallel_for6kernelILj256ENS1_20__uninitialized_fill7functorINS0_10device_ptrIiEEiEEmLj1EEEvT0_T1_SA_,comdat
.Lfunc_end316:
	.size	_ZN6thrust23THRUST_200600_302600_NS11hip_rocprim14__parallel_for6kernelILj256ENS1_20__uninitialized_fill7functorINS0_10device_ptrIiEEiEEmLj1EEEvT0_T1_SA_, .Lfunc_end316-_ZN6thrust23THRUST_200600_302600_NS11hip_rocprim14__parallel_for6kernelILj256ENS1_20__uninitialized_fill7functorINS0_10device_ptrIiEEiEEmLj1EEEvT0_T1_SA_
                                        ; -- End function
	.set _ZN6thrust23THRUST_200600_302600_NS11hip_rocprim14__parallel_for6kernelILj256ENS1_20__uninitialized_fill7functorINS0_10device_ptrIiEEiEEmLj1EEEvT0_T1_SA_.num_vgpr, 2
	.set _ZN6thrust23THRUST_200600_302600_NS11hip_rocprim14__parallel_for6kernelILj256ENS1_20__uninitialized_fill7functorINS0_10device_ptrIiEEiEEmLj1EEEvT0_T1_SA_.num_agpr, 0
	.set _ZN6thrust23THRUST_200600_302600_NS11hip_rocprim14__parallel_for6kernelILj256ENS1_20__uninitialized_fill7functorINS0_10device_ptrIiEEiEEmLj1EEEvT0_T1_SA_.numbered_sgpr, 12
	.set _ZN6thrust23THRUST_200600_302600_NS11hip_rocprim14__parallel_for6kernelILj256ENS1_20__uninitialized_fill7functorINS0_10device_ptrIiEEiEEmLj1EEEvT0_T1_SA_.num_named_barrier, 0
	.set _ZN6thrust23THRUST_200600_302600_NS11hip_rocprim14__parallel_for6kernelILj256ENS1_20__uninitialized_fill7functorINS0_10device_ptrIiEEiEEmLj1EEEvT0_T1_SA_.private_seg_size, 0
	.set _ZN6thrust23THRUST_200600_302600_NS11hip_rocprim14__parallel_for6kernelILj256ENS1_20__uninitialized_fill7functorINS0_10device_ptrIiEEiEEmLj1EEEvT0_T1_SA_.uses_vcc, 1
	.set _ZN6thrust23THRUST_200600_302600_NS11hip_rocprim14__parallel_for6kernelILj256ENS1_20__uninitialized_fill7functorINS0_10device_ptrIiEEiEEmLj1EEEvT0_T1_SA_.uses_flat_scratch, 0
	.set _ZN6thrust23THRUST_200600_302600_NS11hip_rocprim14__parallel_for6kernelILj256ENS1_20__uninitialized_fill7functorINS0_10device_ptrIiEEiEEmLj1EEEvT0_T1_SA_.has_dyn_sized_stack, 0
	.set _ZN6thrust23THRUST_200600_302600_NS11hip_rocprim14__parallel_for6kernelILj256ENS1_20__uninitialized_fill7functorINS0_10device_ptrIiEEiEEmLj1EEEvT0_T1_SA_.has_recursion, 0
	.set _ZN6thrust23THRUST_200600_302600_NS11hip_rocprim14__parallel_for6kernelILj256ENS1_20__uninitialized_fill7functorINS0_10device_ptrIiEEiEEmLj1EEEvT0_T1_SA_.has_indirect_call, 0
	.section	.AMDGPU.csdata,"",@progbits
; Kernel info:
; codeLenInByte = 204
; TotalNumSgprs: 14
; NumVgprs: 2
; ScratchSize: 0
; MemoryBound: 0
; FloatMode: 240
; IeeeMode: 1
; LDSByteSize: 0 bytes/workgroup (compile time only)
; SGPRBlocks: 0
; VGPRBlocks: 0
; NumSGPRsForWavesPerEU: 14
; NumVGPRsForWavesPerEU: 2
; NamedBarCnt: 0
; Occupancy: 16
; WaveLimiterHint : 0
; COMPUTE_PGM_RSRC2:SCRATCH_EN: 0
; COMPUTE_PGM_RSRC2:USER_SGPR: 2
; COMPUTE_PGM_RSRC2:TRAP_HANDLER: 0
; COMPUTE_PGM_RSRC2:TGID_X_EN: 1
; COMPUTE_PGM_RSRC2:TGID_Y_EN: 0
; COMPUTE_PGM_RSRC2:TGID_Z_EN: 0
; COMPUTE_PGM_RSRC2:TIDIG_COMP_CNT: 0
	.section	.text._ZN7rocprim17ROCPRIM_400000_NS6detail17trampoline_kernelINS0_14default_configENS1_21merge_config_selectorINS0_5tupleIJddEEENS0_10empty_typeEEEZNS1_10merge_implIS3_NS0_12zip_iteratorINS5_IJN6thrust23THRUST_200600_302600_NS6detail15normal_iteratorINSC_10device_ptrIKdEEEESI_EEEEESK_NSA_INS5_IJNSE_INSF_IdEEEESM_EEEEEPS7_SP_SP_NSC_11hip_rocprim7__merge17predicate_wrapperIddNSC_7greaterIdEEEEEE10hipError_tPvRmT0_T1_T2_T3_T4_T5_mmT6_P12ihipStream_tbEUlT_E_NS1_11comp_targetILNS1_3genE0ELNS1_11target_archE4294967295ELNS1_3gpuE0ELNS1_3repE0EEENS1_30default_config_static_selectorELNS0_4arch9wavefront6targetE0EEEvS10_,"axG",@progbits,_ZN7rocprim17ROCPRIM_400000_NS6detail17trampoline_kernelINS0_14default_configENS1_21merge_config_selectorINS0_5tupleIJddEEENS0_10empty_typeEEEZNS1_10merge_implIS3_NS0_12zip_iteratorINS5_IJN6thrust23THRUST_200600_302600_NS6detail15normal_iteratorINSC_10device_ptrIKdEEEESI_EEEEESK_NSA_INS5_IJNSE_INSF_IdEEEESM_EEEEEPS7_SP_SP_NSC_11hip_rocprim7__merge17predicate_wrapperIddNSC_7greaterIdEEEEEE10hipError_tPvRmT0_T1_T2_T3_T4_T5_mmT6_P12ihipStream_tbEUlT_E_NS1_11comp_targetILNS1_3genE0ELNS1_11target_archE4294967295ELNS1_3gpuE0ELNS1_3repE0EEENS1_30default_config_static_selectorELNS0_4arch9wavefront6targetE0EEEvS10_,comdat
	.protected	_ZN7rocprim17ROCPRIM_400000_NS6detail17trampoline_kernelINS0_14default_configENS1_21merge_config_selectorINS0_5tupleIJddEEENS0_10empty_typeEEEZNS1_10merge_implIS3_NS0_12zip_iteratorINS5_IJN6thrust23THRUST_200600_302600_NS6detail15normal_iteratorINSC_10device_ptrIKdEEEESI_EEEEESK_NSA_INS5_IJNSE_INSF_IdEEEESM_EEEEEPS7_SP_SP_NSC_11hip_rocprim7__merge17predicate_wrapperIddNSC_7greaterIdEEEEEE10hipError_tPvRmT0_T1_T2_T3_T4_T5_mmT6_P12ihipStream_tbEUlT_E_NS1_11comp_targetILNS1_3genE0ELNS1_11target_archE4294967295ELNS1_3gpuE0ELNS1_3repE0EEENS1_30default_config_static_selectorELNS0_4arch9wavefront6targetE0EEEvS10_ ; -- Begin function _ZN7rocprim17ROCPRIM_400000_NS6detail17trampoline_kernelINS0_14default_configENS1_21merge_config_selectorINS0_5tupleIJddEEENS0_10empty_typeEEEZNS1_10merge_implIS3_NS0_12zip_iteratorINS5_IJN6thrust23THRUST_200600_302600_NS6detail15normal_iteratorINSC_10device_ptrIKdEEEESI_EEEEESK_NSA_INS5_IJNSE_INSF_IdEEEESM_EEEEEPS7_SP_SP_NSC_11hip_rocprim7__merge17predicate_wrapperIddNSC_7greaterIdEEEEEE10hipError_tPvRmT0_T1_T2_T3_T4_T5_mmT6_P12ihipStream_tbEUlT_E_NS1_11comp_targetILNS1_3genE0ELNS1_11target_archE4294967295ELNS1_3gpuE0ELNS1_3repE0EEENS1_30default_config_static_selectorELNS0_4arch9wavefront6targetE0EEEvS10_
	.globl	_ZN7rocprim17ROCPRIM_400000_NS6detail17trampoline_kernelINS0_14default_configENS1_21merge_config_selectorINS0_5tupleIJddEEENS0_10empty_typeEEEZNS1_10merge_implIS3_NS0_12zip_iteratorINS5_IJN6thrust23THRUST_200600_302600_NS6detail15normal_iteratorINSC_10device_ptrIKdEEEESI_EEEEESK_NSA_INS5_IJNSE_INSF_IdEEEESM_EEEEEPS7_SP_SP_NSC_11hip_rocprim7__merge17predicate_wrapperIddNSC_7greaterIdEEEEEE10hipError_tPvRmT0_T1_T2_T3_T4_T5_mmT6_P12ihipStream_tbEUlT_E_NS1_11comp_targetILNS1_3genE0ELNS1_11target_archE4294967295ELNS1_3gpuE0ELNS1_3repE0EEENS1_30default_config_static_selectorELNS0_4arch9wavefront6targetE0EEEvS10_
	.p2align	8
	.type	_ZN7rocprim17ROCPRIM_400000_NS6detail17trampoline_kernelINS0_14default_configENS1_21merge_config_selectorINS0_5tupleIJddEEENS0_10empty_typeEEEZNS1_10merge_implIS3_NS0_12zip_iteratorINS5_IJN6thrust23THRUST_200600_302600_NS6detail15normal_iteratorINSC_10device_ptrIKdEEEESI_EEEEESK_NSA_INS5_IJNSE_INSF_IdEEEESM_EEEEEPS7_SP_SP_NSC_11hip_rocprim7__merge17predicate_wrapperIddNSC_7greaterIdEEEEEE10hipError_tPvRmT0_T1_T2_T3_T4_T5_mmT6_P12ihipStream_tbEUlT_E_NS1_11comp_targetILNS1_3genE0ELNS1_11target_archE4294967295ELNS1_3gpuE0ELNS1_3repE0EEENS1_30default_config_static_selectorELNS0_4arch9wavefront6targetE0EEEvS10_,@function
_ZN7rocprim17ROCPRIM_400000_NS6detail17trampoline_kernelINS0_14default_configENS1_21merge_config_selectorINS0_5tupleIJddEEENS0_10empty_typeEEEZNS1_10merge_implIS3_NS0_12zip_iteratorINS5_IJN6thrust23THRUST_200600_302600_NS6detail15normal_iteratorINSC_10device_ptrIKdEEEESI_EEEEESK_NSA_INS5_IJNSE_INSF_IdEEEESM_EEEEEPS7_SP_SP_NSC_11hip_rocprim7__merge17predicate_wrapperIddNSC_7greaterIdEEEEEE10hipError_tPvRmT0_T1_T2_T3_T4_T5_mmT6_P12ihipStream_tbEUlT_E_NS1_11comp_targetILNS1_3genE0ELNS1_11target_archE4294967295ELNS1_3gpuE0ELNS1_3repE0EEENS1_30default_config_static_selectorELNS0_4arch9wavefront6targetE0EEEvS10_: ; @_ZN7rocprim17ROCPRIM_400000_NS6detail17trampoline_kernelINS0_14default_configENS1_21merge_config_selectorINS0_5tupleIJddEEENS0_10empty_typeEEEZNS1_10merge_implIS3_NS0_12zip_iteratorINS5_IJN6thrust23THRUST_200600_302600_NS6detail15normal_iteratorINSC_10device_ptrIKdEEEESI_EEEEESK_NSA_INS5_IJNSE_INSF_IdEEEESM_EEEEEPS7_SP_SP_NSC_11hip_rocprim7__merge17predicate_wrapperIddNSC_7greaterIdEEEEEE10hipError_tPvRmT0_T1_T2_T3_T4_T5_mmT6_P12ihipStream_tbEUlT_E_NS1_11comp_targetILNS1_3genE0ELNS1_11target_archE4294967295ELNS1_3gpuE0ELNS1_3repE0EEENS1_30default_config_static_selectorELNS0_4arch9wavefront6targetE0EEEvS10_
; %bb.0:
	s_clause 0x2
	s_load_b32 s4, s[0:1], 0x38
	s_load_b32 s2, s[0:1], 0x4c
	s_load_b128 s[8:11], s[0:1], 0x28
	s_getreg_b32 s7, hwreg(HW_REG_IB_STS2, 6, 4)
	s_wait_kmcnt 0x0
	s_cvt_f32_u32 s3, s4
	s_and_b32 s6, s2, 0xffff
	s_and_b32 s2, ttmp6, 15
	s_delay_alu instid0(SALU_CYCLE_1) | instskip(SKIP_1) | instid1(SALU_CYCLE_1)
	v_rcp_iflag_f32_e32 v1, s3
	s_bfe_u32 s3, ttmp6, 0x4000c
	s_add_co_i32 s3, s3, 1
	s_delay_alu instid0(SALU_CYCLE_1) | instskip(NEXT) | instid1(SALU_CYCLE_1)
	s_mul_i32 s3, ttmp9, s3
	s_add_co_i32 s2, s2, s3
	v_nop
	s_delay_alu instid0(TRANS32_DEP_1)
	v_readfirstlane_b32 s5, v1
	s_cmp_eq_u32 s7, 0
	s_cselect_b32 s7, ttmp9, s2
	s_sub_co_i32 s12, 0, s4
	s_mul_f32 s5, s5, 0x4f7ffffe
	s_add_nc_u64 s[2:3], s[10:11], s[8:9]
	v_mad_u32 v6, s7, s6, v0
	s_add_co_i32 s13, s4, s2
	s_cvt_u32_f32 s5, s5
	s_add_co_i32 s13, s13, -1
	s_delay_alu instid0(SALU_CYCLE_2) | instskip(NEXT) | instid1(SALU_CYCLE_1)
	s_mul_i32 s12, s12, s5
	s_mul_hi_u32 s12, s5, s12
	s_delay_alu instid0(SALU_CYCLE_1) | instskip(NEXT) | instid1(SALU_CYCLE_1)
	s_add_co_i32 s5, s5, s12
	s_mul_hi_u32 s5, s13, s5
	s_delay_alu instid0(SALU_CYCLE_1) | instskip(SKIP_2) | instid1(SALU_CYCLE_1)
	s_mul_i32 s12, s5, s4
	s_add_co_i32 s7, s5, 1
	s_sub_co_i32 s6, s13, s12
	s_sub_co_i32 s12, s6, s4
	s_cmp_ge_u32 s6, s4
	s_cselect_b32 s5, s7, s5
	s_cselect_b32 s6, s12, s6
	s_add_co_i32 s7, s5, 1
	s_cmp_ge_u32 s6, s4
	s_cselect_b32 s5, s7, s5
	s_delay_alu instid0(SALU_CYCLE_1)
	v_cmp_ge_u32_e32 vcc_lo, s5, v6
	s_and_saveexec_b32 s5, vcc_lo
	s_cbranch_execz .LBB317_6
; %bb.1:
	v_mul_lo_u32 v0, v6, s4
	v_mov_b32_e32 v1, 0
	s_load_b128 s[4:7], s[0:1], 0x0
	s_delay_alu instid0(VALU_DEP_1) | instskip(SKIP_1) | instid1(VALU_DEP_1)
	v_min_u64 v[4:5], v[0:1], s[2:3]
	s_mov_b32 s2, exec_lo
	v_max_u64 v[0:1], v[4:5], s[10:11]
	v_min_u64 v[2:3], v[4:5], s[8:9]
	s_delay_alu instid0(VALU_DEP_2) | instskip(NEXT) | instid1(VALU_DEP_1)
	v_sub_nc_u64_e64 v[0:1], v[0:1], s[10:11]
	v_cmpx_lt_u64_e64 v[0:1], v[2:3]
	s_cbranch_execz .LBB317_5
; %bb.2:
	s_wait_xcnt 0x0
	s_load_b64 s[0:1], s[0:1], 0x18
	s_wait_kmcnt 0x0
	v_lshl_add_u64 v[4:5], v[4:5], 3, s[0:1]
	s_mov_b32 s0, 0
.LBB317_3:                              ; =>This Inner Loop Header: Depth=1
	v_add_nc_u64_e32 v[8:9], v[2:3], v[0:1]
	s_delay_alu instid0(VALU_DEP_1) | instskip(NEXT) | instid1(VALU_DEP_1)
	v_lshrrev_b64 v[8:9], 1, v[8:9]
	v_lshlrev_b64_e32 v[10:11], 3, v[8:9]
	s_delay_alu instid0(VALU_DEP_1) | instskip(NEXT) | instid1(VALU_DEP_2)
	v_xor_b32_e32 v13, -1, v11
	v_xor_b32_e32 v12, -8, v10
	v_add_nc_u64_e32 v[10:11], s[6:7], v[10:11]
	s_delay_alu instid0(VALU_DEP_2)
	v_add_nc_u64_e32 v[12:13], v[4:5], v[12:13]
	global_load_b64 v[14:15], v[10:11], off
	global_load_b64 v[16:17], v[12:13], off
	s_wait_xcnt 0x1
	v_add_nc_u64_e32 v[10:11], 1, v[8:9]
	s_wait_loadcnt 0x0
	v_cmp_gt_f64_e32 vcc_lo, v[16:17], v[14:15]
	v_dual_cndmask_b32 v3, v3, v9 :: v_dual_cndmask_b32 v2, v2, v8
	s_delay_alu instid0(VALU_DEP_3) | instskip(NEXT) | instid1(VALU_DEP_1)
	v_dual_cndmask_b32 v1, v11, v1 :: v_dual_cndmask_b32 v0, v10, v0
	v_cmp_ge_u64_e32 vcc_lo, v[0:1], v[2:3]
	s_or_b32 s0, vcc_lo, s0
	s_delay_alu instid0(SALU_CYCLE_1)
	s_and_not1_b32 exec_lo, exec_lo, s0
	s_cbranch_execnz .LBB317_3
; %bb.4:
	s_or_b32 exec_lo, exec_lo, s0
.LBB317_5:
	s_delay_alu instid0(SALU_CYCLE_1)
	s_or_b32 exec_lo, exec_lo, s2
	s_wait_kmcnt 0x0
	global_store_b32 v6, v0, s[4:5] scale_offset
.LBB317_6:
	s_endpgm
	.section	.rodata,"a",@progbits
	.p2align	6, 0x0
	.amdhsa_kernel _ZN7rocprim17ROCPRIM_400000_NS6detail17trampoline_kernelINS0_14default_configENS1_21merge_config_selectorINS0_5tupleIJddEEENS0_10empty_typeEEEZNS1_10merge_implIS3_NS0_12zip_iteratorINS5_IJN6thrust23THRUST_200600_302600_NS6detail15normal_iteratorINSC_10device_ptrIKdEEEESI_EEEEESK_NSA_INS5_IJNSE_INSF_IdEEEESM_EEEEEPS7_SP_SP_NSC_11hip_rocprim7__merge17predicate_wrapperIddNSC_7greaterIdEEEEEE10hipError_tPvRmT0_T1_T2_T3_T4_T5_mmT6_P12ihipStream_tbEUlT_E_NS1_11comp_targetILNS1_3genE0ELNS1_11target_archE4294967295ELNS1_3gpuE0ELNS1_3repE0EEENS1_30default_config_static_selectorELNS0_4arch9wavefront6targetE0EEEvS10_
		.amdhsa_group_segment_fixed_size 0
		.amdhsa_private_segment_fixed_size 0
		.amdhsa_kernarg_size 320
		.amdhsa_user_sgpr_count 2
		.amdhsa_user_sgpr_dispatch_ptr 0
		.amdhsa_user_sgpr_queue_ptr 0
		.amdhsa_user_sgpr_kernarg_segment_ptr 1
		.amdhsa_user_sgpr_dispatch_id 0
		.amdhsa_user_sgpr_kernarg_preload_length 0
		.amdhsa_user_sgpr_kernarg_preload_offset 0
		.amdhsa_user_sgpr_private_segment_size 0
		.amdhsa_wavefront_size32 1
		.amdhsa_uses_dynamic_stack 0
		.amdhsa_enable_private_segment 0
		.amdhsa_system_sgpr_workgroup_id_x 1
		.amdhsa_system_sgpr_workgroup_id_y 0
		.amdhsa_system_sgpr_workgroup_id_z 0
		.amdhsa_system_sgpr_workgroup_info 0
		.amdhsa_system_vgpr_workitem_id 0
		.amdhsa_next_free_vgpr 18
		.amdhsa_next_free_sgpr 14
		.amdhsa_named_barrier_count 0
		.amdhsa_reserve_vcc 1
		.amdhsa_float_round_mode_32 0
		.amdhsa_float_round_mode_16_64 0
		.amdhsa_float_denorm_mode_32 3
		.amdhsa_float_denorm_mode_16_64 3
		.amdhsa_fp16_overflow 0
		.amdhsa_memory_ordered 1
		.amdhsa_forward_progress 1
		.amdhsa_inst_pref_size 4
		.amdhsa_round_robin_scheduling 0
		.amdhsa_exception_fp_ieee_invalid_op 0
		.amdhsa_exception_fp_denorm_src 0
		.amdhsa_exception_fp_ieee_div_zero 0
		.amdhsa_exception_fp_ieee_overflow 0
		.amdhsa_exception_fp_ieee_underflow 0
		.amdhsa_exception_fp_ieee_inexact 0
		.amdhsa_exception_int_div_zero 0
	.end_amdhsa_kernel
	.section	.text._ZN7rocprim17ROCPRIM_400000_NS6detail17trampoline_kernelINS0_14default_configENS1_21merge_config_selectorINS0_5tupleIJddEEENS0_10empty_typeEEEZNS1_10merge_implIS3_NS0_12zip_iteratorINS5_IJN6thrust23THRUST_200600_302600_NS6detail15normal_iteratorINSC_10device_ptrIKdEEEESI_EEEEESK_NSA_INS5_IJNSE_INSF_IdEEEESM_EEEEEPS7_SP_SP_NSC_11hip_rocprim7__merge17predicate_wrapperIddNSC_7greaterIdEEEEEE10hipError_tPvRmT0_T1_T2_T3_T4_T5_mmT6_P12ihipStream_tbEUlT_E_NS1_11comp_targetILNS1_3genE0ELNS1_11target_archE4294967295ELNS1_3gpuE0ELNS1_3repE0EEENS1_30default_config_static_selectorELNS0_4arch9wavefront6targetE0EEEvS10_,"axG",@progbits,_ZN7rocprim17ROCPRIM_400000_NS6detail17trampoline_kernelINS0_14default_configENS1_21merge_config_selectorINS0_5tupleIJddEEENS0_10empty_typeEEEZNS1_10merge_implIS3_NS0_12zip_iteratorINS5_IJN6thrust23THRUST_200600_302600_NS6detail15normal_iteratorINSC_10device_ptrIKdEEEESI_EEEEESK_NSA_INS5_IJNSE_INSF_IdEEEESM_EEEEEPS7_SP_SP_NSC_11hip_rocprim7__merge17predicate_wrapperIddNSC_7greaterIdEEEEEE10hipError_tPvRmT0_T1_T2_T3_T4_T5_mmT6_P12ihipStream_tbEUlT_E_NS1_11comp_targetILNS1_3genE0ELNS1_11target_archE4294967295ELNS1_3gpuE0ELNS1_3repE0EEENS1_30default_config_static_selectorELNS0_4arch9wavefront6targetE0EEEvS10_,comdat
.Lfunc_end317:
	.size	_ZN7rocprim17ROCPRIM_400000_NS6detail17trampoline_kernelINS0_14default_configENS1_21merge_config_selectorINS0_5tupleIJddEEENS0_10empty_typeEEEZNS1_10merge_implIS3_NS0_12zip_iteratorINS5_IJN6thrust23THRUST_200600_302600_NS6detail15normal_iteratorINSC_10device_ptrIKdEEEESI_EEEEESK_NSA_INS5_IJNSE_INSF_IdEEEESM_EEEEEPS7_SP_SP_NSC_11hip_rocprim7__merge17predicate_wrapperIddNSC_7greaterIdEEEEEE10hipError_tPvRmT0_T1_T2_T3_T4_T5_mmT6_P12ihipStream_tbEUlT_E_NS1_11comp_targetILNS1_3genE0ELNS1_11target_archE4294967295ELNS1_3gpuE0ELNS1_3repE0EEENS1_30default_config_static_selectorELNS0_4arch9wavefront6targetE0EEEvS10_, .Lfunc_end317-_ZN7rocprim17ROCPRIM_400000_NS6detail17trampoline_kernelINS0_14default_configENS1_21merge_config_selectorINS0_5tupleIJddEEENS0_10empty_typeEEEZNS1_10merge_implIS3_NS0_12zip_iteratorINS5_IJN6thrust23THRUST_200600_302600_NS6detail15normal_iteratorINSC_10device_ptrIKdEEEESI_EEEEESK_NSA_INS5_IJNSE_INSF_IdEEEESM_EEEEEPS7_SP_SP_NSC_11hip_rocprim7__merge17predicate_wrapperIddNSC_7greaterIdEEEEEE10hipError_tPvRmT0_T1_T2_T3_T4_T5_mmT6_P12ihipStream_tbEUlT_E_NS1_11comp_targetILNS1_3genE0ELNS1_11target_archE4294967295ELNS1_3gpuE0ELNS1_3repE0EEENS1_30default_config_static_selectorELNS0_4arch9wavefront6targetE0EEEvS10_
                                        ; -- End function
	.set _ZN7rocprim17ROCPRIM_400000_NS6detail17trampoline_kernelINS0_14default_configENS1_21merge_config_selectorINS0_5tupleIJddEEENS0_10empty_typeEEEZNS1_10merge_implIS3_NS0_12zip_iteratorINS5_IJN6thrust23THRUST_200600_302600_NS6detail15normal_iteratorINSC_10device_ptrIKdEEEESI_EEEEESK_NSA_INS5_IJNSE_INSF_IdEEEESM_EEEEEPS7_SP_SP_NSC_11hip_rocprim7__merge17predicate_wrapperIddNSC_7greaterIdEEEEEE10hipError_tPvRmT0_T1_T2_T3_T4_T5_mmT6_P12ihipStream_tbEUlT_E_NS1_11comp_targetILNS1_3genE0ELNS1_11target_archE4294967295ELNS1_3gpuE0ELNS1_3repE0EEENS1_30default_config_static_selectorELNS0_4arch9wavefront6targetE0EEEvS10_.num_vgpr, 18
	.set _ZN7rocprim17ROCPRIM_400000_NS6detail17trampoline_kernelINS0_14default_configENS1_21merge_config_selectorINS0_5tupleIJddEEENS0_10empty_typeEEEZNS1_10merge_implIS3_NS0_12zip_iteratorINS5_IJN6thrust23THRUST_200600_302600_NS6detail15normal_iteratorINSC_10device_ptrIKdEEEESI_EEEEESK_NSA_INS5_IJNSE_INSF_IdEEEESM_EEEEEPS7_SP_SP_NSC_11hip_rocprim7__merge17predicate_wrapperIddNSC_7greaterIdEEEEEE10hipError_tPvRmT0_T1_T2_T3_T4_T5_mmT6_P12ihipStream_tbEUlT_E_NS1_11comp_targetILNS1_3genE0ELNS1_11target_archE4294967295ELNS1_3gpuE0ELNS1_3repE0EEENS1_30default_config_static_selectorELNS0_4arch9wavefront6targetE0EEEvS10_.num_agpr, 0
	.set _ZN7rocprim17ROCPRIM_400000_NS6detail17trampoline_kernelINS0_14default_configENS1_21merge_config_selectorINS0_5tupleIJddEEENS0_10empty_typeEEEZNS1_10merge_implIS3_NS0_12zip_iteratorINS5_IJN6thrust23THRUST_200600_302600_NS6detail15normal_iteratorINSC_10device_ptrIKdEEEESI_EEEEESK_NSA_INS5_IJNSE_INSF_IdEEEESM_EEEEEPS7_SP_SP_NSC_11hip_rocprim7__merge17predicate_wrapperIddNSC_7greaterIdEEEEEE10hipError_tPvRmT0_T1_T2_T3_T4_T5_mmT6_P12ihipStream_tbEUlT_E_NS1_11comp_targetILNS1_3genE0ELNS1_11target_archE4294967295ELNS1_3gpuE0ELNS1_3repE0EEENS1_30default_config_static_selectorELNS0_4arch9wavefront6targetE0EEEvS10_.numbered_sgpr, 14
	.set _ZN7rocprim17ROCPRIM_400000_NS6detail17trampoline_kernelINS0_14default_configENS1_21merge_config_selectorINS0_5tupleIJddEEENS0_10empty_typeEEEZNS1_10merge_implIS3_NS0_12zip_iteratorINS5_IJN6thrust23THRUST_200600_302600_NS6detail15normal_iteratorINSC_10device_ptrIKdEEEESI_EEEEESK_NSA_INS5_IJNSE_INSF_IdEEEESM_EEEEEPS7_SP_SP_NSC_11hip_rocprim7__merge17predicate_wrapperIddNSC_7greaterIdEEEEEE10hipError_tPvRmT0_T1_T2_T3_T4_T5_mmT6_P12ihipStream_tbEUlT_E_NS1_11comp_targetILNS1_3genE0ELNS1_11target_archE4294967295ELNS1_3gpuE0ELNS1_3repE0EEENS1_30default_config_static_selectorELNS0_4arch9wavefront6targetE0EEEvS10_.num_named_barrier, 0
	.set _ZN7rocprim17ROCPRIM_400000_NS6detail17trampoline_kernelINS0_14default_configENS1_21merge_config_selectorINS0_5tupleIJddEEENS0_10empty_typeEEEZNS1_10merge_implIS3_NS0_12zip_iteratorINS5_IJN6thrust23THRUST_200600_302600_NS6detail15normal_iteratorINSC_10device_ptrIKdEEEESI_EEEEESK_NSA_INS5_IJNSE_INSF_IdEEEESM_EEEEEPS7_SP_SP_NSC_11hip_rocprim7__merge17predicate_wrapperIddNSC_7greaterIdEEEEEE10hipError_tPvRmT0_T1_T2_T3_T4_T5_mmT6_P12ihipStream_tbEUlT_E_NS1_11comp_targetILNS1_3genE0ELNS1_11target_archE4294967295ELNS1_3gpuE0ELNS1_3repE0EEENS1_30default_config_static_selectorELNS0_4arch9wavefront6targetE0EEEvS10_.private_seg_size, 0
	.set _ZN7rocprim17ROCPRIM_400000_NS6detail17trampoline_kernelINS0_14default_configENS1_21merge_config_selectorINS0_5tupleIJddEEENS0_10empty_typeEEEZNS1_10merge_implIS3_NS0_12zip_iteratorINS5_IJN6thrust23THRUST_200600_302600_NS6detail15normal_iteratorINSC_10device_ptrIKdEEEESI_EEEEESK_NSA_INS5_IJNSE_INSF_IdEEEESM_EEEEEPS7_SP_SP_NSC_11hip_rocprim7__merge17predicate_wrapperIddNSC_7greaterIdEEEEEE10hipError_tPvRmT0_T1_T2_T3_T4_T5_mmT6_P12ihipStream_tbEUlT_E_NS1_11comp_targetILNS1_3genE0ELNS1_11target_archE4294967295ELNS1_3gpuE0ELNS1_3repE0EEENS1_30default_config_static_selectorELNS0_4arch9wavefront6targetE0EEEvS10_.uses_vcc, 1
	.set _ZN7rocprim17ROCPRIM_400000_NS6detail17trampoline_kernelINS0_14default_configENS1_21merge_config_selectorINS0_5tupleIJddEEENS0_10empty_typeEEEZNS1_10merge_implIS3_NS0_12zip_iteratorINS5_IJN6thrust23THRUST_200600_302600_NS6detail15normal_iteratorINSC_10device_ptrIKdEEEESI_EEEEESK_NSA_INS5_IJNSE_INSF_IdEEEESM_EEEEEPS7_SP_SP_NSC_11hip_rocprim7__merge17predicate_wrapperIddNSC_7greaterIdEEEEEE10hipError_tPvRmT0_T1_T2_T3_T4_T5_mmT6_P12ihipStream_tbEUlT_E_NS1_11comp_targetILNS1_3genE0ELNS1_11target_archE4294967295ELNS1_3gpuE0ELNS1_3repE0EEENS1_30default_config_static_selectorELNS0_4arch9wavefront6targetE0EEEvS10_.uses_flat_scratch, 0
	.set _ZN7rocprim17ROCPRIM_400000_NS6detail17trampoline_kernelINS0_14default_configENS1_21merge_config_selectorINS0_5tupleIJddEEENS0_10empty_typeEEEZNS1_10merge_implIS3_NS0_12zip_iteratorINS5_IJN6thrust23THRUST_200600_302600_NS6detail15normal_iteratorINSC_10device_ptrIKdEEEESI_EEEEESK_NSA_INS5_IJNSE_INSF_IdEEEESM_EEEEEPS7_SP_SP_NSC_11hip_rocprim7__merge17predicate_wrapperIddNSC_7greaterIdEEEEEE10hipError_tPvRmT0_T1_T2_T3_T4_T5_mmT6_P12ihipStream_tbEUlT_E_NS1_11comp_targetILNS1_3genE0ELNS1_11target_archE4294967295ELNS1_3gpuE0ELNS1_3repE0EEENS1_30default_config_static_selectorELNS0_4arch9wavefront6targetE0EEEvS10_.has_dyn_sized_stack, 0
	.set _ZN7rocprim17ROCPRIM_400000_NS6detail17trampoline_kernelINS0_14default_configENS1_21merge_config_selectorINS0_5tupleIJddEEENS0_10empty_typeEEEZNS1_10merge_implIS3_NS0_12zip_iteratorINS5_IJN6thrust23THRUST_200600_302600_NS6detail15normal_iteratorINSC_10device_ptrIKdEEEESI_EEEEESK_NSA_INS5_IJNSE_INSF_IdEEEESM_EEEEEPS7_SP_SP_NSC_11hip_rocprim7__merge17predicate_wrapperIddNSC_7greaterIdEEEEEE10hipError_tPvRmT0_T1_T2_T3_T4_T5_mmT6_P12ihipStream_tbEUlT_E_NS1_11comp_targetILNS1_3genE0ELNS1_11target_archE4294967295ELNS1_3gpuE0ELNS1_3repE0EEENS1_30default_config_static_selectorELNS0_4arch9wavefront6targetE0EEEvS10_.has_recursion, 0
	.set _ZN7rocprim17ROCPRIM_400000_NS6detail17trampoline_kernelINS0_14default_configENS1_21merge_config_selectorINS0_5tupleIJddEEENS0_10empty_typeEEEZNS1_10merge_implIS3_NS0_12zip_iteratorINS5_IJN6thrust23THRUST_200600_302600_NS6detail15normal_iteratorINSC_10device_ptrIKdEEEESI_EEEEESK_NSA_INS5_IJNSE_INSF_IdEEEESM_EEEEEPS7_SP_SP_NSC_11hip_rocprim7__merge17predicate_wrapperIddNSC_7greaterIdEEEEEE10hipError_tPvRmT0_T1_T2_T3_T4_T5_mmT6_P12ihipStream_tbEUlT_E_NS1_11comp_targetILNS1_3genE0ELNS1_11target_archE4294967295ELNS1_3gpuE0ELNS1_3repE0EEENS1_30default_config_static_selectorELNS0_4arch9wavefront6targetE0EEEvS10_.has_indirect_call, 0
	.section	.AMDGPU.csdata,"",@progbits
; Kernel info:
; codeLenInByte = 484
; TotalNumSgprs: 16
; NumVgprs: 18
; ScratchSize: 0
; MemoryBound: 0
; FloatMode: 240
; IeeeMode: 1
; LDSByteSize: 0 bytes/workgroup (compile time only)
; SGPRBlocks: 0
; VGPRBlocks: 1
; NumSGPRsForWavesPerEU: 16
; NumVGPRsForWavesPerEU: 18
; NamedBarCnt: 0
; Occupancy: 16
; WaveLimiterHint : 0
; COMPUTE_PGM_RSRC2:SCRATCH_EN: 0
; COMPUTE_PGM_RSRC2:USER_SGPR: 2
; COMPUTE_PGM_RSRC2:TRAP_HANDLER: 0
; COMPUTE_PGM_RSRC2:TGID_X_EN: 1
; COMPUTE_PGM_RSRC2:TGID_Y_EN: 0
; COMPUTE_PGM_RSRC2:TGID_Z_EN: 0
; COMPUTE_PGM_RSRC2:TIDIG_COMP_CNT: 0
	.section	.text._ZN7rocprim17ROCPRIM_400000_NS6detail17trampoline_kernelINS0_14default_configENS1_21merge_config_selectorINS0_5tupleIJddEEENS0_10empty_typeEEEZNS1_10merge_implIS3_NS0_12zip_iteratorINS5_IJN6thrust23THRUST_200600_302600_NS6detail15normal_iteratorINSC_10device_ptrIKdEEEESI_EEEEESK_NSA_INS5_IJNSE_INSF_IdEEEESM_EEEEEPS7_SP_SP_NSC_11hip_rocprim7__merge17predicate_wrapperIddNSC_7greaterIdEEEEEE10hipError_tPvRmT0_T1_T2_T3_T4_T5_mmT6_P12ihipStream_tbEUlT_E_NS1_11comp_targetILNS1_3genE5ELNS1_11target_archE942ELNS1_3gpuE9ELNS1_3repE0EEENS1_30default_config_static_selectorELNS0_4arch9wavefront6targetE0EEEvS10_,"axG",@progbits,_ZN7rocprim17ROCPRIM_400000_NS6detail17trampoline_kernelINS0_14default_configENS1_21merge_config_selectorINS0_5tupleIJddEEENS0_10empty_typeEEEZNS1_10merge_implIS3_NS0_12zip_iteratorINS5_IJN6thrust23THRUST_200600_302600_NS6detail15normal_iteratorINSC_10device_ptrIKdEEEESI_EEEEESK_NSA_INS5_IJNSE_INSF_IdEEEESM_EEEEEPS7_SP_SP_NSC_11hip_rocprim7__merge17predicate_wrapperIddNSC_7greaterIdEEEEEE10hipError_tPvRmT0_T1_T2_T3_T4_T5_mmT6_P12ihipStream_tbEUlT_E_NS1_11comp_targetILNS1_3genE5ELNS1_11target_archE942ELNS1_3gpuE9ELNS1_3repE0EEENS1_30default_config_static_selectorELNS0_4arch9wavefront6targetE0EEEvS10_,comdat
	.protected	_ZN7rocprim17ROCPRIM_400000_NS6detail17trampoline_kernelINS0_14default_configENS1_21merge_config_selectorINS0_5tupleIJddEEENS0_10empty_typeEEEZNS1_10merge_implIS3_NS0_12zip_iteratorINS5_IJN6thrust23THRUST_200600_302600_NS6detail15normal_iteratorINSC_10device_ptrIKdEEEESI_EEEEESK_NSA_INS5_IJNSE_INSF_IdEEEESM_EEEEEPS7_SP_SP_NSC_11hip_rocprim7__merge17predicate_wrapperIddNSC_7greaterIdEEEEEE10hipError_tPvRmT0_T1_T2_T3_T4_T5_mmT6_P12ihipStream_tbEUlT_E_NS1_11comp_targetILNS1_3genE5ELNS1_11target_archE942ELNS1_3gpuE9ELNS1_3repE0EEENS1_30default_config_static_selectorELNS0_4arch9wavefront6targetE0EEEvS10_ ; -- Begin function _ZN7rocprim17ROCPRIM_400000_NS6detail17trampoline_kernelINS0_14default_configENS1_21merge_config_selectorINS0_5tupleIJddEEENS0_10empty_typeEEEZNS1_10merge_implIS3_NS0_12zip_iteratorINS5_IJN6thrust23THRUST_200600_302600_NS6detail15normal_iteratorINSC_10device_ptrIKdEEEESI_EEEEESK_NSA_INS5_IJNSE_INSF_IdEEEESM_EEEEEPS7_SP_SP_NSC_11hip_rocprim7__merge17predicate_wrapperIddNSC_7greaterIdEEEEEE10hipError_tPvRmT0_T1_T2_T3_T4_T5_mmT6_P12ihipStream_tbEUlT_E_NS1_11comp_targetILNS1_3genE5ELNS1_11target_archE942ELNS1_3gpuE9ELNS1_3repE0EEENS1_30default_config_static_selectorELNS0_4arch9wavefront6targetE0EEEvS10_
	.globl	_ZN7rocprim17ROCPRIM_400000_NS6detail17trampoline_kernelINS0_14default_configENS1_21merge_config_selectorINS0_5tupleIJddEEENS0_10empty_typeEEEZNS1_10merge_implIS3_NS0_12zip_iteratorINS5_IJN6thrust23THRUST_200600_302600_NS6detail15normal_iteratorINSC_10device_ptrIKdEEEESI_EEEEESK_NSA_INS5_IJNSE_INSF_IdEEEESM_EEEEEPS7_SP_SP_NSC_11hip_rocprim7__merge17predicate_wrapperIddNSC_7greaterIdEEEEEE10hipError_tPvRmT0_T1_T2_T3_T4_T5_mmT6_P12ihipStream_tbEUlT_E_NS1_11comp_targetILNS1_3genE5ELNS1_11target_archE942ELNS1_3gpuE9ELNS1_3repE0EEENS1_30default_config_static_selectorELNS0_4arch9wavefront6targetE0EEEvS10_
	.p2align	8
	.type	_ZN7rocprim17ROCPRIM_400000_NS6detail17trampoline_kernelINS0_14default_configENS1_21merge_config_selectorINS0_5tupleIJddEEENS0_10empty_typeEEEZNS1_10merge_implIS3_NS0_12zip_iteratorINS5_IJN6thrust23THRUST_200600_302600_NS6detail15normal_iteratorINSC_10device_ptrIKdEEEESI_EEEEESK_NSA_INS5_IJNSE_INSF_IdEEEESM_EEEEEPS7_SP_SP_NSC_11hip_rocprim7__merge17predicate_wrapperIddNSC_7greaterIdEEEEEE10hipError_tPvRmT0_T1_T2_T3_T4_T5_mmT6_P12ihipStream_tbEUlT_E_NS1_11comp_targetILNS1_3genE5ELNS1_11target_archE942ELNS1_3gpuE9ELNS1_3repE0EEENS1_30default_config_static_selectorELNS0_4arch9wavefront6targetE0EEEvS10_,@function
_ZN7rocprim17ROCPRIM_400000_NS6detail17trampoline_kernelINS0_14default_configENS1_21merge_config_selectorINS0_5tupleIJddEEENS0_10empty_typeEEEZNS1_10merge_implIS3_NS0_12zip_iteratorINS5_IJN6thrust23THRUST_200600_302600_NS6detail15normal_iteratorINSC_10device_ptrIKdEEEESI_EEEEESK_NSA_INS5_IJNSE_INSF_IdEEEESM_EEEEEPS7_SP_SP_NSC_11hip_rocprim7__merge17predicate_wrapperIddNSC_7greaterIdEEEEEE10hipError_tPvRmT0_T1_T2_T3_T4_T5_mmT6_P12ihipStream_tbEUlT_E_NS1_11comp_targetILNS1_3genE5ELNS1_11target_archE942ELNS1_3gpuE9ELNS1_3repE0EEENS1_30default_config_static_selectorELNS0_4arch9wavefront6targetE0EEEvS10_: ; @_ZN7rocprim17ROCPRIM_400000_NS6detail17trampoline_kernelINS0_14default_configENS1_21merge_config_selectorINS0_5tupleIJddEEENS0_10empty_typeEEEZNS1_10merge_implIS3_NS0_12zip_iteratorINS5_IJN6thrust23THRUST_200600_302600_NS6detail15normal_iteratorINSC_10device_ptrIKdEEEESI_EEEEESK_NSA_INS5_IJNSE_INSF_IdEEEESM_EEEEEPS7_SP_SP_NSC_11hip_rocprim7__merge17predicate_wrapperIddNSC_7greaterIdEEEEEE10hipError_tPvRmT0_T1_T2_T3_T4_T5_mmT6_P12ihipStream_tbEUlT_E_NS1_11comp_targetILNS1_3genE5ELNS1_11target_archE942ELNS1_3gpuE9ELNS1_3repE0EEENS1_30default_config_static_selectorELNS0_4arch9wavefront6targetE0EEEvS10_
; %bb.0:
	.section	.rodata,"a",@progbits
	.p2align	6, 0x0
	.amdhsa_kernel _ZN7rocprim17ROCPRIM_400000_NS6detail17trampoline_kernelINS0_14default_configENS1_21merge_config_selectorINS0_5tupleIJddEEENS0_10empty_typeEEEZNS1_10merge_implIS3_NS0_12zip_iteratorINS5_IJN6thrust23THRUST_200600_302600_NS6detail15normal_iteratorINSC_10device_ptrIKdEEEESI_EEEEESK_NSA_INS5_IJNSE_INSF_IdEEEESM_EEEEEPS7_SP_SP_NSC_11hip_rocprim7__merge17predicate_wrapperIddNSC_7greaterIdEEEEEE10hipError_tPvRmT0_T1_T2_T3_T4_T5_mmT6_P12ihipStream_tbEUlT_E_NS1_11comp_targetILNS1_3genE5ELNS1_11target_archE942ELNS1_3gpuE9ELNS1_3repE0EEENS1_30default_config_static_selectorELNS0_4arch9wavefront6targetE0EEEvS10_
		.amdhsa_group_segment_fixed_size 0
		.amdhsa_private_segment_fixed_size 0
		.amdhsa_kernarg_size 64
		.amdhsa_user_sgpr_count 2
		.amdhsa_user_sgpr_dispatch_ptr 0
		.amdhsa_user_sgpr_queue_ptr 0
		.amdhsa_user_sgpr_kernarg_segment_ptr 1
		.amdhsa_user_sgpr_dispatch_id 0
		.amdhsa_user_sgpr_kernarg_preload_length 0
		.amdhsa_user_sgpr_kernarg_preload_offset 0
		.amdhsa_user_sgpr_private_segment_size 0
		.amdhsa_wavefront_size32 1
		.amdhsa_uses_dynamic_stack 0
		.amdhsa_enable_private_segment 0
		.amdhsa_system_sgpr_workgroup_id_x 1
		.amdhsa_system_sgpr_workgroup_id_y 0
		.amdhsa_system_sgpr_workgroup_id_z 0
		.amdhsa_system_sgpr_workgroup_info 0
		.amdhsa_system_vgpr_workitem_id 0
		.amdhsa_next_free_vgpr 1
		.amdhsa_next_free_sgpr 1
		.amdhsa_named_barrier_count 0
		.amdhsa_reserve_vcc 0
		.amdhsa_float_round_mode_32 0
		.amdhsa_float_round_mode_16_64 0
		.amdhsa_float_denorm_mode_32 3
		.amdhsa_float_denorm_mode_16_64 3
		.amdhsa_fp16_overflow 0
		.amdhsa_memory_ordered 1
		.amdhsa_forward_progress 1
		.amdhsa_inst_pref_size 0
		.amdhsa_round_robin_scheduling 0
		.amdhsa_exception_fp_ieee_invalid_op 0
		.amdhsa_exception_fp_denorm_src 0
		.amdhsa_exception_fp_ieee_div_zero 0
		.amdhsa_exception_fp_ieee_overflow 0
		.amdhsa_exception_fp_ieee_underflow 0
		.amdhsa_exception_fp_ieee_inexact 0
		.amdhsa_exception_int_div_zero 0
	.end_amdhsa_kernel
	.section	.text._ZN7rocprim17ROCPRIM_400000_NS6detail17trampoline_kernelINS0_14default_configENS1_21merge_config_selectorINS0_5tupleIJddEEENS0_10empty_typeEEEZNS1_10merge_implIS3_NS0_12zip_iteratorINS5_IJN6thrust23THRUST_200600_302600_NS6detail15normal_iteratorINSC_10device_ptrIKdEEEESI_EEEEESK_NSA_INS5_IJNSE_INSF_IdEEEESM_EEEEEPS7_SP_SP_NSC_11hip_rocprim7__merge17predicate_wrapperIddNSC_7greaterIdEEEEEE10hipError_tPvRmT0_T1_T2_T3_T4_T5_mmT6_P12ihipStream_tbEUlT_E_NS1_11comp_targetILNS1_3genE5ELNS1_11target_archE942ELNS1_3gpuE9ELNS1_3repE0EEENS1_30default_config_static_selectorELNS0_4arch9wavefront6targetE0EEEvS10_,"axG",@progbits,_ZN7rocprim17ROCPRIM_400000_NS6detail17trampoline_kernelINS0_14default_configENS1_21merge_config_selectorINS0_5tupleIJddEEENS0_10empty_typeEEEZNS1_10merge_implIS3_NS0_12zip_iteratorINS5_IJN6thrust23THRUST_200600_302600_NS6detail15normal_iteratorINSC_10device_ptrIKdEEEESI_EEEEESK_NSA_INS5_IJNSE_INSF_IdEEEESM_EEEEEPS7_SP_SP_NSC_11hip_rocprim7__merge17predicate_wrapperIddNSC_7greaterIdEEEEEE10hipError_tPvRmT0_T1_T2_T3_T4_T5_mmT6_P12ihipStream_tbEUlT_E_NS1_11comp_targetILNS1_3genE5ELNS1_11target_archE942ELNS1_3gpuE9ELNS1_3repE0EEENS1_30default_config_static_selectorELNS0_4arch9wavefront6targetE0EEEvS10_,comdat
.Lfunc_end318:
	.size	_ZN7rocprim17ROCPRIM_400000_NS6detail17trampoline_kernelINS0_14default_configENS1_21merge_config_selectorINS0_5tupleIJddEEENS0_10empty_typeEEEZNS1_10merge_implIS3_NS0_12zip_iteratorINS5_IJN6thrust23THRUST_200600_302600_NS6detail15normal_iteratorINSC_10device_ptrIKdEEEESI_EEEEESK_NSA_INS5_IJNSE_INSF_IdEEEESM_EEEEEPS7_SP_SP_NSC_11hip_rocprim7__merge17predicate_wrapperIddNSC_7greaterIdEEEEEE10hipError_tPvRmT0_T1_T2_T3_T4_T5_mmT6_P12ihipStream_tbEUlT_E_NS1_11comp_targetILNS1_3genE5ELNS1_11target_archE942ELNS1_3gpuE9ELNS1_3repE0EEENS1_30default_config_static_selectorELNS0_4arch9wavefront6targetE0EEEvS10_, .Lfunc_end318-_ZN7rocprim17ROCPRIM_400000_NS6detail17trampoline_kernelINS0_14default_configENS1_21merge_config_selectorINS0_5tupleIJddEEENS0_10empty_typeEEEZNS1_10merge_implIS3_NS0_12zip_iteratorINS5_IJN6thrust23THRUST_200600_302600_NS6detail15normal_iteratorINSC_10device_ptrIKdEEEESI_EEEEESK_NSA_INS5_IJNSE_INSF_IdEEEESM_EEEEEPS7_SP_SP_NSC_11hip_rocprim7__merge17predicate_wrapperIddNSC_7greaterIdEEEEEE10hipError_tPvRmT0_T1_T2_T3_T4_T5_mmT6_P12ihipStream_tbEUlT_E_NS1_11comp_targetILNS1_3genE5ELNS1_11target_archE942ELNS1_3gpuE9ELNS1_3repE0EEENS1_30default_config_static_selectorELNS0_4arch9wavefront6targetE0EEEvS10_
                                        ; -- End function
	.set _ZN7rocprim17ROCPRIM_400000_NS6detail17trampoline_kernelINS0_14default_configENS1_21merge_config_selectorINS0_5tupleIJddEEENS0_10empty_typeEEEZNS1_10merge_implIS3_NS0_12zip_iteratorINS5_IJN6thrust23THRUST_200600_302600_NS6detail15normal_iteratorINSC_10device_ptrIKdEEEESI_EEEEESK_NSA_INS5_IJNSE_INSF_IdEEEESM_EEEEEPS7_SP_SP_NSC_11hip_rocprim7__merge17predicate_wrapperIddNSC_7greaterIdEEEEEE10hipError_tPvRmT0_T1_T2_T3_T4_T5_mmT6_P12ihipStream_tbEUlT_E_NS1_11comp_targetILNS1_3genE5ELNS1_11target_archE942ELNS1_3gpuE9ELNS1_3repE0EEENS1_30default_config_static_selectorELNS0_4arch9wavefront6targetE0EEEvS10_.num_vgpr, 0
	.set _ZN7rocprim17ROCPRIM_400000_NS6detail17trampoline_kernelINS0_14default_configENS1_21merge_config_selectorINS0_5tupleIJddEEENS0_10empty_typeEEEZNS1_10merge_implIS3_NS0_12zip_iteratorINS5_IJN6thrust23THRUST_200600_302600_NS6detail15normal_iteratorINSC_10device_ptrIKdEEEESI_EEEEESK_NSA_INS5_IJNSE_INSF_IdEEEESM_EEEEEPS7_SP_SP_NSC_11hip_rocprim7__merge17predicate_wrapperIddNSC_7greaterIdEEEEEE10hipError_tPvRmT0_T1_T2_T3_T4_T5_mmT6_P12ihipStream_tbEUlT_E_NS1_11comp_targetILNS1_3genE5ELNS1_11target_archE942ELNS1_3gpuE9ELNS1_3repE0EEENS1_30default_config_static_selectorELNS0_4arch9wavefront6targetE0EEEvS10_.num_agpr, 0
	.set _ZN7rocprim17ROCPRIM_400000_NS6detail17trampoline_kernelINS0_14default_configENS1_21merge_config_selectorINS0_5tupleIJddEEENS0_10empty_typeEEEZNS1_10merge_implIS3_NS0_12zip_iteratorINS5_IJN6thrust23THRUST_200600_302600_NS6detail15normal_iteratorINSC_10device_ptrIKdEEEESI_EEEEESK_NSA_INS5_IJNSE_INSF_IdEEEESM_EEEEEPS7_SP_SP_NSC_11hip_rocprim7__merge17predicate_wrapperIddNSC_7greaterIdEEEEEE10hipError_tPvRmT0_T1_T2_T3_T4_T5_mmT6_P12ihipStream_tbEUlT_E_NS1_11comp_targetILNS1_3genE5ELNS1_11target_archE942ELNS1_3gpuE9ELNS1_3repE0EEENS1_30default_config_static_selectorELNS0_4arch9wavefront6targetE0EEEvS10_.numbered_sgpr, 0
	.set _ZN7rocprim17ROCPRIM_400000_NS6detail17trampoline_kernelINS0_14default_configENS1_21merge_config_selectorINS0_5tupleIJddEEENS0_10empty_typeEEEZNS1_10merge_implIS3_NS0_12zip_iteratorINS5_IJN6thrust23THRUST_200600_302600_NS6detail15normal_iteratorINSC_10device_ptrIKdEEEESI_EEEEESK_NSA_INS5_IJNSE_INSF_IdEEEESM_EEEEEPS7_SP_SP_NSC_11hip_rocprim7__merge17predicate_wrapperIddNSC_7greaterIdEEEEEE10hipError_tPvRmT0_T1_T2_T3_T4_T5_mmT6_P12ihipStream_tbEUlT_E_NS1_11comp_targetILNS1_3genE5ELNS1_11target_archE942ELNS1_3gpuE9ELNS1_3repE0EEENS1_30default_config_static_selectorELNS0_4arch9wavefront6targetE0EEEvS10_.num_named_barrier, 0
	.set _ZN7rocprim17ROCPRIM_400000_NS6detail17trampoline_kernelINS0_14default_configENS1_21merge_config_selectorINS0_5tupleIJddEEENS0_10empty_typeEEEZNS1_10merge_implIS3_NS0_12zip_iteratorINS5_IJN6thrust23THRUST_200600_302600_NS6detail15normal_iteratorINSC_10device_ptrIKdEEEESI_EEEEESK_NSA_INS5_IJNSE_INSF_IdEEEESM_EEEEEPS7_SP_SP_NSC_11hip_rocprim7__merge17predicate_wrapperIddNSC_7greaterIdEEEEEE10hipError_tPvRmT0_T1_T2_T3_T4_T5_mmT6_P12ihipStream_tbEUlT_E_NS1_11comp_targetILNS1_3genE5ELNS1_11target_archE942ELNS1_3gpuE9ELNS1_3repE0EEENS1_30default_config_static_selectorELNS0_4arch9wavefront6targetE0EEEvS10_.private_seg_size, 0
	.set _ZN7rocprim17ROCPRIM_400000_NS6detail17trampoline_kernelINS0_14default_configENS1_21merge_config_selectorINS0_5tupleIJddEEENS0_10empty_typeEEEZNS1_10merge_implIS3_NS0_12zip_iteratorINS5_IJN6thrust23THRUST_200600_302600_NS6detail15normal_iteratorINSC_10device_ptrIKdEEEESI_EEEEESK_NSA_INS5_IJNSE_INSF_IdEEEESM_EEEEEPS7_SP_SP_NSC_11hip_rocprim7__merge17predicate_wrapperIddNSC_7greaterIdEEEEEE10hipError_tPvRmT0_T1_T2_T3_T4_T5_mmT6_P12ihipStream_tbEUlT_E_NS1_11comp_targetILNS1_3genE5ELNS1_11target_archE942ELNS1_3gpuE9ELNS1_3repE0EEENS1_30default_config_static_selectorELNS0_4arch9wavefront6targetE0EEEvS10_.uses_vcc, 0
	.set _ZN7rocprim17ROCPRIM_400000_NS6detail17trampoline_kernelINS0_14default_configENS1_21merge_config_selectorINS0_5tupleIJddEEENS0_10empty_typeEEEZNS1_10merge_implIS3_NS0_12zip_iteratorINS5_IJN6thrust23THRUST_200600_302600_NS6detail15normal_iteratorINSC_10device_ptrIKdEEEESI_EEEEESK_NSA_INS5_IJNSE_INSF_IdEEEESM_EEEEEPS7_SP_SP_NSC_11hip_rocprim7__merge17predicate_wrapperIddNSC_7greaterIdEEEEEE10hipError_tPvRmT0_T1_T2_T3_T4_T5_mmT6_P12ihipStream_tbEUlT_E_NS1_11comp_targetILNS1_3genE5ELNS1_11target_archE942ELNS1_3gpuE9ELNS1_3repE0EEENS1_30default_config_static_selectorELNS0_4arch9wavefront6targetE0EEEvS10_.uses_flat_scratch, 0
	.set _ZN7rocprim17ROCPRIM_400000_NS6detail17trampoline_kernelINS0_14default_configENS1_21merge_config_selectorINS0_5tupleIJddEEENS0_10empty_typeEEEZNS1_10merge_implIS3_NS0_12zip_iteratorINS5_IJN6thrust23THRUST_200600_302600_NS6detail15normal_iteratorINSC_10device_ptrIKdEEEESI_EEEEESK_NSA_INS5_IJNSE_INSF_IdEEEESM_EEEEEPS7_SP_SP_NSC_11hip_rocprim7__merge17predicate_wrapperIddNSC_7greaterIdEEEEEE10hipError_tPvRmT0_T1_T2_T3_T4_T5_mmT6_P12ihipStream_tbEUlT_E_NS1_11comp_targetILNS1_3genE5ELNS1_11target_archE942ELNS1_3gpuE9ELNS1_3repE0EEENS1_30default_config_static_selectorELNS0_4arch9wavefront6targetE0EEEvS10_.has_dyn_sized_stack, 0
	.set _ZN7rocprim17ROCPRIM_400000_NS6detail17trampoline_kernelINS0_14default_configENS1_21merge_config_selectorINS0_5tupleIJddEEENS0_10empty_typeEEEZNS1_10merge_implIS3_NS0_12zip_iteratorINS5_IJN6thrust23THRUST_200600_302600_NS6detail15normal_iteratorINSC_10device_ptrIKdEEEESI_EEEEESK_NSA_INS5_IJNSE_INSF_IdEEEESM_EEEEEPS7_SP_SP_NSC_11hip_rocprim7__merge17predicate_wrapperIddNSC_7greaterIdEEEEEE10hipError_tPvRmT0_T1_T2_T3_T4_T5_mmT6_P12ihipStream_tbEUlT_E_NS1_11comp_targetILNS1_3genE5ELNS1_11target_archE942ELNS1_3gpuE9ELNS1_3repE0EEENS1_30default_config_static_selectorELNS0_4arch9wavefront6targetE0EEEvS10_.has_recursion, 0
	.set _ZN7rocprim17ROCPRIM_400000_NS6detail17trampoline_kernelINS0_14default_configENS1_21merge_config_selectorINS0_5tupleIJddEEENS0_10empty_typeEEEZNS1_10merge_implIS3_NS0_12zip_iteratorINS5_IJN6thrust23THRUST_200600_302600_NS6detail15normal_iteratorINSC_10device_ptrIKdEEEESI_EEEEESK_NSA_INS5_IJNSE_INSF_IdEEEESM_EEEEEPS7_SP_SP_NSC_11hip_rocprim7__merge17predicate_wrapperIddNSC_7greaterIdEEEEEE10hipError_tPvRmT0_T1_T2_T3_T4_T5_mmT6_P12ihipStream_tbEUlT_E_NS1_11comp_targetILNS1_3genE5ELNS1_11target_archE942ELNS1_3gpuE9ELNS1_3repE0EEENS1_30default_config_static_selectorELNS0_4arch9wavefront6targetE0EEEvS10_.has_indirect_call, 0
	.section	.AMDGPU.csdata,"",@progbits
; Kernel info:
; codeLenInByte = 0
; TotalNumSgprs: 0
; NumVgprs: 0
; ScratchSize: 0
; MemoryBound: 0
; FloatMode: 240
; IeeeMode: 1
; LDSByteSize: 0 bytes/workgroup (compile time only)
; SGPRBlocks: 0
; VGPRBlocks: 0
; NumSGPRsForWavesPerEU: 1
; NumVGPRsForWavesPerEU: 1
; NamedBarCnt: 0
; Occupancy: 16
; WaveLimiterHint : 0
; COMPUTE_PGM_RSRC2:SCRATCH_EN: 0
; COMPUTE_PGM_RSRC2:USER_SGPR: 2
; COMPUTE_PGM_RSRC2:TRAP_HANDLER: 0
; COMPUTE_PGM_RSRC2:TGID_X_EN: 1
; COMPUTE_PGM_RSRC2:TGID_Y_EN: 0
; COMPUTE_PGM_RSRC2:TGID_Z_EN: 0
; COMPUTE_PGM_RSRC2:TIDIG_COMP_CNT: 0
	.section	.text._ZN7rocprim17ROCPRIM_400000_NS6detail17trampoline_kernelINS0_14default_configENS1_21merge_config_selectorINS0_5tupleIJddEEENS0_10empty_typeEEEZNS1_10merge_implIS3_NS0_12zip_iteratorINS5_IJN6thrust23THRUST_200600_302600_NS6detail15normal_iteratorINSC_10device_ptrIKdEEEESI_EEEEESK_NSA_INS5_IJNSE_INSF_IdEEEESM_EEEEEPS7_SP_SP_NSC_11hip_rocprim7__merge17predicate_wrapperIddNSC_7greaterIdEEEEEE10hipError_tPvRmT0_T1_T2_T3_T4_T5_mmT6_P12ihipStream_tbEUlT_E_NS1_11comp_targetILNS1_3genE4ELNS1_11target_archE910ELNS1_3gpuE8ELNS1_3repE0EEENS1_30default_config_static_selectorELNS0_4arch9wavefront6targetE0EEEvS10_,"axG",@progbits,_ZN7rocprim17ROCPRIM_400000_NS6detail17trampoline_kernelINS0_14default_configENS1_21merge_config_selectorINS0_5tupleIJddEEENS0_10empty_typeEEEZNS1_10merge_implIS3_NS0_12zip_iteratorINS5_IJN6thrust23THRUST_200600_302600_NS6detail15normal_iteratorINSC_10device_ptrIKdEEEESI_EEEEESK_NSA_INS5_IJNSE_INSF_IdEEEESM_EEEEEPS7_SP_SP_NSC_11hip_rocprim7__merge17predicate_wrapperIddNSC_7greaterIdEEEEEE10hipError_tPvRmT0_T1_T2_T3_T4_T5_mmT6_P12ihipStream_tbEUlT_E_NS1_11comp_targetILNS1_3genE4ELNS1_11target_archE910ELNS1_3gpuE8ELNS1_3repE0EEENS1_30default_config_static_selectorELNS0_4arch9wavefront6targetE0EEEvS10_,comdat
	.protected	_ZN7rocprim17ROCPRIM_400000_NS6detail17trampoline_kernelINS0_14default_configENS1_21merge_config_selectorINS0_5tupleIJddEEENS0_10empty_typeEEEZNS1_10merge_implIS3_NS0_12zip_iteratorINS5_IJN6thrust23THRUST_200600_302600_NS6detail15normal_iteratorINSC_10device_ptrIKdEEEESI_EEEEESK_NSA_INS5_IJNSE_INSF_IdEEEESM_EEEEEPS7_SP_SP_NSC_11hip_rocprim7__merge17predicate_wrapperIddNSC_7greaterIdEEEEEE10hipError_tPvRmT0_T1_T2_T3_T4_T5_mmT6_P12ihipStream_tbEUlT_E_NS1_11comp_targetILNS1_3genE4ELNS1_11target_archE910ELNS1_3gpuE8ELNS1_3repE0EEENS1_30default_config_static_selectorELNS0_4arch9wavefront6targetE0EEEvS10_ ; -- Begin function _ZN7rocprim17ROCPRIM_400000_NS6detail17trampoline_kernelINS0_14default_configENS1_21merge_config_selectorINS0_5tupleIJddEEENS0_10empty_typeEEEZNS1_10merge_implIS3_NS0_12zip_iteratorINS5_IJN6thrust23THRUST_200600_302600_NS6detail15normal_iteratorINSC_10device_ptrIKdEEEESI_EEEEESK_NSA_INS5_IJNSE_INSF_IdEEEESM_EEEEEPS7_SP_SP_NSC_11hip_rocprim7__merge17predicate_wrapperIddNSC_7greaterIdEEEEEE10hipError_tPvRmT0_T1_T2_T3_T4_T5_mmT6_P12ihipStream_tbEUlT_E_NS1_11comp_targetILNS1_3genE4ELNS1_11target_archE910ELNS1_3gpuE8ELNS1_3repE0EEENS1_30default_config_static_selectorELNS0_4arch9wavefront6targetE0EEEvS10_
	.globl	_ZN7rocprim17ROCPRIM_400000_NS6detail17trampoline_kernelINS0_14default_configENS1_21merge_config_selectorINS0_5tupleIJddEEENS0_10empty_typeEEEZNS1_10merge_implIS3_NS0_12zip_iteratorINS5_IJN6thrust23THRUST_200600_302600_NS6detail15normal_iteratorINSC_10device_ptrIKdEEEESI_EEEEESK_NSA_INS5_IJNSE_INSF_IdEEEESM_EEEEEPS7_SP_SP_NSC_11hip_rocprim7__merge17predicate_wrapperIddNSC_7greaterIdEEEEEE10hipError_tPvRmT0_T1_T2_T3_T4_T5_mmT6_P12ihipStream_tbEUlT_E_NS1_11comp_targetILNS1_3genE4ELNS1_11target_archE910ELNS1_3gpuE8ELNS1_3repE0EEENS1_30default_config_static_selectorELNS0_4arch9wavefront6targetE0EEEvS10_
	.p2align	8
	.type	_ZN7rocprim17ROCPRIM_400000_NS6detail17trampoline_kernelINS0_14default_configENS1_21merge_config_selectorINS0_5tupleIJddEEENS0_10empty_typeEEEZNS1_10merge_implIS3_NS0_12zip_iteratorINS5_IJN6thrust23THRUST_200600_302600_NS6detail15normal_iteratorINSC_10device_ptrIKdEEEESI_EEEEESK_NSA_INS5_IJNSE_INSF_IdEEEESM_EEEEEPS7_SP_SP_NSC_11hip_rocprim7__merge17predicate_wrapperIddNSC_7greaterIdEEEEEE10hipError_tPvRmT0_T1_T2_T3_T4_T5_mmT6_P12ihipStream_tbEUlT_E_NS1_11comp_targetILNS1_3genE4ELNS1_11target_archE910ELNS1_3gpuE8ELNS1_3repE0EEENS1_30default_config_static_selectorELNS0_4arch9wavefront6targetE0EEEvS10_,@function
_ZN7rocprim17ROCPRIM_400000_NS6detail17trampoline_kernelINS0_14default_configENS1_21merge_config_selectorINS0_5tupleIJddEEENS0_10empty_typeEEEZNS1_10merge_implIS3_NS0_12zip_iteratorINS5_IJN6thrust23THRUST_200600_302600_NS6detail15normal_iteratorINSC_10device_ptrIKdEEEESI_EEEEESK_NSA_INS5_IJNSE_INSF_IdEEEESM_EEEEEPS7_SP_SP_NSC_11hip_rocprim7__merge17predicate_wrapperIddNSC_7greaterIdEEEEEE10hipError_tPvRmT0_T1_T2_T3_T4_T5_mmT6_P12ihipStream_tbEUlT_E_NS1_11comp_targetILNS1_3genE4ELNS1_11target_archE910ELNS1_3gpuE8ELNS1_3repE0EEENS1_30default_config_static_selectorELNS0_4arch9wavefront6targetE0EEEvS10_: ; @_ZN7rocprim17ROCPRIM_400000_NS6detail17trampoline_kernelINS0_14default_configENS1_21merge_config_selectorINS0_5tupleIJddEEENS0_10empty_typeEEEZNS1_10merge_implIS3_NS0_12zip_iteratorINS5_IJN6thrust23THRUST_200600_302600_NS6detail15normal_iteratorINSC_10device_ptrIKdEEEESI_EEEEESK_NSA_INS5_IJNSE_INSF_IdEEEESM_EEEEEPS7_SP_SP_NSC_11hip_rocprim7__merge17predicate_wrapperIddNSC_7greaterIdEEEEEE10hipError_tPvRmT0_T1_T2_T3_T4_T5_mmT6_P12ihipStream_tbEUlT_E_NS1_11comp_targetILNS1_3genE4ELNS1_11target_archE910ELNS1_3gpuE8ELNS1_3repE0EEENS1_30default_config_static_selectorELNS0_4arch9wavefront6targetE0EEEvS10_
; %bb.0:
	.section	.rodata,"a",@progbits
	.p2align	6, 0x0
	.amdhsa_kernel _ZN7rocprim17ROCPRIM_400000_NS6detail17trampoline_kernelINS0_14default_configENS1_21merge_config_selectorINS0_5tupleIJddEEENS0_10empty_typeEEEZNS1_10merge_implIS3_NS0_12zip_iteratorINS5_IJN6thrust23THRUST_200600_302600_NS6detail15normal_iteratorINSC_10device_ptrIKdEEEESI_EEEEESK_NSA_INS5_IJNSE_INSF_IdEEEESM_EEEEEPS7_SP_SP_NSC_11hip_rocprim7__merge17predicate_wrapperIddNSC_7greaterIdEEEEEE10hipError_tPvRmT0_T1_T2_T3_T4_T5_mmT6_P12ihipStream_tbEUlT_E_NS1_11comp_targetILNS1_3genE4ELNS1_11target_archE910ELNS1_3gpuE8ELNS1_3repE0EEENS1_30default_config_static_selectorELNS0_4arch9wavefront6targetE0EEEvS10_
		.amdhsa_group_segment_fixed_size 0
		.amdhsa_private_segment_fixed_size 0
		.amdhsa_kernarg_size 64
		.amdhsa_user_sgpr_count 2
		.amdhsa_user_sgpr_dispatch_ptr 0
		.amdhsa_user_sgpr_queue_ptr 0
		.amdhsa_user_sgpr_kernarg_segment_ptr 1
		.amdhsa_user_sgpr_dispatch_id 0
		.amdhsa_user_sgpr_kernarg_preload_length 0
		.amdhsa_user_sgpr_kernarg_preload_offset 0
		.amdhsa_user_sgpr_private_segment_size 0
		.amdhsa_wavefront_size32 1
		.amdhsa_uses_dynamic_stack 0
		.amdhsa_enable_private_segment 0
		.amdhsa_system_sgpr_workgroup_id_x 1
		.amdhsa_system_sgpr_workgroup_id_y 0
		.amdhsa_system_sgpr_workgroup_id_z 0
		.amdhsa_system_sgpr_workgroup_info 0
		.amdhsa_system_vgpr_workitem_id 0
		.amdhsa_next_free_vgpr 1
		.amdhsa_next_free_sgpr 1
		.amdhsa_named_barrier_count 0
		.amdhsa_reserve_vcc 0
		.amdhsa_float_round_mode_32 0
		.amdhsa_float_round_mode_16_64 0
		.amdhsa_float_denorm_mode_32 3
		.amdhsa_float_denorm_mode_16_64 3
		.amdhsa_fp16_overflow 0
		.amdhsa_memory_ordered 1
		.amdhsa_forward_progress 1
		.amdhsa_inst_pref_size 0
		.amdhsa_round_robin_scheduling 0
		.amdhsa_exception_fp_ieee_invalid_op 0
		.amdhsa_exception_fp_denorm_src 0
		.amdhsa_exception_fp_ieee_div_zero 0
		.amdhsa_exception_fp_ieee_overflow 0
		.amdhsa_exception_fp_ieee_underflow 0
		.amdhsa_exception_fp_ieee_inexact 0
		.amdhsa_exception_int_div_zero 0
	.end_amdhsa_kernel
	.section	.text._ZN7rocprim17ROCPRIM_400000_NS6detail17trampoline_kernelINS0_14default_configENS1_21merge_config_selectorINS0_5tupleIJddEEENS0_10empty_typeEEEZNS1_10merge_implIS3_NS0_12zip_iteratorINS5_IJN6thrust23THRUST_200600_302600_NS6detail15normal_iteratorINSC_10device_ptrIKdEEEESI_EEEEESK_NSA_INS5_IJNSE_INSF_IdEEEESM_EEEEEPS7_SP_SP_NSC_11hip_rocprim7__merge17predicate_wrapperIddNSC_7greaterIdEEEEEE10hipError_tPvRmT0_T1_T2_T3_T4_T5_mmT6_P12ihipStream_tbEUlT_E_NS1_11comp_targetILNS1_3genE4ELNS1_11target_archE910ELNS1_3gpuE8ELNS1_3repE0EEENS1_30default_config_static_selectorELNS0_4arch9wavefront6targetE0EEEvS10_,"axG",@progbits,_ZN7rocprim17ROCPRIM_400000_NS6detail17trampoline_kernelINS0_14default_configENS1_21merge_config_selectorINS0_5tupleIJddEEENS0_10empty_typeEEEZNS1_10merge_implIS3_NS0_12zip_iteratorINS5_IJN6thrust23THRUST_200600_302600_NS6detail15normal_iteratorINSC_10device_ptrIKdEEEESI_EEEEESK_NSA_INS5_IJNSE_INSF_IdEEEESM_EEEEEPS7_SP_SP_NSC_11hip_rocprim7__merge17predicate_wrapperIddNSC_7greaterIdEEEEEE10hipError_tPvRmT0_T1_T2_T3_T4_T5_mmT6_P12ihipStream_tbEUlT_E_NS1_11comp_targetILNS1_3genE4ELNS1_11target_archE910ELNS1_3gpuE8ELNS1_3repE0EEENS1_30default_config_static_selectorELNS0_4arch9wavefront6targetE0EEEvS10_,comdat
.Lfunc_end319:
	.size	_ZN7rocprim17ROCPRIM_400000_NS6detail17trampoline_kernelINS0_14default_configENS1_21merge_config_selectorINS0_5tupleIJddEEENS0_10empty_typeEEEZNS1_10merge_implIS3_NS0_12zip_iteratorINS5_IJN6thrust23THRUST_200600_302600_NS6detail15normal_iteratorINSC_10device_ptrIKdEEEESI_EEEEESK_NSA_INS5_IJNSE_INSF_IdEEEESM_EEEEEPS7_SP_SP_NSC_11hip_rocprim7__merge17predicate_wrapperIddNSC_7greaterIdEEEEEE10hipError_tPvRmT0_T1_T2_T3_T4_T5_mmT6_P12ihipStream_tbEUlT_E_NS1_11comp_targetILNS1_3genE4ELNS1_11target_archE910ELNS1_3gpuE8ELNS1_3repE0EEENS1_30default_config_static_selectorELNS0_4arch9wavefront6targetE0EEEvS10_, .Lfunc_end319-_ZN7rocprim17ROCPRIM_400000_NS6detail17trampoline_kernelINS0_14default_configENS1_21merge_config_selectorINS0_5tupleIJddEEENS0_10empty_typeEEEZNS1_10merge_implIS3_NS0_12zip_iteratorINS5_IJN6thrust23THRUST_200600_302600_NS6detail15normal_iteratorINSC_10device_ptrIKdEEEESI_EEEEESK_NSA_INS5_IJNSE_INSF_IdEEEESM_EEEEEPS7_SP_SP_NSC_11hip_rocprim7__merge17predicate_wrapperIddNSC_7greaterIdEEEEEE10hipError_tPvRmT0_T1_T2_T3_T4_T5_mmT6_P12ihipStream_tbEUlT_E_NS1_11comp_targetILNS1_3genE4ELNS1_11target_archE910ELNS1_3gpuE8ELNS1_3repE0EEENS1_30default_config_static_selectorELNS0_4arch9wavefront6targetE0EEEvS10_
                                        ; -- End function
	.set _ZN7rocprim17ROCPRIM_400000_NS6detail17trampoline_kernelINS0_14default_configENS1_21merge_config_selectorINS0_5tupleIJddEEENS0_10empty_typeEEEZNS1_10merge_implIS3_NS0_12zip_iteratorINS5_IJN6thrust23THRUST_200600_302600_NS6detail15normal_iteratorINSC_10device_ptrIKdEEEESI_EEEEESK_NSA_INS5_IJNSE_INSF_IdEEEESM_EEEEEPS7_SP_SP_NSC_11hip_rocprim7__merge17predicate_wrapperIddNSC_7greaterIdEEEEEE10hipError_tPvRmT0_T1_T2_T3_T4_T5_mmT6_P12ihipStream_tbEUlT_E_NS1_11comp_targetILNS1_3genE4ELNS1_11target_archE910ELNS1_3gpuE8ELNS1_3repE0EEENS1_30default_config_static_selectorELNS0_4arch9wavefront6targetE0EEEvS10_.num_vgpr, 0
	.set _ZN7rocprim17ROCPRIM_400000_NS6detail17trampoline_kernelINS0_14default_configENS1_21merge_config_selectorINS0_5tupleIJddEEENS0_10empty_typeEEEZNS1_10merge_implIS3_NS0_12zip_iteratorINS5_IJN6thrust23THRUST_200600_302600_NS6detail15normal_iteratorINSC_10device_ptrIKdEEEESI_EEEEESK_NSA_INS5_IJNSE_INSF_IdEEEESM_EEEEEPS7_SP_SP_NSC_11hip_rocprim7__merge17predicate_wrapperIddNSC_7greaterIdEEEEEE10hipError_tPvRmT0_T1_T2_T3_T4_T5_mmT6_P12ihipStream_tbEUlT_E_NS1_11comp_targetILNS1_3genE4ELNS1_11target_archE910ELNS1_3gpuE8ELNS1_3repE0EEENS1_30default_config_static_selectorELNS0_4arch9wavefront6targetE0EEEvS10_.num_agpr, 0
	.set _ZN7rocprim17ROCPRIM_400000_NS6detail17trampoline_kernelINS0_14default_configENS1_21merge_config_selectorINS0_5tupleIJddEEENS0_10empty_typeEEEZNS1_10merge_implIS3_NS0_12zip_iteratorINS5_IJN6thrust23THRUST_200600_302600_NS6detail15normal_iteratorINSC_10device_ptrIKdEEEESI_EEEEESK_NSA_INS5_IJNSE_INSF_IdEEEESM_EEEEEPS7_SP_SP_NSC_11hip_rocprim7__merge17predicate_wrapperIddNSC_7greaterIdEEEEEE10hipError_tPvRmT0_T1_T2_T3_T4_T5_mmT6_P12ihipStream_tbEUlT_E_NS1_11comp_targetILNS1_3genE4ELNS1_11target_archE910ELNS1_3gpuE8ELNS1_3repE0EEENS1_30default_config_static_selectorELNS0_4arch9wavefront6targetE0EEEvS10_.numbered_sgpr, 0
	.set _ZN7rocprim17ROCPRIM_400000_NS6detail17trampoline_kernelINS0_14default_configENS1_21merge_config_selectorINS0_5tupleIJddEEENS0_10empty_typeEEEZNS1_10merge_implIS3_NS0_12zip_iteratorINS5_IJN6thrust23THRUST_200600_302600_NS6detail15normal_iteratorINSC_10device_ptrIKdEEEESI_EEEEESK_NSA_INS5_IJNSE_INSF_IdEEEESM_EEEEEPS7_SP_SP_NSC_11hip_rocprim7__merge17predicate_wrapperIddNSC_7greaterIdEEEEEE10hipError_tPvRmT0_T1_T2_T3_T4_T5_mmT6_P12ihipStream_tbEUlT_E_NS1_11comp_targetILNS1_3genE4ELNS1_11target_archE910ELNS1_3gpuE8ELNS1_3repE0EEENS1_30default_config_static_selectorELNS0_4arch9wavefront6targetE0EEEvS10_.num_named_barrier, 0
	.set _ZN7rocprim17ROCPRIM_400000_NS6detail17trampoline_kernelINS0_14default_configENS1_21merge_config_selectorINS0_5tupleIJddEEENS0_10empty_typeEEEZNS1_10merge_implIS3_NS0_12zip_iteratorINS5_IJN6thrust23THRUST_200600_302600_NS6detail15normal_iteratorINSC_10device_ptrIKdEEEESI_EEEEESK_NSA_INS5_IJNSE_INSF_IdEEEESM_EEEEEPS7_SP_SP_NSC_11hip_rocprim7__merge17predicate_wrapperIddNSC_7greaterIdEEEEEE10hipError_tPvRmT0_T1_T2_T3_T4_T5_mmT6_P12ihipStream_tbEUlT_E_NS1_11comp_targetILNS1_3genE4ELNS1_11target_archE910ELNS1_3gpuE8ELNS1_3repE0EEENS1_30default_config_static_selectorELNS0_4arch9wavefront6targetE0EEEvS10_.private_seg_size, 0
	.set _ZN7rocprim17ROCPRIM_400000_NS6detail17trampoline_kernelINS0_14default_configENS1_21merge_config_selectorINS0_5tupleIJddEEENS0_10empty_typeEEEZNS1_10merge_implIS3_NS0_12zip_iteratorINS5_IJN6thrust23THRUST_200600_302600_NS6detail15normal_iteratorINSC_10device_ptrIKdEEEESI_EEEEESK_NSA_INS5_IJNSE_INSF_IdEEEESM_EEEEEPS7_SP_SP_NSC_11hip_rocprim7__merge17predicate_wrapperIddNSC_7greaterIdEEEEEE10hipError_tPvRmT0_T1_T2_T3_T4_T5_mmT6_P12ihipStream_tbEUlT_E_NS1_11comp_targetILNS1_3genE4ELNS1_11target_archE910ELNS1_3gpuE8ELNS1_3repE0EEENS1_30default_config_static_selectorELNS0_4arch9wavefront6targetE0EEEvS10_.uses_vcc, 0
	.set _ZN7rocprim17ROCPRIM_400000_NS6detail17trampoline_kernelINS0_14default_configENS1_21merge_config_selectorINS0_5tupleIJddEEENS0_10empty_typeEEEZNS1_10merge_implIS3_NS0_12zip_iteratorINS5_IJN6thrust23THRUST_200600_302600_NS6detail15normal_iteratorINSC_10device_ptrIKdEEEESI_EEEEESK_NSA_INS5_IJNSE_INSF_IdEEEESM_EEEEEPS7_SP_SP_NSC_11hip_rocprim7__merge17predicate_wrapperIddNSC_7greaterIdEEEEEE10hipError_tPvRmT0_T1_T2_T3_T4_T5_mmT6_P12ihipStream_tbEUlT_E_NS1_11comp_targetILNS1_3genE4ELNS1_11target_archE910ELNS1_3gpuE8ELNS1_3repE0EEENS1_30default_config_static_selectorELNS0_4arch9wavefront6targetE0EEEvS10_.uses_flat_scratch, 0
	.set _ZN7rocprim17ROCPRIM_400000_NS6detail17trampoline_kernelINS0_14default_configENS1_21merge_config_selectorINS0_5tupleIJddEEENS0_10empty_typeEEEZNS1_10merge_implIS3_NS0_12zip_iteratorINS5_IJN6thrust23THRUST_200600_302600_NS6detail15normal_iteratorINSC_10device_ptrIKdEEEESI_EEEEESK_NSA_INS5_IJNSE_INSF_IdEEEESM_EEEEEPS7_SP_SP_NSC_11hip_rocprim7__merge17predicate_wrapperIddNSC_7greaterIdEEEEEE10hipError_tPvRmT0_T1_T2_T3_T4_T5_mmT6_P12ihipStream_tbEUlT_E_NS1_11comp_targetILNS1_3genE4ELNS1_11target_archE910ELNS1_3gpuE8ELNS1_3repE0EEENS1_30default_config_static_selectorELNS0_4arch9wavefront6targetE0EEEvS10_.has_dyn_sized_stack, 0
	.set _ZN7rocprim17ROCPRIM_400000_NS6detail17trampoline_kernelINS0_14default_configENS1_21merge_config_selectorINS0_5tupleIJddEEENS0_10empty_typeEEEZNS1_10merge_implIS3_NS0_12zip_iteratorINS5_IJN6thrust23THRUST_200600_302600_NS6detail15normal_iteratorINSC_10device_ptrIKdEEEESI_EEEEESK_NSA_INS5_IJNSE_INSF_IdEEEESM_EEEEEPS7_SP_SP_NSC_11hip_rocprim7__merge17predicate_wrapperIddNSC_7greaterIdEEEEEE10hipError_tPvRmT0_T1_T2_T3_T4_T5_mmT6_P12ihipStream_tbEUlT_E_NS1_11comp_targetILNS1_3genE4ELNS1_11target_archE910ELNS1_3gpuE8ELNS1_3repE0EEENS1_30default_config_static_selectorELNS0_4arch9wavefront6targetE0EEEvS10_.has_recursion, 0
	.set _ZN7rocprim17ROCPRIM_400000_NS6detail17trampoline_kernelINS0_14default_configENS1_21merge_config_selectorINS0_5tupleIJddEEENS0_10empty_typeEEEZNS1_10merge_implIS3_NS0_12zip_iteratorINS5_IJN6thrust23THRUST_200600_302600_NS6detail15normal_iteratorINSC_10device_ptrIKdEEEESI_EEEEESK_NSA_INS5_IJNSE_INSF_IdEEEESM_EEEEEPS7_SP_SP_NSC_11hip_rocprim7__merge17predicate_wrapperIddNSC_7greaterIdEEEEEE10hipError_tPvRmT0_T1_T2_T3_T4_T5_mmT6_P12ihipStream_tbEUlT_E_NS1_11comp_targetILNS1_3genE4ELNS1_11target_archE910ELNS1_3gpuE8ELNS1_3repE0EEENS1_30default_config_static_selectorELNS0_4arch9wavefront6targetE0EEEvS10_.has_indirect_call, 0
	.section	.AMDGPU.csdata,"",@progbits
; Kernel info:
; codeLenInByte = 0
; TotalNumSgprs: 0
; NumVgprs: 0
; ScratchSize: 0
; MemoryBound: 0
; FloatMode: 240
; IeeeMode: 1
; LDSByteSize: 0 bytes/workgroup (compile time only)
; SGPRBlocks: 0
; VGPRBlocks: 0
; NumSGPRsForWavesPerEU: 1
; NumVGPRsForWavesPerEU: 1
; NamedBarCnt: 0
; Occupancy: 16
; WaveLimiterHint : 0
; COMPUTE_PGM_RSRC2:SCRATCH_EN: 0
; COMPUTE_PGM_RSRC2:USER_SGPR: 2
; COMPUTE_PGM_RSRC2:TRAP_HANDLER: 0
; COMPUTE_PGM_RSRC2:TGID_X_EN: 1
; COMPUTE_PGM_RSRC2:TGID_Y_EN: 0
; COMPUTE_PGM_RSRC2:TGID_Z_EN: 0
; COMPUTE_PGM_RSRC2:TIDIG_COMP_CNT: 0
	.section	.text._ZN7rocprim17ROCPRIM_400000_NS6detail17trampoline_kernelINS0_14default_configENS1_21merge_config_selectorINS0_5tupleIJddEEENS0_10empty_typeEEEZNS1_10merge_implIS3_NS0_12zip_iteratorINS5_IJN6thrust23THRUST_200600_302600_NS6detail15normal_iteratorINSC_10device_ptrIKdEEEESI_EEEEESK_NSA_INS5_IJNSE_INSF_IdEEEESM_EEEEEPS7_SP_SP_NSC_11hip_rocprim7__merge17predicate_wrapperIddNSC_7greaterIdEEEEEE10hipError_tPvRmT0_T1_T2_T3_T4_T5_mmT6_P12ihipStream_tbEUlT_E_NS1_11comp_targetILNS1_3genE3ELNS1_11target_archE908ELNS1_3gpuE7ELNS1_3repE0EEENS1_30default_config_static_selectorELNS0_4arch9wavefront6targetE0EEEvS10_,"axG",@progbits,_ZN7rocprim17ROCPRIM_400000_NS6detail17trampoline_kernelINS0_14default_configENS1_21merge_config_selectorINS0_5tupleIJddEEENS0_10empty_typeEEEZNS1_10merge_implIS3_NS0_12zip_iteratorINS5_IJN6thrust23THRUST_200600_302600_NS6detail15normal_iteratorINSC_10device_ptrIKdEEEESI_EEEEESK_NSA_INS5_IJNSE_INSF_IdEEEESM_EEEEEPS7_SP_SP_NSC_11hip_rocprim7__merge17predicate_wrapperIddNSC_7greaterIdEEEEEE10hipError_tPvRmT0_T1_T2_T3_T4_T5_mmT6_P12ihipStream_tbEUlT_E_NS1_11comp_targetILNS1_3genE3ELNS1_11target_archE908ELNS1_3gpuE7ELNS1_3repE0EEENS1_30default_config_static_selectorELNS0_4arch9wavefront6targetE0EEEvS10_,comdat
	.protected	_ZN7rocprim17ROCPRIM_400000_NS6detail17trampoline_kernelINS0_14default_configENS1_21merge_config_selectorINS0_5tupleIJddEEENS0_10empty_typeEEEZNS1_10merge_implIS3_NS0_12zip_iteratorINS5_IJN6thrust23THRUST_200600_302600_NS6detail15normal_iteratorINSC_10device_ptrIKdEEEESI_EEEEESK_NSA_INS5_IJNSE_INSF_IdEEEESM_EEEEEPS7_SP_SP_NSC_11hip_rocprim7__merge17predicate_wrapperIddNSC_7greaterIdEEEEEE10hipError_tPvRmT0_T1_T2_T3_T4_T5_mmT6_P12ihipStream_tbEUlT_E_NS1_11comp_targetILNS1_3genE3ELNS1_11target_archE908ELNS1_3gpuE7ELNS1_3repE0EEENS1_30default_config_static_selectorELNS0_4arch9wavefront6targetE0EEEvS10_ ; -- Begin function _ZN7rocprim17ROCPRIM_400000_NS6detail17trampoline_kernelINS0_14default_configENS1_21merge_config_selectorINS0_5tupleIJddEEENS0_10empty_typeEEEZNS1_10merge_implIS3_NS0_12zip_iteratorINS5_IJN6thrust23THRUST_200600_302600_NS6detail15normal_iteratorINSC_10device_ptrIKdEEEESI_EEEEESK_NSA_INS5_IJNSE_INSF_IdEEEESM_EEEEEPS7_SP_SP_NSC_11hip_rocprim7__merge17predicate_wrapperIddNSC_7greaterIdEEEEEE10hipError_tPvRmT0_T1_T2_T3_T4_T5_mmT6_P12ihipStream_tbEUlT_E_NS1_11comp_targetILNS1_3genE3ELNS1_11target_archE908ELNS1_3gpuE7ELNS1_3repE0EEENS1_30default_config_static_selectorELNS0_4arch9wavefront6targetE0EEEvS10_
	.globl	_ZN7rocprim17ROCPRIM_400000_NS6detail17trampoline_kernelINS0_14default_configENS1_21merge_config_selectorINS0_5tupleIJddEEENS0_10empty_typeEEEZNS1_10merge_implIS3_NS0_12zip_iteratorINS5_IJN6thrust23THRUST_200600_302600_NS6detail15normal_iteratorINSC_10device_ptrIKdEEEESI_EEEEESK_NSA_INS5_IJNSE_INSF_IdEEEESM_EEEEEPS7_SP_SP_NSC_11hip_rocprim7__merge17predicate_wrapperIddNSC_7greaterIdEEEEEE10hipError_tPvRmT0_T1_T2_T3_T4_T5_mmT6_P12ihipStream_tbEUlT_E_NS1_11comp_targetILNS1_3genE3ELNS1_11target_archE908ELNS1_3gpuE7ELNS1_3repE0EEENS1_30default_config_static_selectorELNS0_4arch9wavefront6targetE0EEEvS10_
	.p2align	8
	.type	_ZN7rocprim17ROCPRIM_400000_NS6detail17trampoline_kernelINS0_14default_configENS1_21merge_config_selectorINS0_5tupleIJddEEENS0_10empty_typeEEEZNS1_10merge_implIS3_NS0_12zip_iteratorINS5_IJN6thrust23THRUST_200600_302600_NS6detail15normal_iteratorINSC_10device_ptrIKdEEEESI_EEEEESK_NSA_INS5_IJNSE_INSF_IdEEEESM_EEEEEPS7_SP_SP_NSC_11hip_rocprim7__merge17predicate_wrapperIddNSC_7greaterIdEEEEEE10hipError_tPvRmT0_T1_T2_T3_T4_T5_mmT6_P12ihipStream_tbEUlT_E_NS1_11comp_targetILNS1_3genE3ELNS1_11target_archE908ELNS1_3gpuE7ELNS1_3repE0EEENS1_30default_config_static_selectorELNS0_4arch9wavefront6targetE0EEEvS10_,@function
_ZN7rocprim17ROCPRIM_400000_NS6detail17trampoline_kernelINS0_14default_configENS1_21merge_config_selectorINS0_5tupleIJddEEENS0_10empty_typeEEEZNS1_10merge_implIS3_NS0_12zip_iteratorINS5_IJN6thrust23THRUST_200600_302600_NS6detail15normal_iteratorINSC_10device_ptrIKdEEEESI_EEEEESK_NSA_INS5_IJNSE_INSF_IdEEEESM_EEEEEPS7_SP_SP_NSC_11hip_rocprim7__merge17predicate_wrapperIddNSC_7greaterIdEEEEEE10hipError_tPvRmT0_T1_T2_T3_T4_T5_mmT6_P12ihipStream_tbEUlT_E_NS1_11comp_targetILNS1_3genE3ELNS1_11target_archE908ELNS1_3gpuE7ELNS1_3repE0EEENS1_30default_config_static_selectorELNS0_4arch9wavefront6targetE0EEEvS10_: ; @_ZN7rocprim17ROCPRIM_400000_NS6detail17trampoline_kernelINS0_14default_configENS1_21merge_config_selectorINS0_5tupleIJddEEENS0_10empty_typeEEEZNS1_10merge_implIS3_NS0_12zip_iteratorINS5_IJN6thrust23THRUST_200600_302600_NS6detail15normal_iteratorINSC_10device_ptrIKdEEEESI_EEEEESK_NSA_INS5_IJNSE_INSF_IdEEEESM_EEEEEPS7_SP_SP_NSC_11hip_rocprim7__merge17predicate_wrapperIddNSC_7greaterIdEEEEEE10hipError_tPvRmT0_T1_T2_T3_T4_T5_mmT6_P12ihipStream_tbEUlT_E_NS1_11comp_targetILNS1_3genE3ELNS1_11target_archE908ELNS1_3gpuE7ELNS1_3repE0EEENS1_30default_config_static_selectorELNS0_4arch9wavefront6targetE0EEEvS10_
; %bb.0:
	.section	.rodata,"a",@progbits
	.p2align	6, 0x0
	.amdhsa_kernel _ZN7rocprim17ROCPRIM_400000_NS6detail17trampoline_kernelINS0_14default_configENS1_21merge_config_selectorINS0_5tupleIJddEEENS0_10empty_typeEEEZNS1_10merge_implIS3_NS0_12zip_iteratorINS5_IJN6thrust23THRUST_200600_302600_NS6detail15normal_iteratorINSC_10device_ptrIKdEEEESI_EEEEESK_NSA_INS5_IJNSE_INSF_IdEEEESM_EEEEEPS7_SP_SP_NSC_11hip_rocprim7__merge17predicate_wrapperIddNSC_7greaterIdEEEEEE10hipError_tPvRmT0_T1_T2_T3_T4_T5_mmT6_P12ihipStream_tbEUlT_E_NS1_11comp_targetILNS1_3genE3ELNS1_11target_archE908ELNS1_3gpuE7ELNS1_3repE0EEENS1_30default_config_static_selectorELNS0_4arch9wavefront6targetE0EEEvS10_
		.amdhsa_group_segment_fixed_size 0
		.amdhsa_private_segment_fixed_size 0
		.amdhsa_kernarg_size 64
		.amdhsa_user_sgpr_count 2
		.amdhsa_user_sgpr_dispatch_ptr 0
		.amdhsa_user_sgpr_queue_ptr 0
		.amdhsa_user_sgpr_kernarg_segment_ptr 1
		.amdhsa_user_sgpr_dispatch_id 0
		.amdhsa_user_sgpr_kernarg_preload_length 0
		.amdhsa_user_sgpr_kernarg_preload_offset 0
		.amdhsa_user_sgpr_private_segment_size 0
		.amdhsa_wavefront_size32 1
		.amdhsa_uses_dynamic_stack 0
		.amdhsa_enable_private_segment 0
		.amdhsa_system_sgpr_workgroup_id_x 1
		.amdhsa_system_sgpr_workgroup_id_y 0
		.amdhsa_system_sgpr_workgroup_id_z 0
		.amdhsa_system_sgpr_workgroup_info 0
		.amdhsa_system_vgpr_workitem_id 0
		.amdhsa_next_free_vgpr 1
		.amdhsa_next_free_sgpr 1
		.amdhsa_named_barrier_count 0
		.amdhsa_reserve_vcc 0
		.amdhsa_float_round_mode_32 0
		.amdhsa_float_round_mode_16_64 0
		.amdhsa_float_denorm_mode_32 3
		.amdhsa_float_denorm_mode_16_64 3
		.amdhsa_fp16_overflow 0
		.amdhsa_memory_ordered 1
		.amdhsa_forward_progress 1
		.amdhsa_inst_pref_size 0
		.amdhsa_round_robin_scheduling 0
		.amdhsa_exception_fp_ieee_invalid_op 0
		.amdhsa_exception_fp_denorm_src 0
		.amdhsa_exception_fp_ieee_div_zero 0
		.amdhsa_exception_fp_ieee_overflow 0
		.amdhsa_exception_fp_ieee_underflow 0
		.amdhsa_exception_fp_ieee_inexact 0
		.amdhsa_exception_int_div_zero 0
	.end_amdhsa_kernel
	.section	.text._ZN7rocprim17ROCPRIM_400000_NS6detail17trampoline_kernelINS0_14default_configENS1_21merge_config_selectorINS0_5tupleIJddEEENS0_10empty_typeEEEZNS1_10merge_implIS3_NS0_12zip_iteratorINS5_IJN6thrust23THRUST_200600_302600_NS6detail15normal_iteratorINSC_10device_ptrIKdEEEESI_EEEEESK_NSA_INS5_IJNSE_INSF_IdEEEESM_EEEEEPS7_SP_SP_NSC_11hip_rocprim7__merge17predicate_wrapperIddNSC_7greaterIdEEEEEE10hipError_tPvRmT0_T1_T2_T3_T4_T5_mmT6_P12ihipStream_tbEUlT_E_NS1_11comp_targetILNS1_3genE3ELNS1_11target_archE908ELNS1_3gpuE7ELNS1_3repE0EEENS1_30default_config_static_selectorELNS0_4arch9wavefront6targetE0EEEvS10_,"axG",@progbits,_ZN7rocprim17ROCPRIM_400000_NS6detail17trampoline_kernelINS0_14default_configENS1_21merge_config_selectorINS0_5tupleIJddEEENS0_10empty_typeEEEZNS1_10merge_implIS3_NS0_12zip_iteratorINS5_IJN6thrust23THRUST_200600_302600_NS6detail15normal_iteratorINSC_10device_ptrIKdEEEESI_EEEEESK_NSA_INS5_IJNSE_INSF_IdEEEESM_EEEEEPS7_SP_SP_NSC_11hip_rocprim7__merge17predicate_wrapperIddNSC_7greaterIdEEEEEE10hipError_tPvRmT0_T1_T2_T3_T4_T5_mmT6_P12ihipStream_tbEUlT_E_NS1_11comp_targetILNS1_3genE3ELNS1_11target_archE908ELNS1_3gpuE7ELNS1_3repE0EEENS1_30default_config_static_selectorELNS0_4arch9wavefront6targetE0EEEvS10_,comdat
.Lfunc_end320:
	.size	_ZN7rocprim17ROCPRIM_400000_NS6detail17trampoline_kernelINS0_14default_configENS1_21merge_config_selectorINS0_5tupleIJddEEENS0_10empty_typeEEEZNS1_10merge_implIS3_NS0_12zip_iteratorINS5_IJN6thrust23THRUST_200600_302600_NS6detail15normal_iteratorINSC_10device_ptrIKdEEEESI_EEEEESK_NSA_INS5_IJNSE_INSF_IdEEEESM_EEEEEPS7_SP_SP_NSC_11hip_rocprim7__merge17predicate_wrapperIddNSC_7greaterIdEEEEEE10hipError_tPvRmT0_T1_T2_T3_T4_T5_mmT6_P12ihipStream_tbEUlT_E_NS1_11comp_targetILNS1_3genE3ELNS1_11target_archE908ELNS1_3gpuE7ELNS1_3repE0EEENS1_30default_config_static_selectorELNS0_4arch9wavefront6targetE0EEEvS10_, .Lfunc_end320-_ZN7rocprim17ROCPRIM_400000_NS6detail17trampoline_kernelINS0_14default_configENS1_21merge_config_selectorINS0_5tupleIJddEEENS0_10empty_typeEEEZNS1_10merge_implIS3_NS0_12zip_iteratorINS5_IJN6thrust23THRUST_200600_302600_NS6detail15normal_iteratorINSC_10device_ptrIKdEEEESI_EEEEESK_NSA_INS5_IJNSE_INSF_IdEEEESM_EEEEEPS7_SP_SP_NSC_11hip_rocprim7__merge17predicate_wrapperIddNSC_7greaterIdEEEEEE10hipError_tPvRmT0_T1_T2_T3_T4_T5_mmT6_P12ihipStream_tbEUlT_E_NS1_11comp_targetILNS1_3genE3ELNS1_11target_archE908ELNS1_3gpuE7ELNS1_3repE0EEENS1_30default_config_static_selectorELNS0_4arch9wavefront6targetE0EEEvS10_
                                        ; -- End function
	.set _ZN7rocprim17ROCPRIM_400000_NS6detail17trampoline_kernelINS0_14default_configENS1_21merge_config_selectorINS0_5tupleIJddEEENS0_10empty_typeEEEZNS1_10merge_implIS3_NS0_12zip_iteratorINS5_IJN6thrust23THRUST_200600_302600_NS6detail15normal_iteratorINSC_10device_ptrIKdEEEESI_EEEEESK_NSA_INS5_IJNSE_INSF_IdEEEESM_EEEEEPS7_SP_SP_NSC_11hip_rocprim7__merge17predicate_wrapperIddNSC_7greaterIdEEEEEE10hipError_tPvRmT0_T1_T2_T3_T4_T5_mmT6_P12ihipStream_tbEUlT_E_NS1_11comp_targetILNS1_3genE3ELNS1_11target_archE908ELNS1_3gpuE7ELNS1_3repE0EEENS1_30default_config_static_selectorELNS0_4arch9wavefront6targetE0EEEvS10_.num_vgpr, 0
	.set _ZN7rocprim17ROCPRIM_400000_NS6detail17trampoline_kernelINS0_14default_configENS1_21merge_config_selectorINS0_5tupleIJddEEENS0_10empty_typeEEEZNS1_10merge_implIS3_NS0_12zip_iteratorINS5_IJN6thrust23THRUST_200600_302600_NS6detail15normal_iteratorINSC_10device_ptrIKdEEEESI_EEEEESK_NSA_INS5_IJNSE_INSF_IdEEEESM_EEEEEPS7_SP_SP_NSC_11hip_rocprim7__merge17predicate_wrapperIddNSC_7greaterIdEEEEEE10hipError_tPvRmT0_T1_T2_T3_T4_T5_mmT6_P12ihipStream_tbEUlT_E_NS1_11comp_targetILNS1_3genE3ELNS1_11target_archE908ELNS1_3gpuE7ELNS1_3repE0EEENS1_30default_config_static_selectorELNS0_4arch9wavefront6targetE0EEEvS10_.num_agpr, 0
	.set _ZN7rocprim17ROCPRIM_400000_NS6detail17trampoline_kernelINS0_14default_configENS1_21merge_config_selectorINS0_5tupleIJddEEENS0_10empty_typeEEEZNS1_10merge_implIS3_NS0_12zip_iteratorINS5_IJN6thrust23THRUST_200600_302600_NS6detail15normal_iteratorINSC_10device_ptrIKdEEEESI_EEEEESK_NSA_INS5_IJNSE_INSF_IdEEEESM_EEEEEPS7_SP_SP_NSC_11hip_rocprim7__merge17predicate_wrapperIddNSC_7greaterIdEEEEEE10hipError_tPvRmT0_T1_T2_T3_T4_T5_mmT6_P12ihipStream_tbEUlT_E_NS1_11comp_targetILNS1_3genE3ELNS1_11target_archE908ELNS1_3gpuE7ELNS1_3repE0EEENS1_30default_config_static_selectorELNS0_4arch9wavefront6targetE0EEEvS10_.numbered_sgpr, 0
	.set _ZN7rocprim17ROCPRIM_400000_NS6detail17trampoline_kernelINS0_14default_configENS1_21merge_config_selectorINS0_5tupleIJddEEENS0_10empty_typeEEEZNS1_10merge_implIS3_NS0_12zip_iteratorINS5_IJN6thrust23THRUST_200600_302600_NS6detail15normal_iteratorINSC_10device_ptrIKdEEEESI_EEEEESK_NSA_INS5_IJNSE_INSF_IdEEEESM_EEEEEPS7_SP_SP_NSC_11hip_rocprim7__merge17predicate_wrapperIddNSC_7greaterIdEEEEEE10hipError_tPvRmT0_T1_T2_T3_T4_T5_mmT6_P12ihipStream_tbEUlT_E_NS1_11comp_targetILNS1_3genE3ELNS1_11target_archE908ELNS1_3gpuE7ELNS1_3repE0EEENS1_30default_config_static_selectorELNS0_4arch9wavefront6targetE0EEEvS10_.num_named_barrier, 0
	.set _ZN7rocprim17ROCPRIM_400000_NS6detail17trampoline_kernelINS0_14default_configENS1_21merge_config_selectorINS0_5tupleIJddEEENS0_10empty_typeEEEZNS1_10merge_implIS3_NS0_12zip_iteratorINS5_IJN6thrust23THRUST_200600_302600_NS6detail15normal_iteratorINSC_10device_ptrIKdEEEESI_EEEEESK_NSA_INS5_IJNSE_INSF_IdEEEESM_EEEEEPS7_SP_SP_NSC_11hip_rocprim7__merge17predicate_wrapperIddNSC_7greaterIdEEEEEE10hipError_tPvRmT0_T1_T2_T3_T4_T5_mmT6_P12ihipStream_tbEUlT_E_NS1_11comp_targetILNS1_3genE3ELNS1_11target_archE908ELNS1_3gpuE7ELNS1_3repE0EEENS1_30default_config_static_selectorELNS0_4arch9wavefront6targetE0EEEvS10_.private_seg_size, 0
	.set _ZN7rocprim17ROCPRIM_400000_NS6detail17trampoline_kernelINS0_14default_configENS1_21merge_config_selectorINS0_5tupleIJddEEENS0_10empty_typeEEEZNS1_10merge_implIS3_NS0_12zip_iteratorINS5_IJN6thrust23THRUST_200600_302600_NS6detail15normal_iteratorINSC_10device_ptrIKdEEEESI_EEEEESK_NSA_INS5_IJNSE_INSF_IdEEEESM_EEEEEPS7_SP_SP_NSC_11hip_rocprim7__merge17predicate_wrapperIddNSC_7greaterIdEEEEEE10hipError_tPvRmT0_T1_T2_T3_T4_T5_mmT6_P12ihipStream_tbEUlT_E_NS1_11comp_targetILNS1_3genE3ELNS1_11target_archE908ELNS1_3gpuE7ELNS1_3repE0EEENS1_30default_config_static_selectorELNS0_4arch9wavefront6targetE0EEEvS10_.uses_vcc, 0
	.set _ZN7rocprim17ROCPRIM_400000_NS6detail17trampoline_kernelINS0_14default_configENS1_21merge_config_selectorINS0_5tupleIJddEEENS0_10empty_typeEEEZNS1_10merge_implIS3_NS0_12zip_iteratorINS5_IJN6thrust23THRUST_200600_302600_NS6detail15normal_iteratorINSC_10device_ptrIKdEEEESI_EEEEESK_NSA_INS5_IJNSE_INSF_IdEEEESM_EEEEEPS7_SP_SP_NSC_11hip_rocprim7__merge17predicate_wrapperIddNSC_7greaterIdEEEEEE10hipError_tPvRmT0_T1_T2_T3_T4_T5_mmT6_P12ihipStream_tbEUlT_E_NS1_11comp_targetILNS1_3genE3ELNS1_11target_archE908ELNS1_3gpuE7ELNS1_3repE0EEENS1_30default_config_static_selectorELNS0_4arch9wavefront6targetE0EEEvS10_.uses_flat_scratch, 0
	.set _ZN7rocprim17ROCPRIM_400000_NS6detail17trampoline_kernelINS0_14default_configENS1_21merge_config_selectorINS0_5tupleIJddEEENS0_10empty_typeEEEZNS1_10merge_implIS3_NS0_12zip_iteratorINS5_IJN6thrust23THRUST_200600_302600_NS6detail15normal_iteratorINSC_10device_ptrIKdEEEESI_EEEEESK_NSA_INS5_IJNSE_INSF_IdEEEESM_EEEEEPS7_SP_SP_NSC_11hip_rocprim7__merge17predicate_wrapperIddNSC_7greaterIdEEEEEE10hipError_tPvRmT0_T1_T2_T3_T4_T5_mmT6_P12ihipStream_tbEUlT_E_NS1_11comp_targetILNS1_3genE3ELNS1_11target_archE908ELNS1_3gpuE7ELNS1_3repE0EEENS1_30default_config_static_selectorELNS0_4arch9wavefront6targetE0EEEvS10_.has_dyn_sized_stack, 0
	.set _ZN7rocprim17ROCPRIM_400000_NS6detail17trampoline_kernelINS0_14default_configENS1_21merge_config_selectorINS0_5tupleIJddEEENS0_10empty_typeEEEZNS1_10merge_implIS3_NS0_12zip_iteratorINS5_IJN6thrust23THRUST_200600_302600_NS6detail15normal_iteratorINSC_10device_ptrIKdEEEESI_EEEEESK_NSA_INS5_IJNSE_INSF_IdEEEESM_EEEEEPS7_SP_SP_NSC_11hip_rocprim7__merge17predicate_wrapperIddNSC_7greaterIdEEEEEE10hipError_tPvRmT0_T1_T2_T3_T4_T5_mmT6_P12ihipStream_tbEUlT_E_NS1_11comp_targetILNS1_3genE3ELNS1_11target_archE908ELNS1_3gpuE7ELNS1_3repE0EEENS1_30default_config_static_selectorELNS0_4arch9wavefront6targetE0EEEvS10_.has_recursion, 0
	.set _ZN7rocprim17ROCPRIM_400000_NS6detail17trampoline_kernelINS0_14default_configENS1_21merge_config_selectorINS0_5tupleIJddEEENS0_10empty_typeEEEZNS1_10merge_implIS3_NS0_12zip_iteratorINS5_IJN6thrust23THRUST_200600_302600_NS6detail15normal_iteratorINSC_10device_ptrIKdEEEESI_EEEEESK_NSA_INS5_IJNSE_INSF_IdEEEESM_EEEEEPS7_SP_SP_NSC_11hip_rocprim7__merge17predicate_wrapperIddNSC_7greaterIdEEEEEE10hipError_tPvRmT0_T1_T2_T3_T4_T5_mmT6_P12ihipStream_tbEUlT_E_NS1_11comp_targetILNS1_3genE3ELNS1_11target_archE908ELNS1_3gpuE7ELNS1_3repE0EEENS1_30default_config_static_selectorELNS0_4arch9wavefront6targetE0EEEvS10_.has_indirect_call, 0
	.section	.AMDGPU.csdata,"",@progbits
; Kernel info:
; codeLenInByte = 0
; TotalNumSgprs: 0
; NumVgprs: 0
; ScratchSize: 0
; MemoryBound: 0
; FloatMode: 240
; IeeeMode: 1
; LDSByteSize: 0 bytes/workgroup (compile time only)
; SGPRBlocks: 0
; VGPRBlocks: 0
; NumSGPRsForWavesPerEU: 1
; NumVGPRsForWavesPerEU: 1
; NamedBarCnt: 0
; Occupancy: 16
; WaveLimiterHint : 0
; COMPUTE_PGM_RSRC2:SCRATCH_EN: 0
; COMPUTE_PGM_RSRC2:USER_SGPR: 2
; COMPUTE_PGM_RSRC2:TRAP_HANDLER: 0
; COMPUTE_PGM_RSRC2:TGID_X_EN: 1
; COMPUTE_PGM_RSRC2:TGID_Y_EN: 0
; COMPUTE_PGM_RSRC2:TGID_Z_EN: 0
; COMPUTE_PGM_RSRC2:TIDIG_COMP_CNT: 0
	.section	.text._ZN7rocprim17ROCPRIM_400000_NS6detail17trampoline_kernelINS0_14default_configENS1_21merge_config_selectorINS0_5tupleIJddEEENS0_10empty_typeEEEZNS1_10merge_implIS3_NS0_12zip_iteratorINS5_IJN6thrust23THRUST_200600_302600_NS6detail15normal_iteratorINSC_10device_ptrIKdEEEESI_EEEEESK_NSA_INS5_IJNSE_INSF_IdEEEESM_EEEEEPS7_SP_SP_NSC_11hip_rocprim7__merge17predicate_wrapperIddNSC_7greaterIdEEEEEE10hipError_tPvRmT0_T1_T2_T3_T4_T5_mmT6_P12ihipStream_tbEUlT_E_NS1_11comp_targetILNS1_3genE2ELNS1_11target_archE906ELNS1_3gpuE6ELNS1_3repE0EEENS1_30default_config_static_selectorELNS0_4arch9wavefront6targetE0EEEvS10_,"axG",@progbits,_ZN7rocprim17ROCPRIM_400000_NS6detail17trampoline_kernelINS0_14default_configENS1_21merge_config_selectorINS0_5tupleIJddEEENS0_10empty_typeEEEZNS1_10merge_implIS3_NS0_12zip_iteratorINS5_IJN6thrust23THRUST_200600_302600_NS6detail15normal_iteratorINSC_10device_ptrIKdEEEESI_EEEEESK_NSA_INS5_IJNSE_INSF_IdEEEESM_EEEEEPS7_SP_SP_NSC_11hip_rocprim7__merge17predicate_wrapperIddNSC_7greaterIdEEEEEE10hipError_tPvRmT0_T1_T2_T3_T4_T5_mmT6_P12ihipStream_tbEUlT_E_NS1_11comp_targetILNS1_3genE2ELNS1_11target_archE906ELNS1_3gpuE6ELNS1_3repE0EEENS1_30default_config_static_selectorELNS0_4arch9wavefront6targetE0EEEvS10_,comdat
	.protected	_ZN7rocprim17ROCPRIM_400000_NS6detail17trampoline_kernelINS0_14default_configENS1_21merge_config_selectorINS0_5tupleIJddEEENS0_10empty_typeEEEZNS1_10merge_implIS3_NS0_12zip_iteratorINS5_IJN6thrust23THRUST_200600_302600_NS6detail15normal_iteratorINSC_10device_ptrIKdEEEESI_EEEEESK_NSA_INS5_IJNSE_INSF_IdEEEESM_EEEEEPS7_SP_SP_NSC_11hip_rocprim7__merge17predicate_wrapperIddNSC_7greaterIdEEEEEE10hipError_tPvRmT0_T1_T2_T3_T4_T5_mmT6_P12ihipStream_tbEUlT_E_NS1_11comp_targetILNS1_3genE2ELNS1_11target_archE906ELNS1_3gpuE6ELNS1_3repE0EEENS1_30default_config_static_selectorELNS0_4arch9wavefront6targetE0EEEvS10_ ; -- Begin function _ZN7rocprim17ROCPRIM_400000_NS6detail17trampoline_kernelINS0_14default_configENS1_21merge_config_selectorINS0_5tupleIJddEEENS0_10empty_typeEEEZNS1_10merge_implIS3_NS0_12zip_iteratorINS5_IJN6thrust23THRUST_200600_302600_NS6detail15normal_iteratorINSC_10device_ptrIKdEEEESI_EEEEESK_NSA_INS5_IJNSE_INSF_IdEEEESM_EEEEEPS7_SP_SP_NSC_11hip_rocprim7__merge17predicate_wrapperIddNSC_7greaterIdEEEEEE10hipError_tPvRmT0_T1_T2_T3_T4_T5_mmT6_P12ihipStream_tbEUlT_E_NS1_11comp_targetILNS1_3genE2ELNS1_11target_archE906ELNS1_3gpuE6ELNS1_3repE0EEENS1_30default_config_static_selectorELNS0_4arch9wavefront6targetE0EEEvS10_
	.globl	_ZN7rocprim17ROCPRIM_400000_NS6detail17trampoline_kernelINS0_14default_configENS1_21merge_config_selectorINS0_5tupleIJddEEENS0_10empty_typeEEEZNS1_10merge_implIS3_NS0_12zip_iteratorINS5_IJN6thrust23THRUST_200600_302600_NS6detail15normal_iteratorINSC_10device_ptrIKdEEEESI_EEEEESK_NSA_INS5_IJNSE_INSF_IdEEEESM_EEEEEPS7_SP_SP_NSC_11hip_rocprim7__merge17predicate_wrapperIddNSC_7greaterIdEEEEEE10hipError_tPvRmT0_T1_T2_T3_T4_T5_mmT6_P12ihipStream_tbEUlT_E_NS1_11comp_targetILNS1_3genE2ELNS1_11target_archE906ELNS1_3gpuE6ELNS1_3repE0EEENS1_30default_config_static_selectorELNS0_4arch9wavefront6targetE0EEEvS10_
	.p2align	8
	.type	_ZN7rocprim17ROCPRIM_400000_NS6detail17trampoline_kernelINS0_14default_configENS1_21merge_config_selectorINS0_5tupleIJddEEENS0_10empty_typeEEEZNS1_10merge_implIS3_NS0_12zip_iteratorINS5_IJN6thrust23THRUST_200600_302600_NS6detail15normal_iteratorINSC_10device_ptrIKdEEEESI_EEEEESK_NSA_INS5_IJNSE_INSF_IdEEEESM_EEEEEPS7_SP_SP_NSC_11hip_rocprim7__merge17predicate_wrapperIddNSC_7greaterIdEEEEEE10hipError_tPvRmT0_T1_T2_T3_T4_T5_mmT6_P12ihipStream_tbEUlT_E_NS1_11comp_targetILNS1_3genE2ELNS1_11target_archE906ELNS1_3gpuE6ELNS1_3repE0EEENS1_30default_config_static_selectorELNS0_4arch9wavefront6targetE0EEEvS10_,@function
_ZN7rocprim17ROCPRIM_400000_NS6detail17trampoline_kernelINS0_14default_configENS1_21merge_config_selectorINS0_5tupleIJddEEENS0_10empty_typeEEEZNS1_10merge_implIS3_NS0_12zip_iteratorINS5_IJN6thrust23THRUST_200600_302600_NS6detail15normal_iteratorINSC_10device_ptrIKdEEEESI_EEEEESK_NSA_INS5_IJNSE_INSF_IdEEEESM_EEEEEPS7_SP_SP_NSC_11hip_rocprim7__merge17predicate_wrapperIddNSC_7greaterIdEEEEEE10hipError_tPvRmT0_T1_T2_T3_T4_T5_mmT6_P12ihipStream_tbEUlT_E_NS1_11comp_targetILNS1_3genE2ELNS1_11target_archE906ELNS1_3gpuE6ELNS1_3repE0EEENS1_30default_config_static_selectorELNS0_4arch9wavefront6targetE0EEEvS10_: ; @_ZN7rocprim17ROCPRIM_400000_NS6detail17trampoline_kernelINS0_14default_configENS1_21merge_config_selectorINS0_5tupleIJddEEENS0_10empty_typeEEEZNS1_10merge_implIS3_NS0_12zip_iteratorINS5_IJN6thrust23THRUST_200600_302600_NS6detail15normal_iteratorINSC_10device_ptrIKdEEEESI_EEEEESK_NSA_INS5_IJNSE_INSF_IdEEEESM_EEEEEPS7_SP_SP_NSC_11hip_rocprim7__merge17predicate_wrapperIddNSC_7greaterIdEEEEEE10hipError_tPvRmT0_T1_T2_T3_T4_T5_mmT6_P12ihipStream_tbEUlT_E_NS1_11comp_targetILNS1_3genE2ELNS1_11target_archE906ELNS1_3gpuE6ELNS1_3repE0EEENS1_30default_config_static_selectorELNS0_4arch9wavefront6targetE0EEEvS10_
; %bb.0:
	.section	.rodata,"a",@progbits
	.p2align	6, 0x0
	.amdhsa_kernel _ZN7rocprim17ROCPRIM_400000_NS6detail17trampoline_kernelINS0_14default_configENS1_21merge_config_selectorINS0_5tupleIJddEEENS0_10empty_typeEEEZNS1_10merge_implIS3_NS0_12zip_iteratorINS5_IJN6thrust23THRUST_200600_302600_NS6detail15normal_iteratorINSC_10device_ptrIKdEEEESI_EEEEESK_NSA_INS5_IJNSE_INSF_IdEEEESM_EEEEEPS7_SP_SP_NSC_11hip_rocprim7__merge17predicate_wrapperIddNSC_7greaterIdEEEEEE10hipError_tPvRmT0_T1_T2_T3_T4_T5_mmT6_P12ihipStream_tbEUlT_E_NS1_11comp_targetILNS1_3genE2ELNS1_11target_archE906ELNS1_3gpuE6ELNS1_3repE0EEENS1_30default_config_static_selectorELNS0_4arch9wavefront6targetE0EEEvS10_
		.amdhsa_group_segment_fixed_size 0
		.amdhsa_private_segment_fixed_size 0
		.amdhsa_kernarg_size 64
		.amdhsa_user_sgpr_count 2
		.amdhsa_user_sgpr_dispatch_ptr 0
		.amdhsa_user_sgpr_queue_ptr 0
		.amdhsa_user_sgpr_kernarg_segment_ptr 1
		.amdhsa_user_sgpr_dispatch_id 0
		.amdhsa_user_sgpr_kernarg_preload_length 0
		.amdhsa_user_sgpr_kernarg_preload_offset 0
		.amdhsa_user_sgpr_private_segment_size 0
		.amdhsa_wavefront_size32 1
		.amdhsa_uses_dynamic_stack 0
		.amdhsa_enable_private_segment 0
		.amdhsa_system_sgpr_workgroup_id_x 1
		.amdhsa_system_sgpr_workgroup_id_y 0
		.amdhsa_system_sgpr_workgroup_id_z 0
		.amdhsa_system_sgpr_workgroup_info 0
		.amdhsa_system_vgpr_workitem_id 0
		.amdhsa_next_free_vgpr 1
		.amdhsa_next_free_sgpr 1
		.amdhsa_named_barrier_count 0
		.amdhsa_reserve_vcc 0
		.amdhsa_float_round_mode_32 0
		.amdhsa_float_round_mode_16_64 0
		.amdhsa_float_denorm_mode_32 3
		.amdhsa_float_denorm_mode_16_64 3
		.amdhsa_fp16_overflow 0
		.amdhsa_memory_ordered 1
		.amdhsa_forward_progress 1
		.amdhsa_inst_pref_size 0
		.amdhsa_round_robin_scheduling 0
		.amdhsa_exception_fp_ieee_invalid_op 0
		.amdhsa_exception_fp_denorm_src 0
		.amdhsa_exception_fp_ieee_div_zero 0
		.amdhsa_exception_fp_ieee_overflow 0
		.amdhsa_exception_fp_ieee_underflow 0
		.amdhsa_exception_fp_ieee_inexact 0
		.amdhsa_exception_int_div_zero 0
	.end_amdhsa_kernel
	.section	.text._ZN7rocprim17ROCPRIM_400000_NS6detail17trampoline_kernelINS0_14default_configENS1_21merge_config_selectorINS0_5tupleIJddEEENS0_10empty_typeEEEZNS1_10merge_implIS3_NS0_12zip_iteratorINS5_IJN6thrust23THRUST_200600_302600_NS6detail15normal_iteratorINSC_10device_ptrIKdEEEESI_EEEEESK_NSA_INS5_IJNSE_INSF_IdEEEESM_EEEEEPS7_SP_SP_NSC_11hip_rocprim7__merge17predicate_wrapperIddNSC_7greaterIdEEEEEE10hipError_tPvRmT0_T1_T2_T3_T4_T5_mmT6_P12ihipStream_tbEUlT_E_NS1_11comp_targetILNS1_3genE2ELNS1_11target_archE906ELNS1_3gpuE6ELNS1_3repE0EEENS1_30default_config_static_selectorELNS0_4arch9wavefront6targetE0EEEvS10_,"axG",@progbits,_ZN7rocprim17ROCPRIM_400000_NS6detail17trampoline_kernelINS0_14default_configENS1_21merge_config_selectorINS0_5tupleIJddEEENS0_10empty_typeEEEZNS1_10merge_implIS3_NS0_12zip_iteratorINS5_IJN6thrust23THRUST_200600_302600_NS6detail15normal_iteratorINSC_10device_ptrIKdEEEESI_EEEEESK_NSA_INS5_IJNSE_INSF_IdEEEESM_EEEEEPS7_SP_SP_NSC_11hip_rocprim7__merge17predicate_wrapperIddNSC_7greaterIdEEEEEE10hipError_tPvRmT0_T1_T2_T3_T4_T5_mmT6_P12ihipStream_tbEUlT_E_NS1_11comp_targetILNS1_3genE2ELNS1_11target_archE906ELNS1_3gpuE6ELNS1_3repE0EEENS1_30default_config_static_selectorELNS0_4arch9wavefront6targetE0EEEvS10_,comdat
.Lfunc_end321:
	.size	_ZN7rocprim17ROCPRIM_400000_NS6detail17trampoline_kernelINS0_14default_configENS1_21merge_config_selectorINS0_5tupleIJddEEENS0_10empty_typeEEEZNS1_10merge_implIS3_NS0_12zip_iteratorINS5_IJN6thrust23THRUST_200600_302600_NS6detail15normal_iteratorINSC_10device_ptrIKdEEEESI_EEEEESK_NSA_INS5_IJNSE_INSF_IdEEEESM_EEEEEPS7_SP_SP_NSC_11hip_rocprim7__merge17predicate_wrapperIddNSC_7greaterIdEEEEEE10hipError_tPvRmT0_T1_T2_T3_T4_T5_mmT6_P12ihipStream_tbEUlT_E_NS1_11comp_targetILNS1_3genE2ELNS1_11target_archE906ELNS1_3gpuE6ELNS1_3repE0EEENS1_30default_config_static_selectorELNS0_4arch9wavefront6targetE0EEEvS10_, .Lfunc_end321-_ZN7rocprim17ROCPRIM_400000_NS6detail17trampoline_kernelINS0_14default_configENS1_21merge_config_selectorINS0_5tupleIJddEEENS0_10empty_typeEEEZNS1_10merge_implIS3_NS0_12zip_iteratorINS5_IJN6thrust23THRUST_200600_302600_NS6detail15normal_iteratorINSC_10device_ptrIKdEEEESI_EEEEESK_NSA_INS5_IJNSE_INSF_IdEEEESM_EEEEEPS7_SP_SP_NSC_11hip_rocprim7__merge17predicate_wrapperIddNSC_7greaterIdEEEEEE10hipError_tPvRmT0_T1_T2_T3_T4_T5_mmT6_P12ihipStream_tbEUlT_E_NS1_11comp_targetILNS1_3genE2ELNS1_11target_archE906ELNS1_3gpuE6ELNS1_3repE0EEENS1_30default_config_static_selectorELNS0_4arch9wavefront6targetE0EEEvS10_
                                        ; -- End function
	.set _ZN7rocprim17ROCPRIM_400000_NS6detail17trampoline_kernelINS0_14default_configENS1_21merge_config_selectorINS0_5tupleIJddEEENS0_10empty_typeEEEZNS1_10merge_implIS3_NS0_12zip_iteratorINS5_IJN6thrust23THRUST_200600_302600_NS6detail15normal_iteratorINSC_10device_ptrIKdEEEESI_EEEEESK_NSA_INS5_IJNSE_INSF_IdEEEESM_EEEEEPS7_SP_SP_NSC_11hip_rocprim7__merge17predicate_wrapperIddNSC_7greaterIdEEEEEE10hipError_tPvRmT0_T1_T2_T3_T4_T5_mmT6_P12ihipStream_tbEUlT_E_NS1_11comp_targetILNS1_3genE2ELNS1_11target_archE906ELNS1_3gpuE6ELNS1_3repE0EEENS1_30default_config_static_selectorELNS0_4arch9wavefront6targetE0EEEvS10_.num_vgpr, 0
	.set _ZN7rocprim17ROCPRIM_400000_NS6detail17trampoline_kernelINS0_14default_configENS1_21merge_config_selectorINS0_5tupleIJddEEENS0_10empty_typeEEEZNS1_10merge_implIS3_NS0_12zip_iteratorINS5_IJN6thrust23THRUST_200600_302600_NS6detail15normal_iteratorINSC_10device_ptrIKdEEEESI_EEEEESK_NSA_INS5_IJNSE_INSF_IdEEEESM_EEEEEPS7_SP_SP_NSC_11hip_rocprim7__merge17predicate_wrapperIddNSC_7greaterIdEEEEEE10hipError_tPvRmT0_T1_T2_T3_T4_T5_mmT6_P12ihipStream_tbEUlT_E_NS1_11comp_targetILNS1_3genE2ELNS1_11target_archE906ELNS1_3gpuE6ELNS1_3repE0EEENS1_30default_config_static_selectorELNS0_4arch9wavefront6targetE0EEEvS10_.num_agpr, 0
	.set _ZN7rocprim17ROCPRIM_400000_NS6detail17trampoline_kernelINS0_14default_configENS1_21merge_config_selectorINS0_5tupleIJddEEENS0_10empty_typeEEEZNS1_10merge_implIS3_NS0_12zip_iteratorINS5_IJN6thrust23THRUST_200600_302600_NS6detail15normal_iteratorINSC_10device_ptrIKdEEEESI_EEEEESK_NSA_INS5_IJNSE_INSF_IdEEEESM_EEEEEPS7_SP_SP_NSC_11hip_rocprim7__merge17predicate_wrapperIddNSC_7greaterIdEEEEEE10hipError_tPvRmT0_T1_T2_T3_T4_T5_mmT6_P12ihipStream_tbEUlT_E_NS1_11comp_targetILNS1_3genE2ELNS1_11target_archE906ELNS1_3gpuE6ELNS1_3repE0EEENS1_30default_config_static_selectorELNS0_4arch9wavefront6targetE0EEEvS10_.numbered_sgpr, 0
	.set _ZN7rocprim17ROCPRIM_400000_NS6detail17trampoline_kernelINS0_14default_configENS1_21merge_config_selectorINS0_5tupleIJddEEENS0_10empty_typeEEEZNS1_10merge_implIS3_NS0_12zip_iteratorINS5_IJN6thrust23THRUST_200600_302600_NS6detail15normal_iteratorINSC_10device_ptrIKdEEEESI_EEEEESK_NSA_INS5_IJNSE_INSF_IdEEEESM_EEEEEPS7_SP_SP_NSC_11hip_rocprim7__merge17predicate_wrapperIddNSC_7greaterIdEEEEEE10hipError_tPvRmT0_T1_T2_T3_T4_T5_mmT6_P12ihipStream_tbEUlT_E_NS1_11comp_targetILNS1_3genE2ELNS1_11target_archE906ELNS1_3gpuE6ELNS1_3repE0EEENS1_30default_config_static_selectorELNS0_4arch9wavefront6targetE0EEEvS10_.num_named_barrier, 0
	.set _ZN7rocprim17ROCPRIM_400000_NS6detail17trampoline_kernelINS0_14default_configENS1_21merge_config_selectorINS0_5tupleIJddEEENS0_10empty_typeEEEZNS1_10merge_implIS3_NS0_12zip_iteratorINS5_IJN6thrust23THRUST_200600_302600_NS6detail15normal_iteratorINSC_10device_ptrIKdEEEESI_EEEEESK_NSA_INS5_IJNSE_INSF_IdEEEESM_EEEEEPS7_SP_SP_NSC_11hip_rocprim7__merge17predicate_wrapperIddNSC_7greaterIdEEEEEE10hipError_tPvRmT0_T1_T2_T3_T4_T5_mmT6_P12ihipStream_tbEUlT_E_NS1_11comp_targetILNS1_3genE2ELNS1_11target_archE906ELNS1_3gpuE6ELNS1_3repE0EEENS1_30default_config_static_selectorELNS0_4arch9wavefront6targetE0EEEvS10_.private_seg_size, 0
	.set _ZN7rocprim17ROCPRIM_400000_NS6detail17trampoline_kernelINS0_14default_configENS1_21merge_config_selectorINS0_5tupleIJddEEENS0_10empty_typeEEEZNS1_10merge_implIS3_NS0_12zip_iteratorINS5_IJN6thrust23THRUST_200600_302600_NS6detail15normal_iteratorINSC_10device_ptrIKdEEEESI_EEEEESK_NSA_INS5_IJNSE_INSF_IdEEEESM_EEEEEPS7_SP_SP_NSC_11hip_rocprim7__merge17predicate_wrapperIddNSC_7greaterIdEEEEEE10hipError_tPvRmT0_T1_T2_T3_T4_T5_mmT6_P12ihipStream_tbEUlT_E_NS1_11comp_targetILNS1_3genE2ELNS1_11target_archE906ELNS1_3gpuE6ELNS1_3repE0EEENS1_30default_config_static_selectorELNS0_4arch9wavefront6targetE0EEEvS10_.uses_vcc, 0
	.set _ZN7rocprim17ROCPRIM_400000_NS6detail17trampoline_kernelINS0_14default_configENS1_21merge_config_selectorINS0_5tupleIJddEEENS0_10empty_typeEEEZNS1_10merge_implIS3_NS0_12zip_iteratorINS5_IJN6thrust23THRUST_200600_302600_NS6detail15normal_iteratorINSC_10device_ptrIKdEEEESI_EEEEESK_NSA_INS5_IJNSE_INSF_IdEEEESM_EEEEEPS7_SP_SP_NSC_11hip_rocprim7__merge17predicate_wrapperIddNSC_7greaterIdEEEEEE10hipError_tPvRmT0_T1_T2_T3_T4_T5_mmT6_P12ihipStream_tbEUlT_E_NS1_11comp_targetILNS1_3genE2ELNS1_11target_archE906ELNS1_3gpuE6ELNS1_3repE0EEENS1_30default_config_static_selectorELNS0_4arch9wavefront6targetE0EEEvS10_.uses_flat_scratch, 0
	.set _ZN7rocprim17ROCPRIM_400000_NS6detail17trampoline_kernelINS0_14default_configENS1_21merge_config_selectorINS0_5tupleIJddEEENS0_10empty_typeEEEZNS1_10merge_implIS3_NS0_12zip_iteratorINS5_IJN6thrust23THRUST_200600_302600_NS6detail15normal_iteratorINSC_10device_ptrIKdEEEESI_EEEEESK_NSA_INS5_IJNSE_INSF_IdEEEESM_EEEEEPS7_SP_SP_NSC_11hip_rocprim7__merge17predicate_wrapperIddNSC_7greaterIdEEEEEE10hipError_tPvRmT0_T1_T2_T3_T4_T5_mmT6_P12ihipStream_tbEUlT_E_NS1_11comp_targetILNS1_3genE2ELNS1_11target_archE906ELNS1_3gpuE6ELNS1_3repE0EEENS1_30default_config_static_selectorELNS0_4arch9wavefront6targetE0EEEvS10_.has_dyn_sized_stack, 0
	.set _ZN7rocprim17ROCPRIM_400000_NS6detail17trampoline_kernelINS0_14default_configENS1_21merge_config_selectorINS0_5tupleIJddEEENS0_10empty_typeEEEZNS1_10merge_implIS3_NS0_12zip_iteratorINS5_IJN6thrust23THRUST_200600_302600_NS6detail15normal_iteratorINSC_10device_ptrIKdEEEESI_EEEEESK_NSA_INS5_IJNSE_INSF_IdEEEESM_EEEEEPS7_SP_SP_NSC_11hip_rocprim7__merge17predicate_wrapperIddNSC_7greaterIdEEEEEE10hipError_tPvRmT0_T1_T2_T3_T4_T5_mmT6_P12ihipStream_tbEUlT_E_NS1_11comp_targetILNS1_3genE2ELNS1_11target_archE906ELNS1_3gpuE6ELNS1_3repE0EEENS1_30default_config_static_selectorELNS0_4arch9wavefront6targetE0EEEvS10_.has_recursion, 0
	.set _ZN7rocprim17ROCPRIM_400000_NS6detail17trampoline_kernelINS0_14default_configENS1_21merge_config_selectorINS0_5tupleIJddEEENS0_10empty_typeEEEZNS1_10merge_implIS3_NS0_12zip_iteratorINS5_IJN6thrust23THRUST_200600_302600_NS6detail15normal_iteratorINSC_10device_ptrIKdEEEESI_EEEEESK_NSA_INS5_IJNSE_INSF_IdEEEESM_EEEEEPS7_SP_SP_NSC_11hip_rocprim7__merge17predicate_wrapperIddNSC_7greaterIdEEEEEE10hipError_tPvRmT0_T1_T2_T3_T4_T5_mmT6_P12ihipStream_tbEUlT_E_NS1_11comp_targetILNS1_3genE2ELNS1_11target_archE906ELNS1_3gpuE6ELNS1_3repE0EEENS1_30default_config_static_selectorELNS0_4arch9wavefront6targetE0EEEvS10_.has_indirect_call, 0
	.section	.AMDGPU.csdata,"",@progbits
; Kernel info:
; codeLenInByte = 0
; TotalNumSgprs: 0
; NumVgprs: 0
; ScratchSize: 0
; MemoryBound: 0
; FloatMode: 240
; IeeeMode: 1
; LDSByteSize: 0 bytes/workgroup (compile time only)
; SGPRBlocks: 0
; VGPRBlocks: 0
; NumSGPRsForWavesPerEU: 1
; NumVGPRsForWavesPerEU: 1
; NamedBarCnt: 0
; Occupancy: 16
; WaveLimiterHint : 0
; COMPUTE_PGM_RSRC2:SCRATCH_EN: 0
; COMPUTE_PGM_RSRC2:USER_SGPR: 2
; COMPUTE_PGM_RSRC2:TRAP_HANDLER: 0
; COMPUTE_PGM_RSRC2:TGID_X_EN: 1
; COMPUTE_PGM_RSRC2:TGID_Y_EN: 0
; COMPUTE_PGM_RSRC2:TGID_Z_EN: 0
; COMPUTE_PGM_RSRC2:TIDIG_COMP_CNT: 0
	.section	.text._ZN7rocprim17ROCPRIM_400000_NS6detail17trampoline_kernelINS0_14default_configENS1_21merge_config_selectorINS0_5tupleIJddEEENS0_10empty_typeEEEZNS1_10merge_implIS3_NS0_12zip_iteratorINS5_IJN6thrust23THRUST_200600_302600_NS6detail15normal_iteratorINSC_10device_ptrIKdEEEESI_EEEEESK_NSA_INS5_IJNSE_INSF_IdEEEESM_EEEEEPS7_SP_SP_NSC_11hip_rocprim7__merge17predicate_wrapperIddNSC_7greaterIdEEEEEE10hipError_tPvRmT0_T1_T2_T3_T4_T5_mmT6_P12ihipStream_tbEUlT_E_NS1_11comp_targetILNS1_3genE10ELNS1_11target_archE1201ELNS1_3gpuE5ELNS1_3repE0EEENS1_30default_config_static_selectorELNS0_4arch9wavefront6targetE0EEEvS10_,"axG",@progbits,_ZN7rocprim17ROCPRIM_400000_NS6detail17trampoline_kernelINS0_14default_configENS1_21merge_config_selectorINS0_5tupleIJddEEENS0_10empty_typeEEEZNS1_10merge_implIS3_NS0_12zip_iteratorINS5_IJN6thrust23THRUST_200600_302600_NS6detail15normal_iteratorINSC_10device_ptrIKdEEEESI_EEEEESK_NSA_INS5_IJNSE_INSF_IdEEEESM_EEEEEPS7_SP_SP_NSC_11hip_rocprim7__merge17predicate_wrapperIddNSC_7greaterIdEEEEEE10hipError_tPvRmT0_T1_T2_T3_T4_T5_mmT6_P12ihipStream_tbEUlT_E_NS1_11comp_targetILNS1_3genE10ELNS1_11target_archE1201ELNS1_3gpuE5ELNS1_3repE0EEENS1_30default_config_static_selectorELNS0_4arch9wavefront6targetE0EEEvS10_,comdat
	.protected	_ZN7rocprim17ROCPRIM_400000_NS6detail17trampoline_kernelINS0_14default_configENS1_21merge_config_selectorINS0_5tupleIJddEEENS0_10empty_typeEEEZNS1_10merge_implIS3_NS0_12zip_iteratorINS5_IJN6thrust23THRUST_200600_302600_NS6detail15normal_iteratorINSC_10device_ptrIKdEEEESI_EEEEESK_NSA_INS5_IJNSE_INSF_IdEEEESM_EEEEEPS7_SP_SP_NSC_11hip_rocprim7__merge17predicate_wrapperIddNSC_7greaterIdEEEEEE10hipError_tPvRmT0_T1_T2_T3_T4_T5_mmT6_P12ihipStream_tbEUlT_E_NS1_11comp_targetILNS1_3genE10ELNS1_11target_archE1201ELNS1_3gpuE5ELNS1_3repE0EEENS1_30default_config_static_selectorELNS0_4arch9wavefront6targetE0EEEvS10_ ; -- Begin function _ZN7rocprim17ROCPRIM_400000_NS6detail17trampoline_kernelINS0_14default_configENS1_21merge_config_selectorINS0_5tupleIJddEEENS0_10empty_typeEEEZNS1_10merge_implIS3_NS0_12zip_iteratorINS5_IJN6thrust23THRUST_200600_302600_NS6detail15normal_iteratorINSC_10device_ptrIKdEEEESI_EEEEESK_NSA_INS5_IJNSE_INSF_IdEEEESM_EEEEEPS7_SP_SP_NSC_11hip_rocprim7__merge17predicate_wrapperIddNSC_7greaterIdEEEEEE10hipError_tPvRmT0_T1_T2_T3_T4_T5_mmT6_P12ihipStream_tbEUlT_E_NS1_11comp_targetILNS1_3genE10ELNS1_11target_archE1201ELNS1_3gpuE5ELNS1_3repE0EEENS1_30default_config_static_selectorELNS0_4arch9wavefront6targetE0EEEvS10_
	.globl	_ZN7rocprim17ROCPRIM_400000_NS6detail17trampoline_kernelINS0_14default_configENS1_21merge_config_selectorINS0_5tupleIJddEEENS0_10empty_typeEEEZNS1_10merge_implIS3_NS0_12zip_iteratorINS5_IJN6thrust23THRUST_200600_302600_NS6detail15normal_iteratorINSC_10device_ptrIKdEEEESI_EEEEESK_NSA_INS5_IJNSE_INSF_IdEEEESM_EEEEEPS7_SP_SP_NSC_11hip_rocprim7__merge17predicate_wrapperIddNSC_7greaterIdEEEEEE10hipError_tPvRmT0_T1_T2_T3_T4_T5_mmT6_P12ihipStream_tbEUlT_E_NS1_11comp_targetILNS1_3genE10ELNS1_11target_archE1201ELNS1_3gpuE5ELNS1_3repE0EEENS1_30default_config_static_selectorELNS0_4arch9wavefront6targetE0EEEvS10_
	.p2align	8
	.type	_ZN7rocprim17ROCPRIM_400000_NS6detail17trampoline_kernelINS0_14default_configENS1_21merge_config_selectorINS0_5tupleIJddEEENS0_10empty_typeEEEZNS1_10merge_implIS3_NS0_12zip_iteratorINS5_IJN6thrust23THRUST_200600_302600_NS6detail15normal_iteratorINSC_10device_ptrIKdEEEESI_EEEEESK_NSA_INS5_IJNSE_INSF_IdEEEESM_EEEEEPS7_SP_SP_NSC_11hip_rocprim7__merge17predicate_wrapperIddNSC_7greaterIdEEEEEE10hipError_tPvRmT0_T1_T2_T3_T4_T5_mmT6_P12ihipStream_tbEUlT_E_NS1_11comp_targetILNS1_3genE10ELNS1_11target_archE1201ELNS1_3gpuE5ELNS1_3repE0EEENS1_30default_config_static_selectorELNS0_4arch9wavefront6targetE0EEEvS10_,@function
_ZN7rocprim17ROCPRIM_400000_NS6detail17trampoline_kernelINS0_14default_configENS1_21merge_config_selectorINS0_5tupleIJddEEENS0_10empty_typeEEEZNS1_10merge_implIS3_NS0_12zip_iteratorINS5_IJN6thrust23THRUST_200600_302600_NS6detail15normal_iteratorINSC_10device_ptrIKdEEEESI_EEEEESK_NSA_INS5_IJNSE_INSF_IdEEEESM_EEEEEPS7_SP_SP_NSC_11hip_rocprim7__merge17predicate_wrapperIddNSC_7greaterIdEEEEEE10hipError_tPvRmT0_T1_T2_T3_T4_T5_mmT6_P12ihipStream_tbEUlT_E_NS1_11comp_targetILNS1_3genE10ELNS1_11target_archE1201ELNS1_3gpuE5ELNS1_3repE0EEENS1_30default_config_static_selectorELNS0_4arch9wavefront6targetE0EEEvS10_: ; @_ZN7rocprim17ROCPRIM_400000_NS6detail17trampoline_kernelINS0_14default_configENS1_21merge_config_selectorINS0_5tupleIJddEEENS0_10empty_typeEEEZNS1_10merge_implIS3_NS0_12zip_iteratorINS5_IJN6thrust23THRUST_200600_302600_NS6detail15normal_iteratorINSC_10device_ptrIKdEEEESI_EEEEESK_NSA_INS5_IJNSE_INSF_IdEEEESM_EEEEEPS7_SP_SP_NSC_11hip_rocprim7__merge17predicate_wrapperIddNSC_7greaterIdEEEEEE10hipError_tPvRmT0_T1_T2_T3_T4_T5_mmT6_P12ihipStream_tbEUlT_E_NS1_11comp_targetILNS1_3genE10ELNS1_11target_archE1201ELNS1_3gpuE5ELNS1_3repE0EEENS1_30default_config_static_selectorELNS0_4arch9wavefront6targetE0EEEvS10_
; %bb.0:
	.section	.rodata,"a",@progbits
	.p2align	6, 0x0
	.amdhsa_kernel _ZN7rocprim17ROCPRIM_400000_NS6detail17trampoline_kernelINS0_14default_configENS1_21merge_config_selectorINS0_5tupleIJddEEENS0_10empty_typeEEEZNS1_10merge_implIS3_NS0_12zip_iteratorINS5_IJN6thrust23THRUST_200600_302600_NS6detail15normal_iteratorINSC_10device_ptrIKdEEEESI_EEEEESK_NSA_INS5_IJNSE_INSF_IdEEEESM_EEEEEPS7_SP_SP_NSC_11hip_rocprim7__merge17predicate_wrapperIddNSC_7greaterIdEEEEEE10hipError_tPvRmT0_T1_T2_T3_T4_T5_mmT6_P12ihipStream_tbEUlT_E_NS1_11comp_targetILNS1_3genE10ELNS1_11target_archE1201ELNS1_3gpuE5ELNS1_3repE0EEENS1_30default_config_static_selectorELNS0_4arch9wavefront6targetE0EEEvS10_
		.amdhsa_group_segment_fixed_size 0
		.amdhsa_private_segment_fixed_size 0
		.amdhsa_kernarg_size 64
		.amdhsa_user_sgpr_count 2
		.amdhsa_user_sgpr_dispatch_ptr 0
		.amdhsa_user_sgpr_queue_ptr 0
		.amdhsa_user_sgpr_kernarg_segment_ptr 1
		.amdhsa_user_sgpr_dispatch_id 0
		.amdhsa_user_sgpr_kernarg_preload_length 0
		.amdhsa_user_sgpr_kernarg_preload_offset 0
		.amdhsa_user_sgpr_private_segment_size 0
		.amdhsa_wavefront_size32 1
		.amdhsa_uses_dynamic_stack 0
		.amdhsa_enable_private_segment 0
		.amdhsa_system_sgpr_workgroup_id_x 1
		.amdhsa_system_sgpr_workgroup_id_y 0
		.amdhsa_system_sgpr_workgroup_id_z 0
		.amdhsa_system_sgpr_workgroup_info 0
		.amdhsa_system_vgpr_workitem_id 0
		.amdhsa_next_free_vgpr 1
		.amdhsa_next_free_sgpr 1
		.amdhsa_named_barrier_count 0
		.amdhsa_reserve_vcc 0
		.amdhsa_float_round_mode_32 0
		.amdhsa_float_round_mode_16_64 0
		.amdhsa_float_denorm_mode_32 3
		.amdhsa_float_denorm_mode_16_64 3
		.amdhsa_fp16_overflow 0
		.amdhsa_memory_ordered 1
		.amdhsa_forward_progress 1
		.amdhsa_inst_pref_size 0
		.amdhsa_round_robin_scheduling 0
		.amdhsa_exception_fp_ieee_invalid_op 0
		.amdhsa_exception_fp_denorm_src 0
		.amdhsa_exception_fp_ieee_div_zero 0
		.amdhsa_exception_fp_ieee_overflow 0
		.amdhsa_exception_fp_ieee_underflow 0
		.amdhsa_exception_fp_ieee_inexact 0
		.amdhsa_exception_int_div_zero 0
	.end_amdhsa_kernel
	.section	.text._ZN7rocprim17ROCPRIM_400000_NS6detail17trampoline_kernelINS0_14default_configENS1_21merge_config_selectorINS0_5tupleIJddEEENS0_10empty_typeEEEZNS1_10merge_implIS3_NS0_12zip_iteratorINS5_IJN6thrust23THRUST_200600_302600_NS6detail15normal_iteratorINSC_10device_ptrIKdEEEESI_EEEEESK_NSA_INS5_IJNSE_INSF_IdEEEESM_EEEEEPS7_SP_SP_NSC_11hip_rocprim7__merge17predicate_wrapperIddNSC_7greaterIdEEEEEE10hipError_tPvRmT0_T1_T2_T3_T4_T5_mmT6_P12ihipStream_tbEUlT_E_NS1_11comp_targetILNS1_3genE10ELNS1_11target_archE1201ELNS1_3gpuE5ELNS1_3repE0EEENS1_30default_config_static_selectorELNS0_4arch9wavefront6targetE0EEEvS10_,"axG",@progbits,_ZN7rocprim17ROCPRIM_400000_NS6detail17trampoline_kernelINS0_14default_configENS1_21merge_config_selectorINS0_5tupleIJddEEENS0_10empty_typeEEEZNS1_10merge_implIS3_NS0_12zip_iteratorINS5_IJN6thrust23THRUST_200600_302600_NS6detail15normal_iteratorINSC_10device_ptrIKdEEEESI_EEEEESK_NSA_INS5_IJNSE_INSF_IdEEEESM_EEEEEPS7_SP_SP_NSC_11hip_rocprim7__merge17predicate_wrapperIddNSC_7greaterIdEEEEEE10hipError_tPvRmT0_T1_T2_T3_T4_T5_mmT6_P12ihipStream_tbEUlT_E_NS1_11comp_targetILNS1_3genE10ELNS1_11target_archE1201ELNS1_3gpuE5ELNS1_3repE0EEENS1_30default_config_static_selectorELNS0_4arch9wavefront6targetE0EEEvS10_,comdat
.Lfunc_end322:
	.size	_ZN7rocprim17ROCPRIM_400000_NS6detail17trampoline_kernelINS0_14default_configENS1_21merge_config_selectorINS0_5tupleIJddEEENS0_10empty_typeEEEZNS1_10merge_implIS3_NS0_12zip_iteratorINS5_IJN6thrust23THRUST_200600_302600_NS6detail15normal_iteratorINSC_10device_ptrIKdEEEESI_EEEEESK_NSA_INS5_IJNSE_INSF_IdEEEESM_EEEEEPS7_SP_SP_NSC_11hip_rocprim7__merge17predicate_wrapperIddNSC_7greaterIdEEEEEE10hipError_tPvRmT0_T1_T2_T3_T4_T5_mmT6_P12ihipStream_tbEUlT_E_NS1_11comp_targetILNS1_3genE10ELNS1_11target_archE1201ELNS1_3gpuE5ELNS1_3repE0EEENS1_30default_config_static_selectorELNS0_4arch9wavefront6targetE0EEEvS10_, .Lfunc_end322-_ZN7rocprim17ROCPRIM_400000_NS6detail17trampoline_kernelINS0_14default_configENS1_21merge_config_selectorINS0_5tupleIJddEEENS0_10empty_typeEEEZNS1_10merge_implIS3_NS0_12zip_iteratorINS5_IJN6thrust23THRUST_200600_302600_NS6detail15normal_iteratorINSC_10device_ptrIKdEEEESI_EEEEESK_NSA_INS5_IJNSE_INSF_IdEEEESM_EEEEEPS7_SP_SP_NSC_11hip_rocprim7__merge17predicate_wrapperIddNSC_7greaterIdEEEEEE10hipError_tPvRmT0_T1_T2_T3_T4_T5_mmT6_P12ihipStream_tbEUlT_E_NS1_11comp_targetILNS1_3genE10ELNS1_11target_archE1201ELNS1_3gpuE5ELNS1_3repE0EEENS1_30default_config_static_selectorELNS0_4arch9wavefront6targetE0EEEvS10_
                                        ; -- End function
	.set _ZN7rocprim17ROCPRIM_400000_NS6detail17trampoline_kernelINS0_14default_configENS1_21merge_config_selectorINS0_5tupleIJddEEENS0_10empty_typeEEEZNS1_10merge_implIS3_NS0_12zip_iteratorINS5_IJN6thrust23THRUST_200600_302600_NS6detail15normal_iteratorINSC_10device_ptrIKdEEEESI_EEEEESK_NSA_INS5_IJNSE_INSF_IdEEEESM_EEEEEPS7_SP_SP_NSC_11hip_rocprim7__merge17predicate_wrapperIddNSC_7greaterIdEEEEEE10hipError_tPvRmT0_T1_T2_T3_T4_T5_mmT6_P12ihipStream_tbEUlT_E_NS1_11comp_targetILNS1_3genE10ELNS1_11target_archE1201ELNS1_3gpuE5ELNS1_3repE0EEENS1_30default_config_static_selectorELNS0_4arch9wavefront6targetE0EEEvS10_.num_vgpr, 0
	.set _ZN7rocprim17ROCPRIM_400000_NS6detail17trampoline_kernelINS0_14default_configENS1_21merge_config_selectorINS0_5tupleIJddEEENS0_10empty_typeEEEZNS1_10merge_implIS3_NS0_12zip_iteratorINS5_IJN6thrust23THRUST_200600_302600_NS6detail15normal_iteratorINSC_10device_ptrIKdEEEESI_EEEEESK_NSA_INS5_IJNSE_INSF_IdEEEESM_EEEEEPS7_SP_SP_NSC_11hip_rocprim7__merge17predicate_wrapperIddNSC_7greaterIdEEEEEE10hipError_tPvRmT0_T1_T2_T3_T4_T5_mmT6_P12ihipStream_tbEUlT_E_NS1_11comp_targetILNS1_3genE10ELNS1_11target_archE1201ELNS1_3gpuE5ELNS1_3repE0EEENS1_30default_config_static_selectorELNS0_4arch9wavefront6targetE0EEEvS10_.num_agpr, 0
	.set _ZN7rocprim17ROCPRIM_400000_NS6detail17trampoline_kernelINS0_14default_configENS1_21merge_config_selectorINS0_5tupleIJddEEENS0_10empty_typeEEEZNS1_10merge_implIS3_NS0_12zip_iteratorINS5_IJN6thrust23THRUST_200600_302600_NS6detail15normal_iteratorINSC_10device_ptrIKdEEEESI_EEEEESK_NSA_INS5_IJNSE_INSF_IdEEEESM_EEEEEPS7_SP_SP_NSC_11hip_rocprim7__merge17predicate_wrapperIddNSC_7greaterIdEEEEEE10hipError_tPvRmT0_T1_T2_T3_T4_T5_mmT6_P12ihipStream_tbEUlT_E_NS1_11comp_targetILNS1_3genE10ELNS1_11target_archE1201ELNS1_3gpuE5ELNS1_3repE0EEENS1_30default_config_static_selectorELNS0_4arch9wavefront6targetE0EEEvS10_.numbered_sgpr, 0
	.set _ZN7rocprim17ROCPRIM_400000_NS6detail17trampoline_kernelINS0_14default_configENS1_21merge_config_selectorINS0_5tupleIJddEEENS0_10empty_typeEEEZNS1_10merge_implIS3_NS0_12zip_iteratorINS5_IJN6thrust23THRUST_200600_302600_NS6detail15normal_iteratorINSC_10device_ptrIKdEEEESI_EEEEESK_NSA_INS5_IJNSE_INSF_IdEEEESM_EEEEEPS7_SP_SP_NSC_11hip_rocprim7__merge17predicate_wrapperIddNSC_7greaterIdEEEEEE10hipError_tPvRmT0_T1_T2_T3_T4_T5_mmT6_P12ihipStream_tbEUlT_E_NS1_11comp_targetILNS1_3genE10ELNS1_11target_archE1201ELNS1_3gpuE5ELNS1_3repE0EEENS1_30default_config_static_selectorELNS0_4arch9wavefront6targetE0EEEvS10_.num_named_barrier, 0
	.set _ZN7rocprim17ROCPRIM_400000_NS6detail17trampoline_kernelINS0_14default_configENS1_21merge_config_selectorINS0_5tupleIJddEEENS0_10empty_typeEEEZNS1_10merge_implIS3_NS0_12zip_iteratorINS5_IJN6thrust23THRUST_200600_302600_NS6detail15normal_iteratorINSC_10device_ptrIKdEEEESI_EEEEESK_NSA_INS5_IJNSE_INSF_IdEEEESM_EEEEEPS7_SP_SP_NSC_11hip_rocprim7__merge17predicate_wrapperIddNSC_7greaterIdEEEEEE10hipError_tPvRmT0_T1_T2_T3_T4_T5_mmT6_P12ihipStream_tbEUlT_E_NS1_11comp_targetILNS1_3genE10ELNS1_11target_archE1201ELNS1_3gpuE5ELNS1_3repE0EEENS1_30default_config_static_selectorELNS0_4arch9wavefront6targetE0EEEvS10_.private_seg_size, 0
	.set _ZN7rocprim17ROCPRIM_400000_NS6detail17trampoline_kernelINS0_14default_configENS1_21merge_config_selectorINS0_5tupleIJddEEENS0_10empty_typeEEEZNS1_10merge_implIS3_NS0_12zip_iteratorINS5_IJN6thrust23THRUST_200600_302600_NS6detail15normal_iteratorINSC_10device_ptrIKdEEEESI_EEEEESK_NSA_INS5_IJNSE_INSF_IdEEEESM_EEEEEPS7_SP_SP_NSC_11hip_rocprim7__merge17predicate_wrapperIddNSC_7greaterIdEEEEEE10hipError_tPvRmT0_T1_T2_T3_T4_T5_mmT6_P12ihipStream_tbEUlT_E_NS1_11comp_targetILNS1_3genE10ELNS1_11target_archE1201ELNS1_3gpuE5ELNS1_3repE0EEENS1_30default_config_static_selectorELNS0_4arch9wavefront6targetE0EEEvS10_.uses_vcc, 0
	.set _ZN7rocprim17ROCPRIM_400000_NS6detail17trampoline_kernelINS0_14default_configENS1_21merge_config_selectorINS0_5tupleIJddEEENS0_10empty_typeEEEZNS1_10merge_implIS3_NS0_12zip_iteratorINS5_IJN6thrust23THRUST_200600_302600_NS6detail15normal_iteratorINSC_10device_ptrIKdEEEESI_EEEEESK_NSA_INS5_IJNSE_INSF_IdEEEESM_EEEEEPS7_SP_SP_NSC_11hip_rocprim7__merge17predicate_wrapperIddNSC_7greaterIdEEEEEE10hipError_tPvRmT0_T1_T2_T3_T4_T5_mmT6_P12ihipStream_tbEUlT_E_NS1_11comp_targetILNS1_3genE10ELNS1_11target_archE1201ELNS1_3gpuE5ELNS1_3repE0EEENS1_30default_config_static_selectorELNS0_4arch9wavefront6targetE0EEEvS10_.uses_flat_scratch, 0
	.set _ZN7rocprim17ROCPRIM_400000_NS6detail17trampoline_kernelINS0_14default_configENS1_21merge_config_selectorINS0_5tupleIJddEEENS0_10empty_typeEEEZNS1_10merge_implIS3_NS0_12zip_iteratorINS5_IJN6thrust23THRUST_200600_302600_NS6detail15normal_iteratorINSC_10device_ptrIKdEEEESI_EEEEESK_NSA_INS5_IJNSE_INSF_IdEEEESM_EEEEEPS7_SP_SP_NSC_11hip_rocprim7__merge17predicate_wrapperIddNSC_7greaterIdEEEEEE10hipError_tPvRmT0_T1_T2_T3_T4_T5_mmT6_P12ihipStream_tbEUlT_E_NS1_11comp_targetILNS1_3genE10ELNS1_11target_archE1201ELNS1_3gpuE5ELNS1_3repE0EEENS1_30default_config_static_selectorELNS0_4arch9wavefront6targetE0EEEvS10_.has_dyn_sized_stack, 0
	.set _ZN7rocprim17ROCPRIM_400000_NS6detail17trampoline_kernelINS0_14default_configENS1_21merge_config_selectorINS0_5tupleIJddEEENS0_10empty_typeEEEZNS1_10merge_implIS3_NS0_12zip_iteratorINS5_IJN6thrust23THRUST_200600_302600_NS6detail15normal_iteratorINSC_10device_ptrIKdEEEESI_EEEEESK_NSA_INS5_IJNSE_INSF_IdEEEESM_EEEEEPS7_SP_SP_NSC_11hip_rocprim7__merge17predicate_wrapperIddNSC_7greaterIdEEEEEE10hipError_tPvRmT0_T1_T2_T3_T4_T5_mmT6_P12ihipStream_tbEUlT_E_NS1_11comp_targetILNS1_3genE10ELNS1_11target_archE1201ELNS1_3gpuE5ELNS1_3repE0EEENS1_30default_config_static_selectorELNS0_4arch9wavefront6targetE0EEEvS10_.has_recursion, 0
	.set _ZN7rocprim17ROCPRIM_400000_NS6detail17trampoline_kernelINS0_14default_configENS1_21merge_config_selectorINS0_5tupleIJddEEENS0_10empty_typeEEEZNS1_10merge_implIS3_NS0_12zip_iteratorINS5_IJN6thrust23THRUST_200600_302600_NS6detail15normal_iteratorINSC_10device_ptrIKdEEEESI_EEEEESK_NSA_INS5_IJNSE_INSF_IdEEEESM_EEEEEPS7_SP_SP_NSC_11hip_rocprim7__merge17predicate_wrapperIddNSC_7greaterIdEEEEEE10hipError_tPvRmT0_T1_T2_T3_T4_T5_mmT6_P12ihipStream_tbEUlT_E_NS1_11comp_targetILNS1_3genE10ELNS1_11target_archE1201ELNS1_3gpuE5ELNS1_3repE0EEENS1_30default_config_static_selectorELNS0_4arch9wavefront6targetE0EEEvS10_.has_indirect_call, 0
	.section	.AMDGPU.csdata,"",@progbits
; Kernel info:
; codeLenInByte = 0
; TotalNumSgprs: 0
; NumVgprs: 0
; ScratchSize: 0
; MemoryBound: 0
; FloatMode: 240
; IeeeMode: 1
; LDSByteSize: 0 bytes/workgroup (compile time only)
; SGPRBlocks: 0
; VGPRBlocks: 0
; NumSGPRsForWavesPerEU: 1
; NumVGPRsForWavesPerEU: 1
; NamedBarCnt: 0
; Occupancy: 16
; WaveLimiterHint : 0
; COMPUTE_PGM_RSRC2:SCRATCH_EN: 0
; COMPUTE_PGM_RSRC2:USER_SGPR: 2
; COMPUTE_PGM_RSRC2:TRAP_HANDLER: 0
; COMPUTE_PGM_RSRC2:TGID_X_EN: 1
; COMPUTE_PGM_RSRC2:TGID_Y_EN: 0
; COMPUTE_PGM_RSRC2:TGID_Z_EN: 0
; COMPUTE_PGM_RSRC2:TIDIG_COMP_CNT: 0
	.section	.text._ZN7rocprim17ROCPRIM_400000_NS6detail17trampoline_kernelINS0_14default_configENS1_21merge_config_selectorINS0_5tupleIJddEEENS0_10empty_typeEEEZNS1_10merge_implIS3_NS0_12zip_iteratorINS5_IJN6thrust23THRUST_200600_302600_NS6detail15normal_iteratorINSC_10device_ptrIKdEEEESI_EEEEESK_NSA_INS5_IJNSE_INSF_IdEEEESM_EEEEEPS7_SP_SP_NSC_11hip_rocprim7__merge17predicate_wrapperIddNSC_7greaterIdEEEEEE10hipError_tPvRmT0_T1_T2_T3_T4_T5_mmT6_P12ihipStream_tbEUlT_E_NS1_11comp_targetILNS1_3genE10ELNS1_11target_archE1200ELNS1_3gpuE4ELNS1_3repE0EEENS1_30default_config_static_selectorELNS0_4arch9wavefront6targetE0EEEvS10_,"axG",@progbits,_ZN7rocprim17ROCPRIM_400000_NS6detail17trampoline_kernelINS0_14default_configENS1_21merge_config_selectorINS0_5tupleIJddEEENS0_10empty_typeEEEZNS1_10merge_implIS3_NS0_12zip_iteratorINS5_IJN6thrust23THRUST_200600_302600_NS6detail15normal_iteratorINSC_10device_ptrIKdEEEESI_EEEEESK_NSA_INS5_IJNSE_INSF_IdEEEESM_EEEEEPS7_SP_SP_NSC_11hip_rocprim7__merge17predicate_wrapperIddNSC_7greaterIdEEEEEE10hipError_tPvRmT0_T1_T2_T3_T4_T5_mmT6_P12ihipStream_tbEUlT_E_NS1_11comp_targetILNS1_3genE10ELNS1_11target_archE1200ELNS1_3gpuE4ELNS1_3repE0EEENS1_30default_config_static_selectorELNS0_4arch9wavefront6targetE0EEEvS10_,comdat
	.protected	_ZN7rocprim17ROCPRIM_400000_NS6detail17trampoline_kernelINS0_14default_configENS1_21merge_config_selectorINS0_5tupleIJddEEENS0_10empty_typeEEEZNS1_10merge_implIS3_NS0_12zip_iteratorINS5_IJN6thrust23THRUST_200600_302600_NS6detail15normal_iteratorINSC_10device_ptrIKdEEEESI_EEEEESK_NSA_INS5_IJNSE_INSF_IdEEEESM_EEEEEPS7_SP_SP_NSC_11hip_rocprim7__merge17predicate_wrapperIddNSC_7greaterIdEEEEEE10hipError_tPvRmT0_T1_T2_T3_T4_T5_mmT6_P12ihipStream_tbEUlT_E_NS1_11comp_targetILNS1_3genE10ELNS1_11target_archE1200ELNS1_3gpuE4ELNS1_3repE0EEENS1_30default_config_static_selectorELNS0_4arch9wavefront6targetE0EEEvS10_ ; -- Begin function _ZN7rocprim17ROCPRIM_400000_NS6detail17trampoline_kernelINS0_14default_configENS1_21merge_config_selectorINS0_5tupleIJddEEENS0_10empty_typeEEEZNS1_10merge_implIS3_NS0_12zip_iteratorINS5_IJN6thrust23THRUST_200600_302600_NS6detail15normal_iteratorINSC_10device_ptrIKdEEEESI_EEEEESK_NSA_INS5_IJNSE_INSF_IdEEEESM_EEEEEPS7_SP_SP_NSC_11hip_rocprim7__merge17predicate_wrapperIddNSC_7greaterIdEEEEEE10hipError_tPvRmT0_T1_T2_T3_T4_T5_mmT6_P12ihipStream_tbEUlT_E_NS1_11comp_targetILNS1_3genE10ELNS1_11target_archE1200ELNS1_3gpuE4ELNS1_3repE0EEENS1_30default_config_static_selectorELNS0_4arch9wavefront6targetE0EEEvS10_
	.globl	_ZN7rocprim17ROCPRIM_400000_NS6detail17trampoline_kernelINS0_14default_configENS1_21merge_config_selectorINS0_5tupleIJddEEENS0_10empty_typeEEEZNS1_10merge_implIS3_NS0_12zip_iteratorINS5_IJN6thrust23THRUST_200600_302600_NS6detail15normal_iteratorINSC_10device_ptrIKdEEEESI_EEEEESK_NSA_INS5_IJNSE_INSF_IdEEEESM_EEEEEPS7_SP_SP_NSC_11hip_rocprim7__merge17predicate_wrapperIddNSC_7greaterIdEEEEEE10hipError_tPvRmT0_T1_T2_T3_T4_T5_mmT6_P12ihipStream_tbEUlT_E_NS1_11comp_targetILNS1_3genE10ELNS1_11target_archE1200ELNS1_3gpuE4ELNS1_3repE0EEENS1_30default_config_static_selectorELNS0_4arch9wavefront6targetE0EEEvS10_
	.p2align	8
	.type	_ZN7rocprim17ROCPRIM_400000_NS6detail17trampoline_kernelINS0_14default_configENS1_21merge_config_selectorINS0_5tupleIJddEEENS0_10empty_typeEEEZNS1_10merge_implIS3_NS0_12zip_iteratorINS5_IJN6thrust23THRUST_200600_302600_NS6detail15normal_iteratorINSC_10device_ptrIKdEEEESI_EEEEESK_NSA_INS5_IJNSE_INSF_IdEEEESM_EEEEEPS7_SP_SP_NSC_11hip_rocprim7__merge17predicate_wrapperIddNSC_7greaterIdEEEEEE10hipError_tPvRmT0_T1_T2_T3_T4_T5_mmT6_P12ihipStream_tbEUlT_E_NS1_11comp_targetILNS1_3genE10ELNS1_11target_archE1200ELNS1_3gpuE4ELNS1_3repE0EEENS1_30default_config_static_selectorELNS0_4arch9wavefront6targetE0EEEvS10_,@function
_ZN7rocprim17ROCPRIM_400000_NS6detail17trampoline_kernelINS0_14default_configENS1_21merge_config_selectorINS0_5tupleIJddEEENS0_10empty_typeEEEZNS1_10merge_implIS3_NS0_12zip_iteratorINS5_IJN6thrust23THRUST_200600_302600_NS6detail15normal_iteratorINSC_10device_ptrIKdEEEESI_EEEEESK_NSA_INS5_IJNSE_INSF_IdEEEESM_EEEEEPS7_SP_SP_NSC_11hip_rocprim7__merge17predicate_wrapperIddNSC_7greaterIdEEEEEE10hipError_tPvRmT0_T1_T2_T3_T4_T5_mmT6_P12ihipStream_tbEUlT_E_NS1_11comp_targetILNS1_3genE10ELNS1_11target_archE1200ELNS1_3gpuE4ELNS1_3repE0EEENS1_30default_config_static_selectorELNS0_4arch9wavefront6targetE0EEEvS10_: ; @_ZN7rocprim17ROCPRIM_400000_NS6detail17trampoline_kernelINS0_14default_configENS1_21merge_config_selectorINS0_5tupleIJddEEENS0_10empty_typeEEEZNS1_10merge_implIS3_NS0_12zip_iteratorINS5_IJN6thrust23THRUST_200600_302600_NS6detail15normal_iteratorINSC_10device_ptrIKdEEEESI_EEEEESK_NSA_INS5_IJNSE_INSF_IdEEEESM_EEEEEPS7_SP_SP_NSC_11hip_rocprim7__merge17predicate_wrapperIddNSC_7greaterIdEEEEEE10hipError_tPvRmT0_T1_T2_T3_T4_T5_mmT6_P12ihipStream_tbEUlT_E_NS1_11comp_targetILNS1_3genE10ELNS1_11target_archE1200ELNS1_3gpuE4ELNS1_3repE0EEENS1_30default_config_static_selectorELNS0_4arch9wavefront6targetE0EEEvS10_
; %bb.0:
	.section	.rodata,"a",@progbits
	.p2align	6, 0x0
	.amdhsa_kernel _ZN7rocprim17ROCPRIM_400000_NS6detail17trampoline_kernelINS0_14default_configENS1_21merge_config_selectorINS0_5tupleIJddEEENS0_10empty_typeEEEZNS1_10merge_implIS3_NS0_12zip_iteratorINS5_IJN6thrust23THRUST_200600_302600_NS6detail15normal_iteratorINSC_10device_ptrIKdEEEESI_EEEEESK_NSA_INS5_IJNSE_INSF_IdEEEESM_EEEEEPS7_SP_SP_NSC_11hip_rocprim7__merge17predicate_wrapperIddNSC_7greaterIdEEEEEE10hipError_tPvRmT0_T1_T2_T3_T4_T5_mmT6_P12ihipStream_tbEUlT_E_NS1_11comp_targetILNS1_3genE10ELNS1_11target_archE1200ELNS1_3gpuE4ELNS1_3repE0EEENS1_30default_config_static_selectorELNS0_4arch9wavefront6targetE0EEEvS10_
		.amdhsa_group_segment_fixed_size 0
		.amdhsa_private_segment_fixed_size 0
		.amdhsa_kernarg_size 64
		.amdhsa_user_sgpr_count 2
		.amdhsa_user_sgpr_dispatch_ptr 0
		.amdhsa_user_sgpr_queue_ptr 0
		.amdhsa_user_sgpr_kernarg_segment_ptr 1
		.amdhsa_user_sgpr_dispatch_id 0
		.amdhsa_user_sgpr_kernarg_preload_length 0
		.amdhsa_user_sgpr_kernarg_preload_offset 0
		.amdhsa_user_sgpr_private_segment_size 0
		.amdhsa_wavefront_size32 1
		.amdhsa_uses_dynamic_stack 0
		.amdhsa_enable_private_segment 0
		.amdhsa_system_sgpr_workgroup_id_x 1
		.amdhsa_system_sgpr_workgroup_id_y 0
		.amdhsa_system_sgpr_workgroup_id_z 0
		.amdhsa_system_sgpr_workgroup_info 0
		.amdhsa_system_vgpr_workitem_id 0
		.amdhsa_next_free_vgpr 1
		.amdhsa_next_free_sgpr 1
		.amdhsa_named_barrier_count 0
		.amdhsa_reserve_vcc 0
		.amdhsa_float_round_mode_32 0
		.amdhsa_float_round_mode_16_64 0
		.amdhsa_float_denorm_mode_32 3
		.amdhsa_float_denorm_mode_16_64 3
		.amdhsa_fp16_overflow 0
		.amdhsa_memory_ordered 1
		.amdhsa_forward_progress 1
		.amdhsa_inst_pref_size 0
		.amdhsa_round_robin_scheduling 0
		.amdhsa_exception_fp_ieee_invalid_op 0
		.amdhsa_exception_fp_denorm_src 0
		.amdhsa_exception_fp_ieee_div_zero 0
		.amdhsa_exception_fp_ieee_overflow 0
		.amdhsa_exception_fp_ieee_underflow 0
		.amdhsa_exception_fp_ieee_inexact 0
		.amdhsa_exception_int_div_zero 0
	.end_amdhsa_kernel
	.section	.text._ZN7rocprim17ROCPRIM_400000_NS6detail17trampoline_kernelINS0_14default_configENS1_21merge_config_selectorINS0_5tupleIJddEEENS0_10empty_typeEEEZNS1_10merge_implIS3_NS0_12zip_iteratorINS5_IJN6thrust23THRUST_200600_302600_NS6detail15normal_iteratorINSC_10device_ptrIKdEEEESI_EEEEESK_NSA_INS5_IJNSE_INSF_IdEEEESM_EEEEEPS7_SP_SP_NSC_11hip_rocprim7__merge17predicate_wrapperIddNSC_7greaterIdEEEEEE10hipError_tPvRmT0_T1_T2_T3_T4_T5_mmT6_P12ihipStream_tbEUlT_E_NS1_11comp_targetILNS1_3genE10ELNS1_11target_archE1200ELNS1_3gpuE4ELNS1_3repE0EEENS1_30default_config_static_selectorELNS0_4arch9wavefront6targetE0EEEvS10_,"axG",@progbits,_ZN7rocprim17ROCPRIM_400000_NS6detail17trampoline_kernelINS0_14default_configENS1_21merge_config_selectorINS0_5tupleIJddEEENS0_10empty_typeEEEZNS1_10merge_implIS3_NS0_12zip_iteratorINS5_IJN6thrust23THRUST_200600_302600_NS6detail15normal_iteratorINSC_10device_ptrIKdEEEESI_EEEEESK_NSA_INS5_IJNSE_INSF_IdEEEESM_EEEEEPS7_SP_SP_NSC_11hip_rocprim7__merge17predicate_wrapperIddNSC_7greaterIdEEEEEE10hipError_tPvRmT0_T1_T2_T3_T4_T5_mmT6_P12ihipStream_tbEUlT_E_NS1_11comp_targetILNS1_3genE10ELNS1_11target_archE1200ELNS1_3gpuE4ELNS1_3repE0EEENS1_30default_config_static_selectorELNS0_4arch9wavefront6targetE0EEEvS10_,comdat
.Lfunc_end323:
	.size	_ZN7rocprim17ROCPRIM_400000_NS6detail17trampoline_kernelINS0_14default_configENS1_21merge_config_selectorINS0_5tupleIJddEEENS0_10empty_typeEEEZNS1_10merge_implIS3_NS0_12zip_iteratorINS5_IJN6thrust23THRUST_200600_302600_NS6detail15normal_iteratorINSC_10device_ptrIKdEEEESI_EEEEESK_NSA_INS5_IJNSE_INSF_IdEEEESM_EEEEEPS7_SP_SP_NSC_11hip_rocprim7__merge17predicate_wrapperIddNSC_7greaterIdEEEEEE10hipError_tPvRmT0_T1_T2_T3_T4_T5_mmT6_P12ihipStream_tbEUlT_E_NS1_11comp_targetILNS1_3genE10ELNS1_11target_archE1200ELNS1_3gpuE4ELNS1_3repE0EEENS1_30default_config_static_selectorELNS0_4arch9wavefront6targetE0EEEvS10_, .Lfunc_end323-_ZN7rocprim17ROCPRIM_400000_NS6detail17trampoline_kernelINS0_14default_configENS1_21merge_config_selectorINS0_5tupleIJddEEENS0_10empty_typeEEEZNS1_10merge_implIS3_NS0_12zip_iteratorINS5_IJN6thrust23THRUST_200600_302600_NS6detail15normal_iteratorINSC_10device_ptrIKdEEEESI_EEEEESK_NSA_INS5_IJNSE_INSF_IdEEEESM_EEEEEPS7_SP_SP_NSC_11hip_rocprim7__merge17predicate_wrapperIddNSC_7greaterIdEEEEEE10hipError_tPvRmT0_T1_T2_T3_T4_T5_mmT6_P12ihipStream_tbEUlT_E_NS1_11comp_targetILNS1_3genE10ELNS1_11target_archE1200ELNS1_3gpuE4ELNS1_3repE0EEENS1_30default_config_static_selectorELNS0_4arch9wavefront6targetE0EEEvS10_
                                        ; -- End function
	.set _ZN7rocprim17ROCPRIM_400000_NS6detail17trampoline_kernelINS0_14default_configENS1_21merge_config_selectorINS0_5tupleIJddEEENS0_10empty_typeEEEZNS1_10merge_implIS3_NS0_12zip_iteratorINS5_IJN6thrust23THRUST_200600_302600_NS6detail15normal_iteratorINSC_10device_ptrIKdEEEESI_EEEEESK_NSA_INS5_IJNSE_INSF_IdEEEESM_EEEEEPS7_SP_SP_NSC_11hip_rocprim7__merge17predicate_wrapperIddNSC_7greaterIdEEEEEE10hipError_tPvRmT0_T1_T2_T3_T4_T5_mmT6_P12ihipStream_tbEUlT_E_NS1_11comp_targetILNS1_3genE10ELNS1_11target_archE1200ELNS1_3gpuE4ELNS1_3repE0EEENS1_30default_config_static_selectorELNS0_4arch9wavefront6targetE0EEEvS10_.num_vgpr, 0
	.set _ZN7rocprim17ROCPRIM_400000_NS6detail17trampoline_kernelINS0_14default_configENS1_21merge_config_selectorINS0_5tupleIJddEEENS0_10empty_typeEEEZNS1_10merge_implIS3_NS0_12zip_iteratorINS5_IJN6thrust23THRUST_200600_302600_NS6detail15normal_iteratorINSC_10device_ptrIKdEEEESI_EEEEESK_NSA_INS5_IJNSE_INSF_IdEEEESM_EEEEEPS7_SP_SP_NSC_11hip_rocprim7__merge17predicate_wrapperIddNSC_7greaterIdEEEEEE10hipError_tPvRmT0_T1_T2_T3_T4_T5_mmT6_P12ihipStream_tbEUlT_E_NS1_11comp_targetILNS1_3genE10ELNS1_11target_archE1200ELNS1_3gpuE4ELNS1_3repE0EEENS1_30default_config_static_selectorELNS0_4arch9wavefront6targetE0EEEvS10_.num_agpr, 0
	.set _ZN7rocprim17ROCPRIM_400000_NS6detail17trampoline_kernelINS0_14default_configENS1_21merge_config_selectorINS0_5tupleIJddEEENS0_10empty_typeEEEZNS1_10merge_implIS3_NS0_12zip_iteratorINS5_IJN6thrust23THRUST_200600_302600_NS6detail15normal_iteratorINSC_10device_ptrIKdEEEESI_EEEEESK_NSA_INS5_IJNSE_INSF_IdEEEESM_EEEEEPS7_SP_SP_NSC_11hip_rocprim7__merge17predicate_wrapperIddNSC_7greaterIdEEEEEE10hipError_tPvRmT0_T1_T2_T3_T4_T5_mmT6_P12ihipStream_tbEUlT_E_NS1_11comp_targetILNS1_3genE10ELNS1_11target_archE1200ELNS1_3gpuE4ELNS1_3repE0EEENS1_30default_config_static_selectorELNS0_4arch9wavefront6targetE0EEEvS10_.numbered_sgpr, 0
	.set _ZN7rocprim17ROCPRIM_400000_NS6detail17trampoline_kernelINS0_14default_configENS1_21merge_config_selectorINS0_5tupleIJddEEENS0_10empty_typeEEEZNS1_10merge_implIS3_NS0_12zip_iteratorINS5_IJN6thrust23THRUST_200600_302600_NS6detail15normal_iteratorINSC_10device_ptrIKdEEEESI_EEEEESK_NSA_INS5_IJNSE_INSF_IdEEEESM_EEEEEPS7_SP_SP_NSC_11hip_rocprim7__merge17predicate_wrapperIddNSC_7greaterIdEEEEEE10hipError_tPvRmT0_T1_T2_T3_T4_T5_mmT6_P12ihipStream_tbEUlT_E_NS1_11comp_targetILNS1_3genE10ELNS1_11target_archE1200ELNS1_3gpuE4ELNS1_3repE0EEENS1_30default_config_static_selectorELNS0_4arch9wavefront6targetE0EEEvS10_.num_named_barrier, 0
	.set _ZN7rocprim17ROCPRIM_400000_NS6detail17trampoline_kernelINS0_14default_configENS1_21merge_config_selectorINS0_5tupleIJddEEENS0_10empty_typeEEEZNS1_10merge_implIS3_NS0_12zip_iteratorINS5_IJN6thrust23THRUST_200600_302600_NS6detail15normal_iteratorINSC_10device_ptrIKdEEEESI_EEEEESK_NSA_INS5_IJNSE_INSF_IdEEEESM_EEEEEPS7_SP_SP_NSC_11hip_rocprim7__merge17predicate_wrapperIddNSC_7greaterIdEEEEEE10hipError_tPvRmT0_T1_T2_T3_T4_T5_mmT6_P12ihipStream_tbEUlT_E_NS1_11comp_targetILNS1_3genE10ELNS1_11target_archE1200ELNS1_3gpuE4ELNS1_3repE0EEENS1_30default_config_static_selectorELNS0_4arch9wavefront6targetE0EEEvS10_.private_seg_size, 0
	.set _ZN7rocprim17ROCPRIM_400000_NS6detail17trampoline_kernelINS0_14default_configENS1_21merge_config_selectorINS0_5tupleIJddEEENS0_10empty_typeEEEZNS1_10merge_implIS3_NS0_12zip_iteratorINS5_IJN6thrust23THRUST_200600_302600_NS6detail15normal_iteratorINSC_10device_ptrIKdEEEESI_EEEEESK_NSA_INS5_IJNSE_INSF_IdEEEESM_EEEEEPS7_SP_SP_NSC_11hip_rocprim7__merge17predicate_wrapperIddNSC_7greaterIdEEEEEE10hipError_tPvRmT0_T1_T2_T3_T4_T5_mmT6_P12ihipStream_tbEUlT_E_NS1_11comp_targetILNS1_3genE10ELNS1_11target_archE1200ELNS1_3gpuE4ELNS1_3repE0EEENS1_30default_config_static_selectorELNS0_4arch9wavefront6targetE0EEEvS10_.uses_vcc, 0
	.set _ZN7rocprim17ROCPRIM_400000_NS6detail17trampoline_kernelINS0_14default_configENS1_21merge_config_selectorINS0_5tupleIJddEEENS0_10empty_typeEEEZNS1_10merge_implIS3_NS0_12zip_iteratorINS5_IJN6thrust23THRUST_200600_302600_NS6detail15normal_iteratorINSC_10device_ptrIKdEEEESI_EEEEESK_NSA_INS5_IJNSE_INSF_IdEEEESM_EEEEEPS7_SP_SP_NSC_11hip_rocprim7__merge17predicate_wrapperIddNSC_7greaterIdEEEEEE10hipError_tPvRmT0_T1_T2_T3_T4_T5_mmT6_P12ihipStream_tbEUlT_E_NS1_11comp_targetILNS1_3genE10ELNS1_11target_archE1200ELNS1_3gpuE4ELNS1_3repE0EEENS1_30default_config_static_selectorELNS0_4arch9wavefront6targetE0EEEvS10_.uses_flat_scratch, 0
	.set _ZN7rocprim17ROCPRIM_400000_NS6detail17trampoline_kernelINS0_14default_configENS1_21merge_config_selectorINS0_5tupleIJddEEENS0_10empty_typeEEEZNS1_10merge_implIS3_NS0_12zip_iteratorINS5_IJN6thrust23THRUST_200600_302600_NS6detail15normal_iteratorINSC_10device_ptrIKdEEEESI_EEEEESK_NSA_INS5_IJNSE_INSF_IdEEEESM_EEEEEPS7_SP_SP_NSC_11hip_rocprim7__merge17predicate_wrapperIddNSC_7greaterIdEEEEEE10hipError_tPvRmT0_T1_T2_T3_T4_T5_mmT6_P12ihipStream_tbEUlT_E_NS1_11comp_targetILNS1_3genE10ELNS1_11target_archE1200ELNS1_3gpuE4ELNS1_3repE0EEENS1_30default_config_static_selectorELNS0_4arch9wavefront6targetE0EEEvS10_.has_dyn_sized_stack, 0
	.set _ZN7rocprim17ROCPRIM_400000_NS6detail17trampoline_kernelINS0_14default_configENS1_21merge_config_selectorINS0_5tupleIJddEEENS0_10empty_typeEEEZNS1_10merge_implIS3_NS0_12zip_iteratorINS5_IJN6thrust23THRUST_200600_302600_NS6detail15normal_iteratorINSC_10device_ptrIKdEEEESI_EEEEESK_NSA_INS5_IJNSE_INSF_IdEEEESM_EEEEEPS7_SP_SP_NSC_11hip_rocprim7__merge17predicate_wrapperIddNSC_7greaterIdEEEEEE10hipError_tPvRmT0_T1_T2_T3_T4_T5_mmT6_P12ihipStream_tbEUlT_E_NS1_11comp_targetILNS1_3genE10ELNS1_11target_archE1200ELNS1_3gpuE4ELNS1_3repE0EEENS1_30default_config_static_selectorELNS0_4arch9wavefront6targetE0EEEvS10_.has_recursion, 0
	.set _ZN7rocprim17ROCPRIM_400000_NS6detail17trampoline_kernelINS0_14default_configENS1_21merge_config_selectorINS0_5tupleIJddEEENS0_10empty_typeEEEZNS1_10merge_implIS3_NS0_12zip_iteratorINS5_IJN6thrust23THRUST_200600_302600_NS6detail15normal_iteratorINSC_10device_ptrIKdEEEESI_EEEEESK_NSA_INS5_IJNSE_INSF_IdEEEESM_EEEEEPS7_SP_SP_NSC_11hip_rocprim7__merge17predicate_wrapperIddNSC_7greaterIdEEEEEE10hipError_tPvRmT0_T1_T2_T3_T4_T5_mmT6_P12ihipStream_tbEUlT_E_NS1_11comp_targetILNS1_3genE10ELNS1_11target_archE1200ELNS1_3gpuE4ELNS1_3repE0EEENS1_30default_config_static_selectorELNS0_4arch9wavefront6targetE0EEEvS10_.has_indirect_call, 0
	.section	.AMDGPU.csdata,"",@progbits
; Kernel info:
; codeLenInByte = 0
; TotalNumSgprs: 0
; NumVgprs: 0
; ScratchSize: 0
; MemoryBound: 0
; FloatMode: 240
; IeeeMode: 1
; LDSByteSize: 0 bytes/workgroup (compile time only)
; SGPRBlocks: 0
; VGPRBlocks: 0
; NumSGPRsForWavesPerEU: 1
; NumVGPRsForWavesPerEU: 1
; NamedBarCnt: 0
; Occupancy: 16
; WaveLimiterHint : 0
; COMPUTE_PGM_RSRC2:SCRATCH_EN: 0
; COMPUTE_PGM_RSRC2:USER_SGPR: 2
; COMPUTE_PGM_RSRC2:TRAP_HANDLER: 0
; COMPUTE_PGM_RSRC2:TGID_X_EN: 1
; COMPUTE_PGM_RSRC2:TGID_Y_EN: 0
; COMPUTE_PGM_RSRC2:TGID_Z_EN: 0
; COMPUTE_PGM_RSRC2:TIDIG_COMP_CNT: 0
	.section	.text._ZN7rocprim17ROCPRIM_400000_NS6detail17trampoline_kernelINS0_14default_configENS1_21merge_config_selectorINS0_5tupleIJddEEENS0_10empty_typeEEEZNS1_10merge_implIS3_NS0_12zip_iteratorINS5_IJN6thrust23THRUST_200600_302600_NS6detail15normal_iteratorINSC_10device_ptrIKdEEEESI_EEEEESK_NSA_INS5_IJNSE_INSF_IdEEEESM_EEEEEPS7_SP_SP_NSC_11hip_rocprim7__merge17predicate_wrapperIddNSC_7greaterIdEEEEEE10hipError_tPvRmT0_T1_T2_T3_T4_T5_mmT6_P12ihipStream_tbEUlT_E_NS1_11comp_targetILNS1_3genE9ELNS1_11target_archE1100ELNS1_3gpuE3ELNS1_3repE0EEENS1_30default_config_static_selectorELNS0_4arch9wavefront6targetE0EEEvS10_,"axG",@progbits,_ZN7rocprim17ROCPRIM_400000_NS6detail17trampoline_kernelINS0_14default_configENS1_21merge_config_selectorINS0_5tupleIJddEEENS0_10empty_typeEEEZNS1_10merge_implIS3_NS0_12zip_iteratorINS5_IJN6thrust23THRUST_200600_302600_NS6detail15normal_iteratorINSC_10device_ptrIKdEEEESI_EEEEESK_NSA_INS5_IJNSE_INSF_IdEEEESM_EEEEEPS7_SP_SP_NSC_11hip_rocprim7__merge17predicate_wrapperIddNSC_7greaterIdEEEEEE10hipError_tPvRmT0_T1_T2_T3_T4_T5_mmT6_P12ihipStream_tbEUlT_E_NS1_11comp_targetILNS1_3genE9ELNS1_11target_archE1100ELNS1_3gpuE3ELNS1_3repE0EEENS1_30default_config_static_selectorELNS0_4arch9wavefront6targetE0EEEvS10_,comdat
	.protected	_ZN7rocprim17ROCPRIM_400000_NS6detail17trampoline_kernelINS0_14default_configENS1_21merge_config_selectorINS0_5tupleIJddEEENS0_10empty_typeEEEZNS1_10merge_implIS3_NS0_12zip_iteratorINS5_IJN6thrust23THRUST_200600_302600_NS6detail15normal_iteratorINSC_10device_ptrIKdEEEESI_EEEEESK_NSA_INS5_IJNSE_INSF_IdEEEESM_EEEEEPS7_SP_SP_NSC_11hip_rocprim7__merge17predicate_wrapperIddNSC_7greaterIdEEEEEE10hipError_tPvRmT0_T1_T2_T3_T4_T5_mmT6_P12ihipStream_tbEUlT_E_NS1_11comp_targetILNS1_3genE9ELNS1_11target_archE1100ELNS1_3gpuE3ELNS1_3repE0EEENS1_30default_config_static_selectorELNS0_4arch9wavefront6targetE0EEEvS10_ ; -- Begin function _ZN7rocprim17ROCPRIM_400000_NS6detail17trampoline_kernelINS0_14default_configENS1_21merge_config_selectorINS0_5tupleIJddEEENS0_10empty_typeEEEZNS1_10merge_implIS3_NS0_12zip_iteratorINS5_IJN6thrust23THRUST_200600_302600_NS6detail15normal_iteratorINSC_10device_ptrIKdEEEESI_EEEEESK_NSA_INS5_IJNSE_INSF_IdEEEESM_EEEEEPS7_SP_SP_NSC_11hip_rocprim7__merge17predicate_wrapperIddNSC_7greaterIdEEEEEE10hipError_tPvRmT0_T1_T2_T3_T4_T5_mmT6_P12ihipStream_tbEUlT_E_NS1_11comp_targetILNS1_3genE9ELNS1_11target_archE1100ELNS1_3gpuE3ELNS1_3repE0EEENS1_30default_config_static_selectorELNS0_4arch9wavefront6targetE0EEEvS10_
	.globl	_ZN7rocprim17ROCPRIM_400000_NS6detail17trampoline_kernelINS0_14default_configENS1_21merge_config_selectorINS0_5tupleIJddEEENS0_10empty_typeEEEZNS1_10merge_implIS3_NS0_12zip_iteratorINS5_IJN6thrust23THRUST_200600_302600_NS6detail15normal_iteratorINSC_10device_ptrIKdEEEESI_EEEEESK_NSA_INS5_IJNSE_INSF_IdEEEESM_EEEEEPS7_SP_SP_NSC_11hip_rocprim7__merge17predicate_wrapperIddNSC_7greaterIdEEEEEE10hipError_tPvRmT0_T1_T2_T3_T4_T5_mmT6_P12ihipStream_tbEUlT_E_NS1_11comp_targetILNS1_3genE9ELNS1_11target_archE1100ELNS1_3gpuE3ELNS1_3repE0EEENS1_30default_config_static_selectorELNS0_4arch9wavefront6targetE0EEEvS10_
	.p2align	8
	.type	_ZN7rocprim17ROCPRIM_400000_NS6detail17trampoline_kernelINS0_14default_configENS1_21merge_config_selectorINS0_5tupleIJddEEENS0_10empty_typeEEEZNS1_10merge_implIS3_NS0_12zip_iteratorINS5_IJN6thrust23THRUST_200600_302600_NS6detail15normal_iteratorINSC_10device_ptrIKdEEEESI_EEEEESK_NSA_INS5_IJNSE_INSF_IdEEEESM_EEEEEPS7_SP_SP_NSC_11hip_rocprim7__merge17predicate_wrapperIddNSC_7greaterIdEEEEEE10hipError_tPvRmT0_T1_T2_T3_T4_T5_mmT6_P12ihipStream_tbEUlT_E_NS1_11comp_targetILNS1_3genE9ELNS1_11target_archE1100ELNS1_3gpuE3ELNS1_3repE0EEENS1_30default_config_static_selectorELNS0_4arch9wavefront6targetE0EEEvS10_,@function
_ZN7rocprim17ROCPRIM_400000_NS6detail17trampoline_kernelINS0_14default_configENS1_21merge_config_selectorINS0_5tupleIJddEEENS0_10empty_typeEEEZNS1_10merge_implIS3_NS0_12zip_iteratorINS5_IJN6thrust23THRUST_200600_302600_NS6detail15normal_iteratorINSC_10device_ptrIKdEEEESI_EEEEESK_NSA_INS5_IJNSE_INSF_IdEEEESM_EEEEEPS7_SP_SP_NSC_11hip_rocprim7__merge17predicate_wrapperIddNSC_7greaterIdEEEEEE10hipError_tPvRmT0_T1_T2_T3_T4_T5_mmT6_P12ihipStream_tbEUlT_E_NS1_11comp_targetILNS1_3genE9ELNS1_11target_archE1100ELNS1_3gpuE3ELNS1_3repE0EEENS1_30default_config_static_selectorELNS0_4arch9wavefront6targetE0EEEvS10_: ; @_ZN7rocprim17ROCPRIM_400000_NS6detail17trampoline_kernelINS0_14default_configENS1_21merge_config_selectorINS0_5tupleIJddEEENS0_10empty_typeEEEZNS1_10merge_implIS3_NS0_12zip_iteratorINS5_IJN6thrust23THRUST_200600_302600_NS6detail15normal_iteratorINSC_10device_ptrIKdEEEESI_EEEEESK_NSA_INS5_IJNSE_INSF_IdEEEESM_EEEEEPS7_SP_SP_NSC_11hip_rocprim7__merge17predicate_wrapperIddNSC_7greaterIdEEEEEE10hipError_tPvRmT0_T1_T2_T3_T4_T5_mmT6_P12ihipStream_tbEUlT_E_NS1_11comp_targetILNS1_3genE9ELNS1_11target_archE1100ELNS1_3gpuE3ELNS1_3repE0EEENS1_30default_config_static_selectorELNS0_4arch9wavefront6targetE0EEEvS10_
; %bb.0:
	.section	.rodata,"a",@progbits
	.p2align	6, 0x0
	.amdhsa_kernel _ZN7rocprim17ROCPRIM_400000_NS6detail17trampoline_kernelINS0_14default_configENS1_21merge_config_selectorINS0_5tupleIJddEEENS0_10empty_typeEEEZNS1_10merge_implIS3_NS0_12zip_iteratorINS5_IJN6thrust23THRUST_200600_302600_NS6detail15normal_iteratorINSC_10device_ptrIKdEEEESI_EEEEESK_NSA_INS5_IJNSE_INSF_IdEEEESM_EEEEEPS7_SP_SP_NSC_11hip_rocprim7__merge17predicate_wrapperIddNSC_7greaterIdEEEEEE10hipError_tPvRmT0_T1_T2_T3_T4_T5_mmT6_P12ihipStream_tbEUlT_E_NS1_11comp_targetILNS1_3genE9ELNS1_11target_archE1100ELNS1_3gpuE3ELNS1_3repE0EEENS1_30default_config_static_selectorELNS0_4arch9wavefront6targetE0EEEvS10_
		.amdhsa_group_segment_fixed_size 0
		.amdhsa_private_segment_fixed_size 0
		.amdhsa_kernarg_size 64
		.amdhsa_user_sgpr_count 2
		.amdhsa_user_sgpr_dispatch_ptr 0
		.amdhsa_user_sgpr_queue_ptr 0
		.amdhsa_user_sgpr_kernarg_segment_ptr 1
		.amdhsa_user_sgpr_dispatch_id 0
		.amdhsa_user_sgpr_kernarg_preload_length 0
		.amdhsa_user_sgpr_kernarg_preload_offset 0
		.amdhsa_user_sgpr_private_segment_size 0
		.amdhsa_wavefront_size32 1
		.amdhsa_uses_dynamic_stack 0
		.amdhsa_enable_private_segment 0
		.amdhsa_system_sgpr_workgroup_id_x 1
		.amdhsa_system_sgpr_workgroup_id_y 0
		.amdhsa_system_sgpr_workgroup_id_z 0
		.amdhsa_system_sgpr_workgroup_info 0
		.amdhsa_system_vgpr_workitem_id 0
		.amdhsa_next_free_vgpr 1
		.amdhsa_next_free_sgpr 1
		.amdhsa_named_barrier_count 0
		.amdhsa_reserve_vcc 0
		.amdhsa_float_round_mode_32 0
		.amdhsa_float_round_mode_16_64 0
		.amdhsa_float_denorm_mode_32 3
		.amdhsa_float_denorm_mode_16_64 3
		.amdhsa_fp16_overflow 0
		.amdhsa_memory_ordered 1
		.amdhsa_forward_progress 1
		.amdhsa_inst_pref_size 0
		.amdhsa_round_robin_scheduling 0
		.amdhsa_exception_fp_ieee_invalid_op 0
		.amdhsa_exception_fp_denorm_src 0
		.amdhsa_exception_fp_ieee_div_zero 0
		.amdhsa_exception_fp_ieee_overflow 0
		.amdhsa_exception_fp_ieee_underflow 0
		.amdhsa_exception_fp_ieee_inexact 0
		.amdhsa_exception_int_div_zero 0
	.end_amdhsa_kernel
	.section	.text._ZN7rocprim17ROCPRIM_400000_NS6detail17trampoline_kernelINS0_14default_configENS1_21merge_config_selectorINS0_5tupleIJddEEENS0_10empty_typeEEEZNS1_10merge_implIS3_NS0_12zip_iteratorINS5_IJN6thrust23THRUST_200600_302600_NS6detail15normal_iteratorINSC_10device_ptrIKdEEEESI_EEEEESK_NSA_INS5_IJNSE_INSF_IdEEEESM_EEEEEPS7_SP_SP_NSC_11hip_rocprim7__merge17predicate_wrapperIddNSC_7greaterIdEEEEEE10hipError_tPvRmT0_T1_T2_T3_T4_T5_mmT6_P12ihipStream_tbEUlT_E_NS1_11comp_targetILNS1_3genE9ELNS1_11target_archE1100ELNS1_3gpuE3ELNS1_3repE0EEENS1_30default_config_static_selectorELNS0_4arch9wavefront6targetE0EEEvS10_,"axG",@progbits,_ZN7rocprim17ROCPRIM_400000_NS6detail17trampoline_kernelINS0_14default_configENS1_21merge_config_selectorINS0_5tupleIJddEEENS0_10empty_typeEEEZNS1_10merge_implIS3_NS0_12zip_iteratorINS5_IJN6thrust23THRUST_200600_302600_NS6detail15normal_iteratorINSC_10device_ptrIKdEEEESI_EEEEESK_NSA_INS5_IJNSE_INSF_IdEEEESM_EEEEEPS7_SP_SP_NSC_11hip_rocprim7__merge17predicate_wrapperIddNSC_7greaterIdEEEEEE10hipError_tPvRmT0_T1_T2_T3_T4_T5_mmT6_P12ihipStream_tbEUlT_E_NS1_11comp_targetILNS1_3genE9ELNS1_11target_archE1100ELNS1_3gpuE3ELNS1_3repE0EEENS1_30default_config_static_selectorELNS0_4arch9wavefront6targetE0EEEvS10_,comdat
.Lfunc_end324:
	.size	_ZN7rocprim17ROCPRIM_400000_NS6detail17trampoline_kernelINS0_14default_configENS1_21merge_config_selectorINS0_5tupleIJddEEENS0_10empty_typeEEEZNS1_10merge_implIS3_NS0_12zip_iteratorINS5_IJN6thrust23THRUST_200600_302600_NS6detail15normal_iteratorINSC_10device_ptrIKdEEEESI_EEEEESK_NSA_INS5_IJNSE_INSF_IdEEEESM_EEEEEPS7_SP_SP_NSC_11hip_rocprim7__merge17predicate_wrapperIddNSC_7greaterIdEEEEEE10hipError_tPvRmT0_T1_T2_T3_T4_T5_mmT6_P12ihipStream_tbEUlT_E_NS1_11comp_targetILNS1_3genE9ELNS1_11target_archE1100ELNS1_3gpuE3ELNS1_3repE0EEENS1_30default_config_static_selectorELNS0_4arch9wavefront6targetE0EEEvS10_, .Lfunc_end324-_ZN7rocprim17ROCPRIM_400000_NS6detail17trampoline_kernelINS0_14default_configENS1_21merge_config_selectorINS0_5tupleIJddEEENS0_10empty_typeEEEZNS1_10merge_implIS3_NS0_12zip_iteratorINS5_IJN6thrust23THRUST_200600_302600_NS6detail15normal_iteratorINSC_10device_ptrIKdEEEESI_EEEEESK_NSA_INS5_IJNSE_INSF_IdEEEESM_EEEEEPS7_SP_SP_NSC_11hip_rocprim7__merge17predicate_wrapperIddNSC_7greaterIdEEEEEE10hipError_tPvRmT0_T1_T2_T3_T4_T5_mmT6_P12ihipStream_tbEUlT_E_NS1_11comp_targetILNS1_3genE9ELNS1_11target_archE1100ELNS1_3gpuE3ELNS1_3repE0EEENS1_30default_config_static_selectorELNS0_4arch9wavefront6targetE0EEEvS10_
                                        ; -- End function
	.set _ZN7rocprim17ROCPRIM_400000_NS6detail17trampoline_kernelINS0_14default_configENS1_21merge_config_selectorINS0_5tupleIJddEEENS0_10empty_typeEEEZNS1_10merge_implIS3_NS0_12zip_iteratorINS5_IJN6thrust23THRUST_200600_302600_NS6detail15normal_iteratorINSC_10device_ptrIKdEEEESI_EEEEESK_NSA_INS5_IJNSE_INSF_IdEEEESM_EEEEEPS7_SP_SP_NSC_11hip_rocprim7__merge17predicate_wrapperIddNSC_7greaterIdEEEEEE10hipError_tPvRmT0_T1_T2_T3_T4_T5_mmT6_P12ihipStream_tbEUlT_E_NS1_11comp_targetILNS1_3genE9ELNS1_11target_archE1100ELNS1_3gpuE3ELNS1_3repE0EEENS1_30default_config_static_selectorELNS0_4arch9wavefront6targetE0EEEvS10_.num_vgpr, 0
	.set _ZN7rocprim17ROCPRIM_400000_NS6detail17trampoline_kernelINS0_14default_configENS1_21merge_config_selectorINS0_5tupleIJddEEENS0_10empty_typeEEEZNS1_10merge_implIS3_NS0_12zip_iteratorINS5_IJN6thrust23THRUST_200600_302600_NS6detail15normal_iteratorINSC_10device_ptrIKdEEEESI_EEEEESK_NSA_INS5_IJNSE_INSF_IdEEEESM_EEEEEPS7_SP_SP_NSC_11hip_rocprim7__merge17predicate_wrapperIddNSC_7greaterIdEEEEEE10hipError_tPvRmT0_T1_T2_T3_T4_T5_mmT6_P12ihipStream_tbEUlT_E_NS1_11comp_targetILNS1_3genE9ELNS1_11target_archE1100ELNS1_3gpuE3ELNS1_3repE0EEENS1_30default_config_static_selectorELNS0_4arch9wavefront6targetE0EEEvS10_.num_agpr, 0
	.set _ZN7rocprim17ROCPRIM_400000_NS6detail17trampoline_kernelINS0_14default_configENS1_21merge_config_selectorINS0_5tupleIJddEEENS0_10empty_typeEEEZNS1_10merge_implIS3_NS0_12zip_iteratorINS5_IJN6thrust23THRUST_200600_302600_NS6detail15normal_iteratorINSC_10device_ptrIKdEEEESI_EEEEESK_NSA_INS5_IJNSE_INSF_IdEEEESM_EEEEEPS7_SP_SP_NSC_11hip_rocprim7__merge17predicate_wrapperIddNSC_7greaterIdEEEEEE10hipError_tPvRmT0_T1_T2_T3_T4_T5_mmT6_P12ihipStream_tbEUlT_E_NS1_11comp_targetILNS1_3genE9ELNS1_11target_archE1100ELNS1_3gpuE3ELNS1_3repE0EEENS1_30default_config_static_selectorELNS0_4arch9wavefront6targetE0EEEvS10_.numbered_sgpr, 0
	.set _ZN7rocprim17ROCPRIM_400000_NS6detail17trampoline_kernelINS0_14default_configENS1_21merge_config_selectorINS0_5tupleIJddEEENS0_10empty_typeEEEZNS1_10merge_implIS3_NS0_12zip_iteratorINS5_IJN6thrust23THRUST_200600_302600_NS6detail15normal_iteratorINSC_10device_ptrIKdEEEESI_EEEEESK_NSA_INS5_IJNSE_INSF_IdEEEESM_EEEEEPS7_SP_SP_NSC_11hip_rocprim7__merge17predicate_wrapperIddNSC_7greaterIdEEEEEE10hipError_tPvRmT0_T1_T2_T3_T4_T5_mmT6_P12ihipStream_tbEUlT_E_NS1_11comp_targetILNS1_3genE9ELNS1_11target_archE1100ELNS1_3gpuE3ELNS1_3repE0EEENS1_30default_config_static_selectorELNS0_4arch9wavefront6targetE0EEEvS10_.num_named_barrier, 0
	.set _ZN7rocprim17ROCPRIM_400000_NS6detail17trampoline_kernelINS0_14default_configENS1_21merge_config_selectorINS0_5tupleIJddEEENS0_10empty_typeEEEZNS1_10merge_implIS3_NS0_12zip_iteratorINS5_IJN6thrust23THRUST_200600_302600_NS6detail15normal_iteratorINSC_10device_ptrIKdEEEESI_EEEEESK_NSA_INS5_IJNSE_INSF_IdEEEESM_EEEEEPS7_SP_SP_NSC_11hip_rocprim7__merge17predicate_wrapperIddNSC_7greaterIdEEEEEE10hipError_tPvRmT0_T1_T2_T3_T4_T5_mmT6_P12ihipStream_tbEUlT_E_NS1_11comp_targetILNS1_3genE9ELNS1_11target_archE1100ELNS1_3gpuE3ELNS1_3repE0EEENS1_30default_config_static_selectorELNS0_4arch9wavefront6targetE0EEEvS10_.private_seg_size, 0
	.set _ZN7rocprim17ROCPRIM_400000_NS6detail17trampoline_kernelINS0_14default_configENS1_21merge_config_selectorINS0_5tupleIJddEEENS0_10empty_typeEEEZNS1_10merge_implIS3_NS0_12zip_iteratorINS5_IJN6thrust23THRUST_200600_302600_NS6detail15normal_iteratorINSC_10device_ptrIKdEEEESI_EEEEESK_NSA_INS5_IJNSE_INSF_IdEEEESM_EEEEEPS7_SP_SP_NSC_11hip_rocprim7__merge17predicate_wrapperIddNSC_7greaterIdEEEEEE10hipError_tPvRmT0_T1_T2_T3_T4_T5_mmT6_P12ihipStream_tbEUlT_E_NS1_11comp_targetILNS1_3genE9ELNS1_11target_archE1100ELNS1_3gpuE3ELNS1_3repE0EEENS1_30default_config_static_selectorELNS0_4arch9wavefront6targetE0EEEvS10_.uses_vcc, 0
	.set _ZN7rocprim17ROCPRIM_400000_NS6detail17trampoline_kernelINS0_14default_configENS1_21merge_config_selectorINS0_5tupleIJddEEENS0_10empty_typeEEEZNS1_10merge_implIS3_NS0_12zip_iteratorINS5_IJN6thrust23THRUST_200600_302600_NS6detail15normal_iteratorINSC_10device_ptrIKdEEEESI_EEEEESK_NSA_INS5_IJNSE_INSF_IdEEEESM_EEEEEPS7_SP_SP_NSC_11hip_rocprim7__merge17predicate_wrapperIddNSC_7greaterIdEEEEEE10hipError_tPvRmT0_T1_T2_T3_T4_T5_mmT6_P12ihipStream_tbEUlT_E_NS1_11comp_targetILNS1_3genE9ELNS1_11target_archE1100ELNS1_3gpuE3ELNS1_3repE0EEENS1_30default_config_static_selectorELNS0_4arch9wavefront6targetE0EEEvS10_.uses_flat_scratch, 0
	.set _ZN7rocprim17ROCPRIM_400000_NS6detail17trampoline_kernelINS0_14default_configENS1_21merge_config_selectorINS0_5tupleIJddEEENS0_10empty_typeEEEZNS1_10merge_implIS3_NS0_12zip_iteratorINS5_IJN6thrust23THRUST_200600_302600_NS6detail15normal_iteratorINSC_10device_ptrIKdEEEESI_EEEEESK_NSA_INS5_IJNSE_INSF_IdEEEESM_EEEEEPS7_SP_SP_NSC_11hip_rocprim7__merge17predicate_wrapperIddNSC_7greaterIdEEEEEE10hipError_tPvRmT0_T1_T2_T3_T4_T5_mmT6_P12ihipStream_tbEUlT_E_NS1_11comp_targetILNS1_3genE9ELNS1_11target_archE1100ELNS1_3gpuE3ELNS1_3repE0EEENS1_30default_config_static_selectorELNS0_4arch9wavefront6targetE0EEEvS10_.has_dyn_sized_stack, 0
	.set _ZN7rocprim17ROCPRIM_400000_NS6detail17trampoline_kernelINS0_14default_configENS1_21merge_config_selectorINS0_5tupleIJddEEENS0_10empty_typeEEEZNS1_10merge_implIS3_NS0_12zip_iteratorINS5_IJN6thrust23THRUST_200600_302600_NS6detail15normal_iteratorINSC_10device_ptrIKdEEEESI_EEEEESK_NSA_INS5_IJNSE_INSF_IdEEEESM_EEEEEPS7_SP_SP_NSC_11hip_rocprim7__merge17predicate_wrapperIddNSC_7greaterIdEEEEEE10hipError_tPvRmT0_T1_T2_T3_T4_T5_mmT6_P12ihipStream_tbEUlT_E_NS1_11comp_targetILNS1_3genE9ELNS1_11target_archE1100ELNS1_3gpuE3ELNS1_3repE0EEENS1_30default_config_static_selectorELNS0_4arch9wavefront6targetE0EEEvS10_.has_recursion, 0
	.set _ZN7rocprim17ROCPRIM_400000_NS6detail17trampoline_kernelINS0_14default_configENS1_21merge_config_selectorINS0_5tupleIJddEEENS0_10empty_typeEEEZNS1_10merge_implIS3_NS0_12zip_iteratorINS5_IJN6thrust23THRUST_200600_302600_NS6detail15normal_iteratorINSC_10device_ptrIKdEEEESI_EEEEESK_NSA_INS5_IJNSE_INSF_IdEEEESM_EEEEEPS7_SP_SP_NSC_11hip_rocprim7__merge17predicate_wrapperIddNSC_7greaterIdEEEEEE10hipError_tPvRmT0_T1_T2_T3_T4_T5_mmT6_P12ihipStream_tbEUlT_E_NS1_11comp_targetILNS1_3genE9ELNS1_11target_archE1100ELNS1_3gpuE3ELNS1_3repE0EEENS1_30default_config_static_selectorELNS0_4arch9wavefront6targetE0EEEvS10_.has_indirect_call, 0
	.section	.AMDGPU.csdata,"",@progbits
; Kernel info:
; codeLenInByte = 0
; TotalNumSgprs: 0
; NumVgprs: 0
; ScratchSize: 0
; MemoryBound: 0
; FloatMode: 240
; IeeeMode: 1
; LDSByteSize: 0 bytes/workgroup (compile time only)
; SGPRBlocks: 0
; VGPRBlocks: 0
; NumSGPRsForWavesPerEU: 1
; NumVGPRsForWavesPerEU: 1
; NamedBarCnt: 0
; Occupancy: 16
; WaveLimiterHint : 0
; COMPUTE_PGM_RSRC2:SCRATCH_EN: 0
; COMPUTE_PGM_RSRC2:USER_SGPR: 2
; COMPUTE_PGM_RSRC2:TRAP_HANDLER: 0
; COMPUTE_PGM_RSRC2:TGID_X_EN: 1
; COMPUTE_PGM_RSRC2:TGID_Y_EN: 0
; COMPUTE_PGM_RSRC2:TGID_Z_EN: 0
; COMPUTE_PGM_RSRC2:TIDIG_COMP_CNT: 0
	.section	.text._ZN7rocprim17ROCPRIM_400000_NS6detail17trampoline_kernelINS0_14default_configENS1_21merge_config_selectorINS0_5tupleIJddEEENS0_10empty_typeEEEZNS1_10merge_implIS3_NS0_12zip_iteratorINS5_IJN6thrust23THRUST_200600_302600_NS6detail15normal_iteratorINSC_10device_ptrIKdEEEESI_EEEEESK_NSA_INS5_IJNSE_INSF_IdEEEESM_EEEEEPS7_SP_SP_NSC_11hip_rocprim7__merge17predicate_wrapperIddNSC_7greaterIdEEEEEE10hipError_tPvRmT0_T1_T2_T3_T4_T5_mmT6_P12ihipStream_tbEUlT_E_NS1_11comp_targetILNS1_3genE8ELNS1_11target_archE1030ELNS1_3gpuE2ELNS1_3repE0EEENS1_30default_config_static_selectorELNS0_4arch9wavefront6targetE0EEEvS10_,"axG",@progbits,_ZN7rocprim17ROCPRIM_400000_NS6detail17trampoline_kernelINS0_14default_configENS1_21merge_config_selectorINS0_5tupleIJddEEENS0_10empty_typeEEEZNS1_10merge_implIS3_NS0_12zip_iteratorINS5_IJN6thrust23THRUST_200600_302600_NS6detail15normal_iteratorINSC_10device_ptrIKdEEEESI_EEEEESK_NSA_INS5_IJNSE_INSF_IdEEEESM_EEEEEPS7_SP_SP_NSC_11hip_rocprim7__merge17predicate_wrapperIddNSC_7greaterIdEEEEEE10hipError_tPvRmT0_T1_T2_T3_T4_T5_mmT6_P12ihipStream_tbEUlT_E_NS1_11comp_targetILNS1_3genE8ELNS1_11target_archE1030ELNS1_3gpuE2ELNS1_3repE0EEENS1_30default_config_static_selectorELNS0_4arch9wavefront6targetE0EEEvS10_,comdat
	.protected	_ZN7rocprim17ROCPRIM_400000_NS6detail17trampoline_kernelINS0_14default_configENS1_21merge_config_selectorINS0_5tupleIJddEEENS0_10empty_typeEEEZNS1_10merge_implIS3_NS0_12zip_iteratorINS5_IJN6thrust23THRUST_200600_302600_NS6detail15normal_iteratorINSC_10device_ptrIKdEEEESI_EEEEESK_NSA_INS5_IJNSE_INSF_IdEEEESM_EEEEEPS7_SP_SP_NSC_11hip_rocprim7__merge17predicate_wrapperIddNSC_7greaterIdEEEEEE10hipError_tPvRmT0_T1_T2_T3_T4_T5_mmT6_P12ihipStream_tbEUlT_E_NS1_11comp_targetILNS1_3genE8ELNS1_11target_archE1030ELNS1_3gpuE2ELNS1_3repE0EEENS1_30default_config_static_selectorELNS0_4arch9wavefront6targetE0EEEvS10_ ; -- Begin function _ZN7rocprim17ROCPRIM_400000_NS6detail17trampoline_kernelINS0_14default_configENS1_21merge_config_selectorINS0_5tupleIJddEEENS0_10empty_typeEEEZNS1_10merge_implIS3_NS0_12zip_iteratorINS5_IJN6thrust23THRUST_200600_302600_NS6detail15normal_iteratorINSC_10device_ptrIKdEEEESI_EEEEESK_NSA_INS5_IJNSE_INSF_IdEEEESM_EEEEEPS7_SP_SP_NSC_11hip_rocprim7__merge17predicate_wrapperIddNSC_7greaterIdEEEEEE10hipError_tPvRmT0_T1_T2_T3_T4_T5_mmT6_P12ihipStream_tbEUlT_E_NS1_11comp_targetILNS1_3genE8ELNS1_11target_archE1030ELNS1_3gpuE2ELNS1_3repE0EEENS1_30default_config_static_selectorELNS0_4arch9wavefront6targetE0EEEvS10_
	.globl	_ZN7rocprim17ROCPRIM_400000_NS6detail17trampoline_kernelINS0_14default_configENS1_21merge_config_selectorINS0_5tupleIJddEEENS0_10empty_typeEEEZNS1_10merge_implIS3_NS0_12zip_iteratorINS5_IJN6thrust23THRUST_200600_302600_NS6detail15normal_iteratorINSC_10device_ptrIKdEEEESI_EEEEESK_NSA_INS5_IJNSE_INSF_IdEEEESM_EEEEEPS7_SP_SP_NSC_11hip_rocprim7__merge17predicate_wrapperIddNSC_7greaterIdEEEEEE10hipError_tPvRmT0_T1_T2_T3_T4_T5_mmT6_P12ihipStream_tbEUlT_E_NS1_11comp_targetILNS1_3genE8ELNS1_11target_archE1030ELNS1_3gpuE2ELNS1_3repE0EEENS1_30default_config_static_selectorELNS0_4arch9wavefront6targetE0EEEvS10_
	.p2align	8
	.type	_ZN7rocprim17ROCPRIM_400000_NS6detail17trampoline_kernelINS0_14default_configENS1_21merge_config_selectorINS0_5tupleIJddEEENS0_10empty_typeEEEZNS1_10merge_implIS3_NS0_12zip_iteratorINS5_IJN6thrust23THRUST_200600_302600_NS6detail15normal_iteratorINSC_10device_ptrIKdEEEESI_EEEEESK_NSA_INS5_IJNSE_INSF_IdEEEESM_EEEEEPS7_SP_SP_NSC_11hip_rocprim7__merge17predicate_wrapperIddNSC_7greaterIdEEEEEE10hipError_tPvRmT0_T1_T2_T3_T4_T5_mmT6_P12ihipStream_tbEUlT_E_NS1_11comp_targetILNS1_3genE8ELNS1_11target_archE1030ELNS1_3gpuE2ELNS1_3repE0EEENS1_30default_config_static_selectorELNS0_4arch9wavefront6targetE0EEEvS10_,@function
_ZN7rocprim17ROCPRIM_400000_NS6detail17trampoline_kernelINS0_14default_configENS1_21merge_config_selectorINS0_5tupleIJddEEENS0_10empty_typeEEEZNS1_10merge_implIS3_NS0_12zip_iteratorINS5_IJN6thrust23THRUST_200600_302600_NS6detail15normal_iteratorINSC_10device_ptrIKdEEEESI_EEEEESK_NSA_INS5_IJNSE_INSF_IdEEEESM_EEEEEPS7_SP_SP_NSC_11hip_rocprim7__merge17predicate_wrapperIddNSC_7greaterIdEEEEEE10hipError_tPvRmT0_T1_T2_T3_T4_T5_mmT6_P12ihipStream_tbEUlT_E_NS1_11comp_targetILNS1_3genE8ELNS1_11target_archE1030ELNS1_3gpuE2ELNS1_3repE0EEENS1_30default_config_static_selectorELNS0_4arch9wavefront6targetE0EEEvS10_: ; @_ZN7rocprim17ROCPRIM_400000_NS6detail17trampoline_kernelINS0_14default_configENS1_21merge_config_selectorINS0_5tupleIJddEEENS0_10empty_typeEEEZNS1_10merge_implIS3_NS0_12zip_iteratorINS5_IJN6thrust23THRUST_200600_302600_NS6detail15normal_iteratorINSC_10device_ptrIKdEEEESI_EEEEESK_NSA_INS5_IJNSE_INSF_IdEEEESM_EEEEEPS7_SP_SP_NSC_11hip_rocprim7__merge17predicate_wrapperIddNSC_7greaterIdEEEEEE10hipError_tPvRmT0_T1_T2_T3_T4_T5_mmT6_P12ihipStream_tbEUlT_E_NS1_11comp_targetILNS1_3genE8ELNS1_11target_archE1030ELNS1_3gpuE2ELNS1_3repE0EEENS1_30default_config_static_selectorELNS0_4arch9wavefront6targetE0EEEvS10_
; %bb.0:
	.section	.rodata,"a",@progbits
	.p2align	6, 0x0
	.amdhsa_kernel _ZN7rocprim17ROCPRIM_400000_NS6detail17trampoline_kernelINS0_14default_configENS1_21merge_config_selectorINS0_5tupleIJddEEENS0_10empty_typeEEEZNS1_10merge_implIS3_NS0_12zip_iteratorINS5_IJN6thrust23THRUST_200600_302600_NS6detail15normal_iteratorINSC_10device_ptrIKdEEEESI_EEEEESK_NSA_INS5_IJNSE_INSF_IdEEEESM_EEEEEPS7_SP_SP_NSC_11hip_rocprim7__merge17predicate_wrapperIddNSC_7greaterIdEEEEEE10hipError_tPvRmT0_T1_T2_T3_T4_T5_mmT6_P12ihipStream_tbEUlT_E_NS1_11comp_targetILNS1_3genE8ELNS1_11target_archE1030ELNS1_3gpuE2ELNS1_3repE0EEENS1_30default_config_static_selectorELNS0_4arch9wavefront6targetE0EEEvS10_
		.amdhsa_group_segment_fixed_size 0
		.amdhsa_private_segment_fixed_size 0
		.amdhsa_kernarg_size 64
		.amdhsa_user_sgpr_count 2
		.amdhsa_user_sgpr_dispatch_ptr 0
		.amdhsa_user_sgpr_queue_ptr 0
		.amdhsa_user_sgpr_kernarg_segment_ptr 1
		.amdhsa_user_sgpr_dispatch_id 0
		.amdhsa_user_sgpr_kernarg_preload_length 0
		.amdhsa_user_sgpr_kernarg_preload_offset 0
		.amdhsa_user_sgpr_private_segment_size 0
		.amdhsa_wavefront_size32 1
		.amdhsa_uses_dynamic_stack 0
		.amdhsa_enable_private_segment 0
		.amdhsa_system_sgpr_workgroup_id_x 1
		.amdhsa_system_sgpr_workgroup_id_y 0
		.amdhsa_system_sgpr_workgroup_id_z 0
		.amdhsa_system_sgpr_workgroup_info 0
		.amdhsa_system_vgpr_workitem_id 0
		.amdhsa_next_free_vgpr 1
		.amdhsa_next_free_sgpr 1
		.amdhsa_named_barrier_count 0
		.amdhsa_reserve_vcc 0
		.amdhsa_float_round_mode_32 0
		.amdhsa_float_round_mode_16_64 0
		.amdhsa_float_denorm_mode_32 3
		.amdhsa_float_denorm_mode_16_64 3
		.amdhsa_fp16_overflow 0
		.amdhsa_memory_ordered 1
		.amdhsa_forward_progress 1
		.amdhsa_inst_pref_size 0
		.amdhsa_round_robin_scheduling 0
		.amdhsa_exception_fp_ieee_invalid_op 0
		.amdhsa_exception_fp_denorm_src 0
		.amdhsa_exception_fp_ieee_div_zero 0
		.amdhsa_exception_fp_ieee_overflow 0
		.amdhsa_exception_fp_ieee_underflow 0
		.amdhsa_exception_fp_ieee_inexact 0
		.amdhsa_exception_int_div_zero 0
	.end_amdhsa_kernel
	.section	.text._ZN7rocprim17ROCPRIM_400000_NS6detail17trampoline_kernelINS0_14default_configENS1_21merge_config_selectorINS0_5tupleIJddEEENS0_10empty_typeEEEZNS1_10merge_implIS3_NS0_12zip_iteratorINS5_IJN6thrust23THRUST_200600_302600_NS6detail15normal_iteratorINSC_10device_ptrIKdEEEESI_EEEEESK_NSA_INS5_IJNSE_INSF_IdEEEESM_EEEEEPS7_SP_SP_NSC_11hip_rocprim7__merge17predicate_wrapperIddNSC_7greaterIdEEEEEE10hipError_tPvRmT0_T1_T2_T3_T4_T5_mmT6_P12ihipStream_tbEUlT_E_NS1_11comp_targetILNS1_3genE8ELNS1_11target_archE1030ELNS1_3gpuE2ELNS1_3repE0EEENS1_30default_config_static_selectorELNS0_4arch9wavefront6targetE0EEEvS10_,"axG",@progbits,_ZN7rocprim17ROCPRIM_400000_NS6detail17trampoline_kernelINS0_14default_configENS1_21merge_config_selectorINS0_5tupleIJddEEENS0_10empty_typeEEEZNS1_10merge_implIS3_NS0_12zip_iteratorINS5_IJN6thrust23THRUST_200600_302600_NS6detail15normal_iteratorINSC_10device_ptrIKdEEEESI_EEEEESK_NSA_INS5_IJNSE_INSF_IdEEEESM_EEEEEPS7_SP_SP_NSC_11hip_rocprim7__merge17predicate_wrapperIddNSC_7greaterIdEEEEEE10hipError_tPvRmT0_T1_T2_T3_T4_T5_mmT6_P12ihipStream_tbEUlT_E_NS1_11comp_targetILNS1_3genE8ELNS1_11target_archE1030ELNS1_3gpuE2ELNS1_3repE0EEENS1_30default_config_static_selectorELNS0_4arch9wavefront6targetE0EEEvS10_,comdat
.Lfunc_end325:
	.size	_ZN7rocprim17ROCPRIM_400000_NS6detail17trampoline_kernelINS0_14default_configENS1_21merge_config_selectorINS0_5tupleIJddEEENS0_10empty_typeEEEZNS1_10merge_implIS3_NS0_12zip_iteratorINS5_IJN6thrust23THRUST_200600_302600_NS6detail15normal_iteratorINSC_10device_ptrIKdEEEESI_EEEEESK_NSA_INS5_IJNSE_INSF_IdEEEESM_EEEEEPS7_SP_SP_NSC_11hip_rocprim7__merge17predicate_wrapperIddNSC_7greaterIdEEEEEE10hipError_tPvRmT0_T1_T2_T3_T4_T5_mmT6_P12ihipStream_tbEUlT_E_NS1_11comp_targetILNS1_3genE8ELNS1_11target_archE1030ELNS1_3gpuE2ELNS1_3repE0EEENS1_30default_config_static_selectorELNS0_4arch9wavefront6targetE0EEEvS10_, .Lfunc_end325-_ZN7rocprim17ROCPRIM_400000_NS6detail17trampoline_kernelINS0_14default_configENS1_21merge_config_selectorINS0_5tupleIJddEEENS0_10empty_typeEEEZNS1_10merge_implIS3_NS0_12zip_iteratorINS5_IJN6thrust23THRUST_200600_302600_NS6detail15normal_iteratorINSC_10device_ptrIKdEEEESI_EEEEESK_NSA_INS5_IJNSE_INSF_IdEEEESM_EEEEEPS7_SP_SP_NSC_11hip_rocprim7__merge17predicate_wrapperIddNSC_7greaterIdEEEEEE10hipError_tPvRmT0_T1_T2_T3_T4_T5_mmT6_P12ihipStream_tbEUlT_E_NS1_11comp_targetILNS1_3genE8ELNS1_11target_archE1030ELNS1_3gpuE2ELNS1_3repE0EEENS1_30default_config_static_selectorELNS0_4arch9wavefront6targetE0EEEvS10_
                                        ; -- End function
	.set _ZN7rocprim17ROCPRIM_400000_NS6detail17trampoline_kernelINS0_14default_configENS1_21merge_config_selectorINS0_5tupleIJddEEENS0_10empty_typeEEEZNS1_10merge_implIS3_NS0_12zip_iteratorINS5_IJN6thrust23THRUST_200600_302600_NS6detail15normal_iteratorINSC_10device_ptrIKdEEEESI_EEEEESK_NSA_INS5_IJNSE_INSF_IdEEEESM_EEEEEPS7_SP_SP_NSC_11hip_rocprim7__merge17predicate_wrapperIddNSC_7greaterIdEEEEEE10hipError_tPvRmT0_T1_T2_T3_T4_T5_mmT6_P12ihipStream_tbEUlT_E_NS1_11comp_targetILNS1_3genE8ELNS1_11target_archE1030ELNS1_3gpuE2ELNS1_3repE0EEENS1_30default_config_static_selectorELNS0_4arch9wavefront6targetE0EEEvS10_.num_vgpr, 0
	.set _ZN7rocprim17ROCPRIM_400000_NS6detail17trampoline_kernelINS0_14default_configENS1_21merge_config_selectorINS0_5tupleIJddEEENS0_10empty_typeEEEZNS1_10merge_implIS3_NS0_12zip_iteratorINS5_IJN6thrust23THRUST_200600_302600_NS6detail15normal_iteratorINSC_10device_ptrIKdEEEESI_EEEEESK_NSA_INS5_IJNSE_INSF_IdEEEESM_EEEEEPS7_SP_SP_NSC_11hip_rocprim7__merge17predicate_wrapperIddNSC_7greaterIdEEEEEE10hipError_tPvRmT0_T1_T2_T3_T4_T5_mmT6_P12ihipStream_tbEUlT_E_NS1_11comp_targetILNS1_3genE8ELNS1_11target_archE1030ELNS1_3gpuE2ELNS1_3repE0EEENS1_30default_config_static_selectorELNS0_4arch9wavefront6targetE0EEEvS10_.num_agpr, 0
	.set _ZN7rocprim17ROCPRIM_400000_NS6detail17trampoline_kernelINS0_14default_configENS1_21merge_config_selectorINS0_5tupleIJddEEENS0_10empty_typeEEEZNS1_10merge_implIS3_NS0_12zip_iteratorINS5_IJN6thrust23THRUST_200600_302600_NS6detail15normal_iteratorINSC_10device_ptrIKdEEEESI_EEEEESK_NSA_INS5_IJNSE_INSF_IdEEEESM_EEEEEPS7_SP_SP_NSC_11hip_rocprim7__merge17predicate_wrapperIddNSC_7greaterIdEEEEEE10hipError_tPvRmT0_T1_T2_T3_T4_T5_mmT6_P12ihipStream_tbEUlT_E_NS1_11comp_targetILNS1_3genE8ELNS1_11target_archE1030ELNS1_3gpuE2ELNS1_3repE0EEENS1_30default_config_static_selectorELNS0_4arch9wavefront6targetE0EEEvS10_.numbered_sgpr, 0
	.set _ZN7rocprim17ROCPRIM_400000_NS6detail17trampoline_kernelINS0_14default_configENS1_21merge_config_selectorINS0_5tupleIJddEEENS0_10empty_typeEEEZNS1_10merge_implIS3_NS0_12zip_iteratorINS5_IJN6thrust23THRUST_200600_302600_NS6detail15normal_iteratorINSC_10device_ptrIKdEEEESI_EEEEESK_NSA_INS5_IJNSE_INSF_IdEEEESM_EEEEEPS7_SP_SP_NSC_11hip_rocprim7__merge17predicate_wrapperIddNSC_7greaterIdEEEEEE10hipError_tPvRmT0_T1_T2_T3_T4_T5_mmT6_P12ihipStream_tbEUlT_E_NS1_11comp_targetILNS1_3genE8ELNS1_11target_archE1030ELNS1_3gpuE2ELNS1_3repE0EEENS1_30default_config_static_selectorELNS0_4arch9wavefront6targetE0EEEvS10_.num_named_barrier, 0
	.set _ZN7rocprim17ROCPRIM_400000_NS6detail17trampoline_kernelINS0_14default_configENS1_21merge_config_selectorINS0_5tupleIJddEEENS0_10empty_typeEEEZNS1_10merge_implIS3_NS0_12zip_iteratorINS5_IJN6thrust23THRUST_200600_302600_NS6detail15normal_iteratorINSC_10device_ptrIKdEEEESI_EEEEESK_NSA_INS5_IJNSE_INSF_IdEEEESM_EEEEEPS7_SP_SP_NSC_11hip_rocprim7__merge17predicate_wrapperIddNSC_7greaterIdEEEEEE10hipError_tPvRmT0_T1_T2_T3_T4_T5_mmT6_P12ihipStream_tbEUlT_E_NS1_11comp_targetILNS1_3genE8ELNS1_11target_archE1030ELNS1_3gpuE2ELNS1_3repE0EEENS1_30default_config_static_selectorELNS0_4arch9wavefront6targetE0EEEvS10_.private_seg_size, 0
	.set _ZN7rocprim17ROCPRIM_400000_NS6detail17trampoline_kernelINS0_14default_configENS1_21merge_config_selectorINS0_5tupleIJddEEENS0_10empty_typeEEEZNS1_10merge_implIS3_NS0_12zip_iteratorINS5_IJN6thrust23THRUST_200600_302600_NS6detail15normal_iteratorINSC_10device_ptrIKdEEEESI_EEEEESK_NSA_INS5_IJNSE_INSF_IdEEEESM_EEEEEPS7_SP_SP_NSC_11hip_rocprim7__merge17predicate_wrapperIddNSC_7greaterIdEEEEEE10hipError_tPvRmT0_T1_T2_T3_T4_T5_mmT6_P12ihipStream_tbEUlT_E_NS1_11comp_targetILNS1_3genE8ELNS1_11target_archE1030ELNS1_3gpuE2ELNS1_3repE0EEENS1_30default_config_static_selectorELNS0_4arch9wavefront6targetE0EEEvS10_.uses_vcc, 0
	.set _ZN7rocprim17ROCPRIM_400000_NS6detail17trampoline_kernelINS0_14default_configENS1_21merge_config_selectorINS0_5tupleIJddEEENS0_10empty_typeEEEZNS1_10merge_implIS3_NS0_12zip_iteratorINS5_IJN6thrust23THRUST_200600_302600_NS6detail15normal_iteratorINSC_10device_ptrIKdEEEESI_EEEEESK_NSA_INS5_IJNSE_INSF_IdEEEESM_EEEEEPS7_SP_SP_NSC_11hip_rocprim7__merge17predicate_wrapperIddNSC_7greaterIdEEEEEE10hipError_tPvRmT0_T1_T2_T3_T4_T5_mmT6_P12ihipStream_tbEUlT_E_NS1_11comp_targetILNS1_3genE8ELNS1_11target_archE1030ELNS1_3gpuE2ELNS1_3repE0EEENS1_30default_config_static_selectorELNS0_4arch9wavefront6targetE0EEEvS10_.uses_flat_scratch, 0
	.set _ZN7rocprim17ROCPRIM_400000_NS6detail17trampoline_kernelINS0_14default_configENS1_21merge_config_selectorINS0_5tupleIJddEEENS0_10empty_typeEEEZNS1_10merge_implIS3_NS0_12zip_iteratorINS5_IJN6thrust23THRUST_200600_302600_NS6detail15normal_iteratorINSC_10device_ptrIKdEEEESI_EEEEESK_NSA_INS5_IJNSE_INSF_IdEEEESM_EEEEEPS7_SP_SP_NSC_11hip_rocprim7__merge17predicate_wrapperIddNSC_7greaterIdEEEEEE10hipError_tPvRmT0_T1_T2_T3_T4_T5_mmT6_P12ihipStream_tbEUlT_E_NS1_11comp_targetILNS1_3genE8ELNS1_11target_archE1030ELNS1_3gpuE2ELNS1_3repE0EEENS1_30default_config_static_selectorELNS0_4arch9wavefront6targetE0EEEvS10_.has_dyn_sized_stack, 0
	.set _ZN7rocprim17ROCPRIM_400000_NS6detail17trampoline_kernelINS0_14default_configENS1_21merge_config_selectorINS0_5tupleIJddEEENS0_10empty_typeEEEZNS1_10merge_implIS3_NS0_12zip_iteratorINS5_IJN6thrust23THRUST_200600_302600_NS6detail15normal_iteratorINSC_10device_ptrIKdEEEESI_EEEEESK_NSA_INS5_IJNSE_INSF_IdEEEESM_EEEEEPS7_SP_SP_NSC_11hip_rocprim7__merge17predicate_wrapperIddNSC_7greaterIdEEEEEE10hipError_tPvRmT0_T1_T2_T3_T4_T5_mmT6_P12ihipStream_tbEUlT_E_NS1_11comp_targetILNS1_3genE8ELNS1_11target_archE1030ELNS1_3gpuE2ELNS1_3repE0EEENS1_30default_config_static_selectorELNS0_4arch9wavefront6targetE0EEEvS10_.has_recursion, 0
	.set _ZN7rocprim17ROCPRIM_400000_NS6detail17trampoline_kernelINS0_14default_configENS1_21merge_config_selectorINS0_5tupleIJddEEENS0_10empty_typeEEEZNS1_10merge_implIS3_NS0_12zip_iteratorINS5_IJN6thrust23THRUST_200600_302600_NS6detail15normal_iteratorINSC_10device_ptrIKdEEEESI_EEEEESK_NSA_INS5_IJNSE_INSF_IdEEEESM_EEEEEPS7_SP_SP_NSC_11hip_rocprim7__merge17predicate_wrapperIddNSC_7greaterIdEEEEEE10hipError_tPvRmT0_T1_T2_T3_T4_T5_mmT6_P12ihipStream_tbEUlT_E_NS1_11comp_targetILNS1_3genE8ELNS1_11target_archE1030ELNS1_3gpuE2ELNS1_3repE0EEENS1_30default_config_static_selectorELNS0_4arch9wavefront6targetE0EEEvS10_.has_indirect_call, 0
	.section	.AMDGPU.csdata,"",@progbits
; Kernel info:
; codeLenInByte = 0
; TotalNumSgprs: 0
; NumVgprs: 0
; ScratchSize: 0
; MemoryBound: 0
; FloatMode: 240
; IeeeMode: 1
; LDSByteSize: 0 bytes/workgroup (compile time only)
; SGPRBlocks: 0
; VGPRBlocks: 0
; NumSGPRsForWavesPerEU: 1
; NumVGPRsForWavesPerEU: 1
; NamedBarCnt: 0
; Occupancy: 16
; WaveLimiterHint : 0
; COMPUTE_PGM_RSRC2:SCRATCH_EN: 0
; COMPUTE_PGM_RSRC2:USER_SGPR: 2
; COMPUTE_PGM_RSRC2:TRAP_HANDLER: 0
; COMPUTE_PGM_RSRC2:TGID_X_EN: 1
; COMPUTE_PGM_RSRC2:TGID_Y_EN: 0
; COMPUTE_PGM_RSRC2:TGID_Z_EN: 0
; COMPUTE_PGM_RSRC2:TIDIG_COMP_CNT: 0
	.section	.text._ZN7rocprim17ROCPRIM_400000_NS6detail17trampoline_kernelINS0_14default_configENS1_21merge_config_selectorINS0_5tupleIJddEEENS0_10empty_typeEEEZNS1_10merge_implIS3_NS0_12zip_iteratorINS5_IJN6thrust23THRUST_200600_302600_NS6detail15normal_iteratorINSC_10device_ptrIKdEEEESI_EEEEESK_NSA_INS5_IJNSE_INSF_IdEEEESM_EEEEEPS7_SP_SP_NSC_11hip_rocprim7__merge17predicate_wrapperIddNSC_7greaterIdEEEEEE10hipError_tPvRmT0_T1_T2_T3_T4_T5_mmT6_P12ihipStream_tbEUlT_E0_NS1_11comp_targetILNS1_3genE0ELNS1_11target_archE4294967295ELNS1_3gpuE0ELNS1_3repE0EEENS1_30default_config_static_selectorELNS0_4arch9wavefront6targetE0EEEvS10_,"axG",@progbits,_ZN7rocprim17ROCPRIM_400000_NS6detail17trampoline_kernelINS0_14default_configENS1_21merge_config_selectorINS0_5tupleIJddEEENS0_10empty_typeEEEZNS1_10merge_implIS3_NS0_12zip_iteratorINS5_IJN6thrust23THRUST_200600_302600_NS6detail15normal_iteratorINSC_10device_ptrIKdEEEESI_EEEEESK_NSA_INS5_IJNSE_INSF_IdEEEESM_EEEEEPS7_SP_SP_NSC_11hip_rocprim7__merge17predicate_wrapperIddNSC_7greaterIdEEEEEE10hipError_tPvRmT0_T1_T2_T3_T4_T5_mmT6_P12ihipStream_tbEUlT_E0_NS1_11comp_targetILNS1_3genE0ELNS1_11target_archE4294967295ELNS1_3gpuE0ELNS1_3repE0EEENS1_30default_config_static_selectorELNS0_4arch9wavefront6targetE0EEEvS10_,comdat
	.protected	_ZN7rocprim17ROCPRIM_400000_NS6detail17trampoline_kernelINS0_14default_configENS1_21merge_config_selectorINS0_5tupleIJddEEENS0_10empty_typeEEEZNS1_10merge_implIS3_NS0_12zip_iteratorINS5_IJN6thrust23THRUST_200600_302600_NS6detail15normal_iteratorINSC_10device_ptrIKdEEEESI_EEEEESK_NSA_INS5_IJNSE_INSF_IdEEEESM_EEEEEPS7_SP_SP_NSC_11hip_rocprim7__merge17predicate_wrapperIddNSC_7greaterIdEEEEEE10hipError_tPvRmT0_T1_T2_T3_T4_T5_mmT6_P12ihipStream_tbEUlT_E0_NS1_11comp_targetILNS1_3genE0ELNS1_11target_archE4294967295ELNS1_3gpuE0ELNS1_3repE0EEENS1_30default_config_static_selectorELNS0_4arch9wavefront6targetE0EEEvS10_ ; -- Begin function _ZN7rocprim17ROCPRIM_400000_NS6detail17trampoline_kernelINS0_14default_configENS1_21merge_config_selectorINS0_5tupleIJddEEENS0_10empty_typeEEEZNS1_10merge_implIS3_NS0_12zip_iteratorINS5_IJN6thrust23THRUST_200600_302600_NS6detail15normal_iteratorINSC_10device_ptrIKdEEEESI_EEEEESK_NSA_INS5_IJNSE_INSF_IdEEEESM_EEEEEPS7_SP_SP_NSC_11hip_rocprim7__merge17predicate_wrapperIddNSC_7greaterIdEEEEEE10hipError_tPvRmT0_T1_T2_T3_T4_T5_mmT6_P12ihipStream_tbEUlT_E0_NS1_11comp_targetILNS1_3genE0ELNS1_11target_archE4294967295ELNS1_3gpuE0ELNS1_3repE0EEENS1_30default_config_static_selectorELNS0_4arch9wavefront6targetE0EEEvS10_
	.globl	_ZN7rocprim17ROCPRIM_400000_NS6detail17trampoline_kernelINS0_14default_configENS1_21merge_config_selectorINS0_5tupleIJddEEENS0_10empty_typeEEEZNS1_10merge_implIS3_NS0_12zip_iteratorINS5_IJN6thrust23THRUST_200600_302600_NS6detail15normal_iteratorINSC_10device_ptrIKdEEEESI_EEEEESK_NSA_INS5_IJNSE_INSF_IdEEEESM_EEEEEPS7_SP_SP_NSC_11hip_rocprim7__merge17predicate_wrapperIddNSC_7greaterIdEEEEEE10hipError_tPvRmT0_T1_T2_T3_T4_T5_mmT6_P12ihipStream_tbEUlT_E0_NS1_11comp_targetILNS1_3genE0ELNS1_11target_archE4294967295ELNS1_3gpuE0ELNS1_3repE0EEENS1_30default_config_static_selectorELNS0_4arch9wavefront6targetE0EEEvS10_
	.p2align	8
	.type	_ZN7rocprim17ROCPRIM_400000_NS6detail17trampoline_kernelINS0_14default_configENS1_21merge_config_selectorINS0_5tupleIJddEEENS0_10empty_typeEEEZNS1_10merge_implIS3_NS0_12zip_iteratorINS5_IJN6thrust23THRUST_200600_302600_NS6detail15normal_iteratorINSC_10device_ptrIKdEEEESI_EEEEESK_NSA_INS5_IJNSE_INSF_IdEEEESM_EEEEEPS7_SP_SP_NSC_11hip_rocprim7__merge17predicate_wrapperIddNSC_7greaterIdEEEEEE10hipError_tPvRmT0_T1_T2_T3_T4_T5_mmT6_P12ihipStream_tbEUlT_E0_NS1_11comp_targetILNS1_3genE0ELNS1_11target_archE4294967295ELNS1_3gpuE0ELNS1_3repE0EEENS1_30default_config_static_selectorELNS0_4arch9wavefront6targetE0EEEvS10_,@function
_ZN7rocprim17ROCPRIM_400000_NS6detail17trampoline_kernelINS0_14default_configENS1_21merge_config_selectorINS0_5tupleIJddEEENS0_10empty_typeEEEZNS1_10merge_implIS3_NS0_12zip_iteratorINS5_IJN6thrust23THRUST_200600_302600_NS6detail15normal_iteratorINSC_10device_ptrIKdEEEESI_EEEEESK_NSA_INS5_IJNSE_INSF_IdEEEESM_EEEEEPS7_SP_SP_NSC_11hip_rocprim7__merge17predicate_wrapperIddNSC_7greaterIdEEEEEE10hipError_tPvRmT0_T1_T2_T3_T4_T5_mmT6_P12ihipStream_tbEUlT_E0_NS1_11comp_targetILNS1_3genE0ELNS1_11target_archE4294967295ELNS1_3gpuE0ELNS1_3repE0EEENS1_30default_config_static_selectorELNS0_4arch9wavefront6targetE0EEEvS10_: ; @_ZN7rocprim17ROCPRIM_400000_NS6detail17trampoline_kernelINS0_14default_configENS1_21merge_config_selectorINS0_5tupleIJddEEENS0_10empty_typeEEEZNS1_10merge_implIS3_NS0_12zip_iteratorINS5_IJN6thrust23THRUST_200600_302600_NS6detail15normal_iteratorINSC_10device_ptrIKdEEEESI_EEEEESK_NSA_INS5_IJNSE_INSF_IdEEEESM_EEEEEPS7_SP_SP_NSC_11hip_rocprim7__merge17predicate_wrapperIddNSC_7greaterIdEEEEEE10hipError_tPvRmT0_T1_T2_T3_T4_T5_mmT6_P12ihipStream_tbEUlT_E0_NS1_11comp_targetILNS1_3genE0ELNS1_11target_archE4294967295ELNS1_3gpuE0ELNS1_3repE0EEENS1_30default_config_static_selectorELNS0_4arch9wavefront6targetE0EEEvS10_
; %bb.0:
	s_clause 0x1
	s_load_b128 s[12:15], s[0:1], 0x58
	s_load_b256 s[4:11], s[0:1], 0x8
	s_bfe_u32 s2, ttmp6, 0x4000c
	s_and_b32 s3, ttmp6, 15
	s_add_co_i32 s2, s2, 1
	s_wait_kmcnt 0x0
	s_getreg_b32 s13, hwreg(HW_REG_IB_STS2, 6, 4)
	s_mul_i32 s2, ttmp9, s2
	v_mov_b32_e32 v1, 0
	s_add_co_i32 s3, s3, s2
	s_cmp_eq_u32 s13, 0
	s_cselect_b32 s16, ttmp9, s3
	s_delay_alu instid0(SALU_CYCLE_1) | instskip(SKIP_1) | instid1(SALU_CYCLE_1)
	s_add_co_i32 s3, s16, 1
	s_add_co_i32 s24, s14, s12
	;; [unrolled: 1-line block ×3, first 2 shown]
	s_delay_alu instid0(SALU_CYCLE_1) | instskip(NEXT) | instid1(SALU_CYCLE_1)
	s_lshr_b32 s2, s2, 10
	s_min_u32 s17, s16, s2
	s_min_u32 s3, s3, s2
	s_clause 0x1
	s_load_b32 s2, s[4:5], s17 offset:0x0 scale_offset
	s_load_b32 s20, s[4:5], s3 offset:0x0 scale_offset
	s_load_b128 s[12:15], s[0:1], 0x28
	s_wait_xcnt 0x0
	s_mov_b32 s3, 0
	s_lshl_b32 s4, s16, 10
	s_mov_b32 s17, s3
	s_add_co_i32 s5, s4, 0x400
	s_delay_alu instid0(SALU_CYCLE_1)
	s_min_u32 s5, s24, s5
	s_wait_kmcnt 0x0
	s_sub_co_i32 s16, s4, s2
	s_lshl_b64 s[22:23], s[2:3], 3
	s_sub_co_i32 s2, s20, s2
	s_lshl_b64 s[18:19], s[16:17], 3
	s_add_co_i32 s20, s16, s20
	s_add_nc_u64 s[16:17], s[10:11], s[18:19]
	s_sub_co_i32 s10, s5, s20
	s_mov_b32 s11, s3
	s_add_nc_u64 s[12:13], s[12:13], s[18:19]
	s_add_nc_u64 s[20:21], s[10:11], s[2:3]
	s_mov_b32 s5, exec_lo
	v_cmpx_le_u32_e64 s2, v0
	s_xor_b32 s5, exec_lo, s5
	s_cbranch_execz .LBB326_4
; %bb.1:
	s_mov_b32 s11, exec_lo
	v_cmpx_gt_u64_e64 s[20:21], v[0:1]
	s_cbranch_execz .LBB326_3
; %bb.2:
	v_subrev_nc_u32_e32 v6, s2, v0
	s_clause 0x1
	global_load_b64 v[2:3], v6, s[16:17] scale_offset
	global_load_b64 v[4:5], v6, s[12:13] scale_offset
	s_wait_xcnt 0x0
	v_lshlrev_b32_e32 v6, 4, v0
	s_wait_loadcnt 0x0
	ds_store_b128 v6, v[2:5]
.LBB326_3:
	s_or_b32 exec_lo, exec_lo, s11
.LBB326_4:
	s_or_saveexec_b32 s5, s5
	v_lshlrev_b32_e32 v16, 4, v0
	s_add_nc_u64 s[18:19], s[6:7], s[22:23]
	s_add_nc_u64 s[8:9], s[8:9], s[22:23]
	s_xor_b32 exec_lo, exec_lo, s5
	s_cbranch_execz .LBB326_6
; %bb.5:
	s_clause 0x1
	global_load_b64 v[2:3], v0, s[18:19] scale_offset
	global_load_b64 v[4:5], v0, s[8:9] scale_offset
	s_wait_loadcnt 0x0
	ds_store_b128 v16, v[2:5]
.LBB326_6:
	s_or_b32 exec_lo, exec_lo, s5
	v_or_b32_e32 v14, 0x200, v0
	v_mov_b32_e32 v15, 0
	s_mov_b32 s5, exec_lo
	s_delay_alu instid0(VALU_DEP_2)
	v_cmpx_le_u32_e64 s2, v14
	s_xor_b32 s5, exec_lo, s5
	s_cbranch_execz .LBB326_10
; %bb.7:
	s_mov_b32 s6, exec_lo
	v_cmpx_gt_u64_e64 s[20:21], v[14:15]
	s_cbranch_execz .LBB326_9
; %bb.8:
	v_sub_nc_u64_e64 v[2:3], v[0:1], s[2:3]
	s_delay_alu instid0(VALU_DEP_1) | instskip(NEXT) | instid1(VALU_DEP_1)
	v_lshlrev_b64_e32 v[2:3], 3, v[2:3]
	v_add_nc_u64_e32 v[6:7], s[16:17], v[2:3]
	v_add_nc_u64_e32 v[8:9], s[12:13], v[2:3]
	global_load_b64 v[2:3], v[6:7], off offset:4096
	global_load_b64 v[4:5], v[8:9], off offset:4096
	s_wait_loadcnt 0x0
	ds_store_b128 v16, v[2:5] offset:8192
.LBB326_9:
	s_or_b32 exec_lo, exec_lo, s6
.LBB326_10:
	s_or_saveexec_b32 s3, s5
	s_load_b64 s[6:7], s[0:1], 0x38
	s_xor_b32 exec_lo, exec_lo, s3
	s_cbranch_execz .LBB326_12
; %bb.11:
	s_clause 0x1
	global_load_b64 v[2:3], v0, s[18:19] offset:4096 scale_offset
	global_load_b64 v[4:5], v0, s[8:9] offset:4096 scale_offset
	s_wait_loadcnt 0x0
	ds_store_b128 v16, v[2:5] offset:8192
.LBB326_12:
	s_or_b32 exec_lo, exec_lo, s3
	v_lshlrev_b32_e32 v1, 1, v0
	s_wait_xcnt 0x0
	s_mov_b32 s0, exec_lo
	s_wait_dscnt 0x0
	s_barrier_signal -1
	s_barrier_wait -1
	v_sub_nc_u32_e64 v15, v1, s10 clamp
	v_min_u32_e32 v2, s2, v1
	s_delay_alu instid0(VALU_DEP_1)
	v_cmpx_lt_u32_e64 v15, v2
	s_cbranch_execz .LBB326_16
; %bb.13:
	v_lshlrev_b32_e32 v3, 4, v1
	s_mov_b32 s1, 0
	s_delay_alu instid0(VALU_DEP_1)
	v_lshl_add_u32 v3, s2, 4, v3
.LBB326_14:                             ; =>This Inner Loop Header: Depth=1
	v_add_nc_u32_e32 v4, v2, v15
	s_delay_alu instid0(VALU_DEP_1) | instskip(NEXT) | instid1(VALU_DEP_1)
	v_lshrrev_b32_e32 v8, 1, v4
	v_not_b32_e32 v4, v8
	v_lshlrev_b32_e32 v5, 4, v8
	s_delay_alu instid0(VALU_DEP_2)
	v_lshl_add_u32 v6, v4, 4, v3
	ds_load_b64 v[4:5], v5
	ds_load_b64 v[6:7], v6
	s_wait_dscnt 0x0
	v_cmp_gt_f64_e32 vcc_lo, v[6:7], v[4:5]
	v_add_nc_u32_e32 v4, 1, v8
	s_delay_alu instid0(VALU_DEP_1) | instskip(NEXT) | instid1(VALU_DEP_1)
	v_dual_cndmask_b32 v15, v4, v15 :: v_dual_cndmask_b32 v2, v2, v8
	v_cmp_ge_u32_e32 vcc_lo, v15, v2
	s_or_b32 s1, vcc_lo, s1
	s_delay_alu instid0(SALU_CYCLE_1)
	s_and_not1_b32 exec_lo, exec_lo, s1
	s_cbranch_execnz .LBB326_14
; %bb.15:
	s_or_b32 exec_lo, exec_lo, s1
.LBB326_16:
	s_delay_alu instid0(SALU_CYCLE_1)
	s_or_b32 exec_lo, exec_lo, s0
	v_add_nc_u32_e32 v2, s2, v1
	s_add_co_i32 s5, s10, s2
	v_cmp_ge_u32_e32 vcc_lo, s2, v15
	v_mov_b64_e32 v[12:13], 0
	v_mov_b64_e32 v[4:5], 0
	v_sub_nc_u32_e32 v17, v2, v15
	v_mov_b64_e32 v[2:3], 0
	v_mov_b64_e32 v[10:11], 0
	s_delay_alu instid0(VALU_DEP_3) | instskip(SKIP_1) | instid1(SALU_CYCLE_1)
	v_cmp_ge_u32_e64 s0, s5, v17
	s_or_b32 s0, vcc_lo, s0
	s_and_saveexec_b32 s3, s0
	s_cbranch_execz .LBB326_22
; %bb.17:
	v_mov_b64_e32 v[8:9], 0
	v_mov_b64_e32 v[4:5], 0
	;; [unrolled: 1-line block ×3, first 2 shown]
	v_cmp_gt_u32_e32 vcc_lo, s2, v15
	s_and_saveexec_b32 s0, vcc_lo
; %bb.18:
	v_lshlrev_b32_e32 v2, 4, v15
	ds_load_b128 v[2:5], v2
; %bb.19:
	s_or_b32 exec_lo, exec_lo, s0
	v_mov_b64_e32 v[6:7], 0
	v_cmp_le_u32_e64 s0, s5, v17
	s_mov_b32 s8, exec_lo
	v_cmpx_gt_u32_e64 s5, v17
; %bb.20:
	v_lshlrev_b32_e32 v6, 4, v17
	ds_load_b128 v[6:9], v6
; %bb.21:
	s_or_b32 exec_lo, exec_lo, s8
	s_wait_dscnt 0x0
	v_cmp_ngt_f64_e64 s1, v[6:7], v[2:3]
	s_and_b32 s1, vcc_lo, s1
	s_delay_alu instid0(SALU_CYCLE_1) | instskip(SKIP_2) | instid1(VALU_DEP_2)
	s_or_b32 vcc_lo, s0, s1
	v_dual_mov_b32 v10, s2 :: v_dual_cndmask_b32 v11, v17, v15
	v_cndmask_b32_e32 v13, v9, v5, vcc_lo
	v_dual_cndmask_b32 v10, s5, v10, vcc_lo :: v_dual_add_nc_u32 v12, 1, v11
	v_cndmask_b32_e32 v11, v7, v3, vcc_lo
	s_delay_alu instid0(VALU_DEP_2) | instskip(NEXT) | instid1(VALU_DEP_1)
	v_add_min_u32_e64 v10, v10, -1, v12
	v_lshlrev_b32_e32 v10, 4, v10
	ds_load_b128 v[18:21], v10
	s_wait_dscnt 0x0
	v_dual_cndmask_b32 v10, v6, v2 :: v_dual_cndmask_b32 v23, v19, v7
	v_dual_cndmask_b32 v22, v18, v6 :: v_dual_cndmask_b32 v19, v3, v19
	;; [unrolled: 1-line block ×3, first 2 shown]
	v_cndmask_b32_e32 v7, v12, v17, vcc_lo
	v_cndmask_b32_e32 v12, v8, v4, vcc_lo
	v_dual_cndmask_b32 v6, v20, v8 :: v_dual_cndmask_b32 v5, v5, v21
	s_delay_alu instid0(VALU_DEP_4) | instskip(SKIP_4) | instid1(SALU_CYCLE_1)
	v_cmp_ngt_f64_e64 s0, v[22:23], v[18:19]
	v_cmp_gt_u32_e64 s1, s2, v3
	v_cmp_le_u32_e64 s2, s5, v7
	v_dual_cndmask_b32 v7, v21, v9 :: v_dual_cndmask_b32 v4, v4, v20
	s_and_b32 s0, s1, s0
	s_or_b32 vcc_lo, s2, s0
	v_dual_cndmask_b32 v3, v23, v19 :: v_dual_cndmask_b32 v2, v22, v18
	s_delay_alu instid0(VALU_DEP_2)
	v_dual_cndmask_b32 v5, v7, v5 :: v_dual_cndmask_b32 v4, v6, v4
.LBB326_22:
	s_or_b32 exec_lo, exec_lo, s3
	v_and_b32_e32 v6, 0x1f0, v0
	s_mov_b32 s5, 0
	s_sub_co_i32 s8, s24, s4
	s_lshl_b64 s[2:3], s[4:5], 3
	s_cmp_gt_u32 s8, 0x3ff
	v_lshl_add_u32 v6, v1, 4, v6
	v_lshrrev_b32_e32 v1, 1, v14
	s_add_nc_u64 s[0:1], s[14:15], s[2:3]
	s_wait_kmcnt 0x0
	s_add_nc_u64 s[2:3], s[6:7], s[2:3]
	s_barrier_signal -1
	s_barrier_wait -1
	ds_store_b128 v6, v[10:13]
	ds_store_b128 v6, v[2:5] offset:16
	s_wait_dscnt 0x0
	s_cbranch_scc0 .LBB326_24
; %bb.23:
	v_lshrrev_b32_e32 v2, 1, v0
	v_and_b32_e32 v3, 0x1f0, v1
	s_barrier_signal -1
	s_barrier_wait -1
	s_delay_alu instid0(VALU_DEP_2) | instskip(SKIP_1) | instid1(VALU_DEP_1)
	v_and_b32_e32 v2, 0xf0, v2
	s_mov_b32 s5, -1
	v_dual_add_nc_u32 v3, v3, v16 :: v_dual_add_nc_u32 v2, v2, v16
	ds_load_b128 v[6:9], v2
	ds_load_b128 v[2:5], v3 offset:8192
	s_wait_dscnt 0x1
	s_clause 0x1
	global_store_b64 v0, v[6:7], s[0:1] scale_offset
	global_store_b64 v0, v[8:9], s[2:3] scale_offset
	s_cbranch_execz .LBB326_25
	s_branch .LBB326_28
.LBB326_24:
                                        ; implicit-def: $vgpr4_vgpr5
.LBB326_25:
	v_and_b32_e32 v1, 0x1f0, v1
	s_barrier_signal -1
	s_barrier_wait -1
	s_wait_storecnt_dscnt 0x0
	s_mov_b32 s4, exec_lo
	v_lshl_add_u32 v1, v0, 4, v1
	ds_load_b128 v[2:5], v1 offset:8192
	s_wait_xcnt 0x0
	v_cmpx_gt_u32_e64 s8, v0
	s_cbranch_execz .LBB326_27
; %bb.26:
	v_lshrrev_b32_e32 v1, 1, v0
	s_delay_alu instid0(VALU_DEP_1) | instskip(NEXT) | instid1(VALU_DEP_1)
	v_and_b32_e32 v1, 0xf0, v1
	v_lshl_add_u32 v1, v0, 4, v1
	ds_load_b128 v[6:9], v1
	s_wait_dscnt 0x0
	s_clause 0x1
	global_store_b64 v0, v[6:7], s[0:1] scale_offset
	global_store_b64 v0, v[8:9], s[2:3] scale_offset
.LBB326_27:
	s_wait_xcnt 0x0
	s_or_b32 exec_lo, exec_lo, s4
	v_cmp_gt_u32_e64 s5, s8, v14
.LBB326_28:
	s_wait_xcnt 0x0
	s_delay_alu instid0(VALU_DEP_1)
	s_and_saveexec_b32 s4, s5
	s_cbranch_execnz .LBB326_30
; %bb.29:
	s_endpgm
.LBB326_30:
	s_wait_dscnt 0x0
	s_clause 0x1
	global_store_b64 v0, v[2:3], s[0:1] offset:4096 scale_offset
	global_store_b64 v0, v[4:5], s[2:3] offset:4096 scale_offset
	s_endpgm
	.section	.rodata,"a",@progbits
	.p2align	6, 0x0
	.amdhsa_kernel _ZN7rocprim17ROCPRIM_400000_NS6detail17trampoline_kernelINS0_14default_configENS1_21merge_config_selectorINS0_5tupleIJddEEENS0_10empty_typeEEEZNS1_10merge_implIS3_NS0_12zip_iteratorINS5_IJN6thrust23THRUST_200600_302600_NS6detail15normal_iteratorINSC_10device_ptrIKdEEEESI_EEEEESK_NSA_INS5_IJNSE_INSF_IdEEEESM_EEEEEPS7_SP_SP_NSC_11hip_rocprim7__merge17predicate_wrapperIddNSC_7greaterIdEEEEEE10hipError_tPvRmT0_T1_T2_T3_T4_T5_mmT6_P12ihipStream_tbEUlT_E0_NS1_11comp_targetILNS1_3genE0ELNS1_11target_archE4294967295ELNS1_3gpuE0ELNS1_3repE0EEENS1_30default_config_static_selectorELNS0_4arch9wavefront6targetE0EEEvS10_
		.amdhsa_group_segment_fixed_size 16896
		.amdhsa_private_segment_fixed_size 0
		.amdhsa_kernarg_size 112
		.amdhsa_user_sgpr_count 2
		.amdhsa_user_sgpr_dispatch_ptr 0
		.amdhsa_user_sgpr_queue_ptr 0
		.amdhsa_user_sgpr_kernarg_segment_ptr 1
		.amdhsa_user_sgpr_dispatch_id 0
		.amdhsa_user_sgpr_kernarg_preload_length 0
		.amdhsa_user_sgpr_kernarg_preload_offset 0
		.amdhsa_user_sgpr_private_segment_size 0
		.amdhsa_wavefront_size32 1
		.amdhsa_uses_dynamic_stack 0
		.amdhsa_enable_private_segment 0
		.amdhsa_system_sgpr_workgroup_id_x 1
		.amdhsa_system_sgpr_workgroup_id_y 0
		.amdhsa_system_sgpr_workgroup_id_z 0
		.amdhsa_system_sgpr_workgroup_info 0
		.amdhsa_system_vgpr_workitem_id 0
		.amdhsa_next_free_vgpr 24
		.amdhsa_next_free_sgpr 25
		.amdhsa_named_barrier_count 0
		.amdhsa_reserve_vcc 1
		.amdhsa_float_round_mode_32 0
		.amdhsa_float_round_mode_16_64 0
		.amdhsa_float_denorm_mode_32 3
		.amdhsa_float_denorm_mode_16_64 3
		.amdhsa_fp16_overflow 0
		.amdhsa_memory_ordered 1
		.amdhsa_forward_progress 1
		.amdhsa_inst_pref_size 12
		.amdhsa_round_robin_scheduling 0
		.amdhsa_exception_fp_ieee_invalid_op 0
		.amdhsa_exception_fp_denorm_src 0
		.amdhsa_exception_fp_ieee_div_zero 0
		.amdhsa_exception_fp_ieee_overflow 0
		.amdhsa_exception_fp_ieee_underflow 0
		.amdhsa_exception_fp_ieee_inexact 0
		.amdhsa_exception_int_div_zero 0
	.end_amdhsa_kernel
	.section	.text._ZN7rocprim17ROCPRIM_400000_NS6detail17trampoline_kernelINS0_14default_configENS1_21merge_config_selectorINS0_5tupleIJddEEENS0_10empty_typeEEEZNS1_10merge_implIS3_NS0_12zip_iteratorINS5_IJN6thrust23THRUST_200600_302600_NS6detail15normal_iteratorINSC_10device_ptrIKdEEEESI_EEEEESK_NSA_INS5_IJNSE_INSF_IdEEEESM_EEEEEPS7_SP_SP_NSC_11hip_rocprim7__merge17predicate_wrapperIddNSC_7greaterIdEEEEEE10hipError_tPvRmT0_T1_T2_T3_T4_T5_mmT6_P12ihipStream_tbEUlT_E0_NS1_11comp_targetILNS1_3genE0ELNS1_11target_archE4294967295ELNS1_3gpuE0ELNS1_3repE0EEENS1_30default_config_static_selectorELNS0_4arch9wavefront6targetE0EEEvS10_,"axG",@progbits,_ZN7rocprim17ROCPRIM_400000_NS6detail17trampoline_kernelINS0_14default_configENS1_21merge_config_selectorINS0_5tupleIJddEEENS0_10empty_typeEEEZNS1_10merge_implIS3_NS0_12zip_iteratorINS5_IJN6thrust23THRUST_200600_302600_NS6detail15normal_iteratorINSC_10device_ptrIKdEEEESI_EEEEESK_NSA_INS5_IJNSE_INSF_IdEEEESM_EEEEEPS7_SP_SP_NSC_11hip_rocprim7__merge17predicate_wrapperIddNSC_7greaterIdEEEEEE10hipError_tPvRmT0_T1_T2_T3_T4_T5_mmT6_P12ihipStream_tbEUlT_E0_NS1_11comp_targetILNS1_3genE0ELNS1_11target_archE4294967295ELNS1_3gpuE0ELNS1_3repE0EEENS1_30default_config_static_selectorELNS0_4arch9wavefront6targetE0EEEvS10_,comdat
.Lfunc_end326:
	.size	_ZN7rocprim17ROCPRIM_400000_NS6detail17trampoline_kernelINS0_14default_configENS1_21merge_config_selectorINS0_5tupleIJddEEENS0_10empty_typeEEEZNS1_10merge_implIS3_NS0_12zip_iteratorINS5_IJN6thrust23THRUST_200600_302600_NS6detail15normal_iteratorINSC_10device_ptrIKdEEEESI_EEEEESK_NSA_INS5_IJNSE_INSF_IdEEEESM_EEEEEPS7_SP_SP_NSC_11hip_rocprim7__merge17predicate_wrapperIddNSC_7greaterIdEEEEEE10hipError_tPvRmT0_T1_T2_T3_T4_T5_mmT6_P12ihipStream_tbEUlT_E0_NS1_11comp_targetILNS1_3genE0ELNS1_11target_archE4294967295ELNS1_3gpuE0ELNS1_3repE0EEENS1_30default_config_static_selectorELNS0_4arch9wavefront6targetE0EEEvS10_, .Lfunc_end326-_ZN7rocprim17ROCPRIM_400000_NS6detail17trampoline_kernelINS0_14default_configENS1_21merge_config_selectorINS0_5tupleIJddEEENS0_10empty_typeEEEZNS1_10merge_implIS3_NS0_12zip_iteratorINS5_IJN6thrust23THRUST_200600_302600_NS6detail15normal_iteratorINSC_10device_ptrIKdEEEESI_EEEEESK_NSA_INS5_IJNSE_INSF_IdEEEESM_EEEEEPS7_SP_SP_NSC_11hip_rocprim7__merge17predicate_wrapperIddNSC_7greaterIdEEEEEE10hipError_tPvRmT0_T1_T2_T3_T4_T5_mmT6_P12ihipStream_tbEUlT_E0_NS1_11comp_targetILNS1_3genE0ELNS1_11target_archE4294967295ELNS1_3gpuE0ELNS1_3repE0EEENS1_30default_config_static_selectorELNS0_4arch9wavefront6targetE0EEEvS10_
                                        ; -- End function
	.set _ZN7rocprim17ROCPRIM_400000_NS6detail17trampoline_kernelINS0_14default_configENS1_21merge_config_selectorINS0_5tupleIJddEEENS0_10empty_typeEEEZNS1_10merge_implIS3_NS0_12zip_iteratorINS5_IJN6thrust23THRUST_200600_302600_NS6detail15normal_iteratorINSC_10device_ptrIKdEEEESI_EEEEESK_NSA_INS5_IJNSE_INSF_IdEEEESM_EEEEEPS7_SP_SP_NSC_11hip_rocprim7__merge17predicate_wrapperIddNSC_7greaterIdEEEEEE10hipError_tPvRmT0_T1_T2_T3_T4_T5_mmT6_P12ihipStream_tbEUlT_E0_NS1_11comp_targetILNS1_3genE0ELNS1_11target_archE4294967295ELNS1_3gpuE0ELNS1_3repE0EEENS1_30default_config_static_selectorELNS0_4arch9wavefront6targetE0EEEvS10_.num_vgpr, 24
	.set _ZN7rocprim17ROCPRIM_400000_NS6detail17trampoline_kernelINS0_14default_configENS1_21merge_config_selectorINS0_5tupleIJddEEENS0_10empty_typeEEEZNS1_10merge_implIS3_NS0_12zip_iteratorINS5_IJN6thrust23THRUST_200600_302600_NS6detail15normal_iteratorINSC_10device_ptrIKdEEEESI_EEEEESK_NSA_INS5_IJNSE_INSF_IdEEEESM_EEEEEPS7_SP_SP_NSC_11hip_rocprim7__merge17predicate_wrapperIddNSC_7greaterIdEEEEEE10hipError_tPvRmT0_T1_T2_T3_T4_T5_mmT6_P12ihipStream_tbEUlT_E0_NS1_11comp_targetILNS1_3genE0ELNS1_11target_archE4294967295ELNS1_3gpuE0ELNS1_3repE0EEENS1_30default_config_static_selectorELNS0_4arch9wavefront6targetE0EEEvS10_.num_agpr, 0
	.set _ZN7rocprim17ROCPRIM_400000_NS6detail17trampoline_kernelINS0_14default_configENS1_21merge_config_selectorINS0_5tupleIJddEEENS0_10empty_typeEEEZNS1_10merge_implIS3_NS0_12zip_iteratorINS5_IJN6thrust23THRUST_200600_302600_NS6detail15normal_iteratorINSC_10device_ptrIKdEEEESI_EEEEESK_NSA_INS5_IJNSE_INSF_IdEEEESM_EEEEEPS7_SP_SP_NSC_11hip_rocprim7__merge17predicate_wrapperIddNSC_7greaterIdEEEEEE10hipError_tPvRmT0_T1_T2_T3_T4_T5_mmT6_P12ihipStream_tbEUlT_E0_NS1_11comp_targetILNS1_3genE0ELNS1_11target_archE4294967295ELNS1_3gpuE0ELNS1_3repE0EEENS1_30default_config_static_selectorELNS0_4arch9wavefront6targetE0EEEvS10_.numbered_sgpr, 25
	.set _ZN7rocprim17ROCPRIM_400000_NS6detail17trampoline_kernelINS0_14default_configENS1_21merge_config_selectorINS0_5tupleIJddEEENS0_10empty_typeEEEZNS1_10merge_implIS3_NS0_12zip_iteratorINS5_IJN6thrust23THRUST_200600_302600_NS6detail15normal_iteratorINSC_10device_ptrIKdEEEESI_EEEEESK_NSA_INS5_IJNSE_INSF_IdEEEESM_EEEEEPS7_SP_SP_NSC_11hip_rocprim7__merge17predicate_wrapperIddNSC_7greaterIdEEEEEE10hipError_tPvRmT0_T1_T2_T3_T4_T5_mmT6_P12ihipStream_tbEUlT_E0_NS1_11comp_targetILNS1_3genE0ELNS1_11target_archE4294967295ELNS1_3gpuE0ELNS1_3repE0EEENS1_30default_config_static_selectorELNS0_4arch9wavefront6targetE0EEEvS10_.num_named_barrier, 0
	.set _ZN7rocprim17ROCPRIM_400000_NS6detail17trampoline_kernelINS0_14default_configENS1_21merge_config_selectorINS0_5tupleIJddEEENS0_10empty_typeEEEZNS1_10merge_implIS3_NS0_12zip_iteratorINS5_IJN6thrust23THRUST_200600_302600_NS6detail15normal_iteratorINSC_10device_ptrIKdEEEESI_EEEEESK_NSA_INS5_IJNSE_INSF_IdEEEESM_EEEEEPS7_SP_SP_NSC_11hip_rocprim7__merge17predicate_wrapperIddNSC_7greaterIdEEEEEE10hipError_tPvRmT0_T1_T2_T3_T4_T5_mmT6_P12ihipStream_tbEUlT_E0_NS1_11comp_targetILNS1_3genE0ELNS1_11target_archE4294967295ELNS1_3gpuE0ELNS1_3repE0EEENS1_30default_config_static_selectorELNS0_4arch9wavefront6targetE0EEEvS10_.private_seg_size, 0
	.set _ZN7rocprim17ROCPRIM_400000_NS6detail17trampoline_kernelINS0_14default_configENS1_21merge_config_selectorINS0_5tupleIJddEEENS0_10empty_typeEEEZNS1_10merge_implIS3_NS0_12zip_iteratorINS5_IJN6thrust23THRUST_200600_302600_NS6detail15normal_iteratorINSC_10device_ptrIKdEEEESI_EEEEESK_NSA_INS5_IJNSE_INSF_IdEEEESM_EEEEEPS7_SP_SP_NSC_11hip_rocprim7__merge17predicate_wrapperIddNSC_7greaterIdEEEEEE10hipError_tPvRmT0_T1_T2_T3_T4_T5_mmT6_P12ihipStream_tbEUlT_E0_NS1_11comp_targetILNS1_3genE0ELNS1_11target_archE4294967295ELNS1_3gpuE0ELNS1_3repE0EEENS1_30default_config_static_selectorELNS0_4arch9wavefront6targetE0EEEvS10_.uses_vcc, 1
	.set _ZN7rocprim17ROCPRIM_400000_NS6detail17trampoline_kernelINS0_14default_configENS1_21merge_config_selectorINS0_5tupleIJddEEENS0_10empty_typeEEEZNS1_10merge_implIS3_NS0_12zip_iteratorINS5_IJN6thrust23THRUST_200600_302600_NS6detail15normal_iteratorINSC_10device_ptrIKdEEEESI_EEEEESK_NSA_INS5_IJNSE_INSF_IdEEEESM_EEEEEPS7_SP_SP_NSC_11hip_rocprim7__merge17predicate_wrapperIddNSC_7greaterIdEEEEEE10hipError_tPvRmT0_T1_T2_T3_T4_T5_mmT6_P12ihipStream_tbEUlT_E0_NS1_11comp_targetILNS1_3genE0ELNS1_11target_archE4294967295ELNS1_3gpuE0ELNS1_3repE0EEENS1_30default_config_static_selectorELNS0_4arch9wavefront6targetE0EEEvS10_.uses_flat_scratch, 0
	.set _ZN7rocprim17ROCPRIM_400000_NS6detail17trampoline_kernelINS0_14default_configENS1_21merge_config_selectorINS0_5tupleIJddEEENS0_10empty_typeEEEZNS1_10merge_implIS3_NS0_12zip_iteratorINS5_IJN6thrust23THRUST_200600_302600_NS6detail15normal_iteratorINSC_10device_ptrIKdEEEESI_EEEEESK_NSA_INS5_IJNSE_INSF_IdEEEESM_EEEEEPS7_SP_SP_NSC_11hip_rocprim7__merge17predicate_wrapperIddNSC_7greaterIdEEEEEE10hipError_tPvRmT0_T1_T2_T3_T4_T5_mmT6_P12ihipStream_tbEUlT_E0_NS1_11comp_targetILNS1_3genE0ELNS1_11target_archE4294967295ELNS1_3gpuE0ELNS1_3repE0EEENS1_30default_config_static_selectorELNS0_4arch9wavefront6targetE0EEEvS10_.has_dyn_sized_stack, 0
	.set _ZN7rocprim17ROCPRIM_400000_NS6detail17trampoline_kernelINS0_14default_configENS1_21merge_config_selectorINS0_5tupleIJddEEENS0_10empty_typeEEEZNS1_10merge_implIS3_NS0_12zip_iteratorINS5_IJN6thrust23THRUST_200600_302600_NS6detail15normal_iteratorINSC_10device_ptrIKdEEEESI_EEEEESK_NSA_INS5_IJNSE_INSF_IdEEEESM_EEEEEPS7_SP_SP_NSC_11hip_rocprim7__merge17predicate_wrapperIddNSC_7greaterIdEEEEEE10hipError_tPvRmT0_T1_T2_T3_T4_T5_mmT6_P12ihipStream_tbEUlT_E0_NS1_11comp_targetILNS1_3genE0ELNS1_11target_archE4294967295ELNS1_3gpuE0ELNS1_3repE0EEENS1_30default_config_static_selectorELNS0_4arch9wavefront6targetE0EEEvS10_.has_recursion, 0
	.set _ZN7rocprim17ROCPRIM_400000_NS6detail17trampoline_kernelINS0_14default_configENS1_21merge_config_selectorINS0_5tupleIJddEEENS0_10empty_typeEEEZNS1_10merge_implIS3_NS0_12zip_iteratorINS5_IJN6thrust23THRUST_200600_302600_NS6detail15normal_iteratorINSC_10device_ptrIKdEEEESI_EEEEESK_NSA_INS5_IJNSE_INSF_IdEEEESM_EEEEEPS7_SP_SP_NSC_11hip_rocprim7__merge17predicate_wrapperIddNSC_7greaterIdEEEEEE10hipError_tPvRmT0_T1_T2_T3_T4_T5_mmT6_P12ihipStream_tbEUlT_E0_NS1_11comp_targetILNS1_3genE0ELNS1_11target_archE4294967295ELNS1_3gpuE0ELNS1_3repE0EEENS1_30default_config_static_selectorELNS0_4arch9wavefront6targetE0EEEvS10_.has_indirect_call, 0
	.section	.AMDGPU.csdata,"",@progbits
; Kernel info:
; codeLenInByte = 1420
; TotalNumSgprs: 27
; NumVgprs: 24
; ScratchSize: 0
; MemoryBound: 0
; FloatMode: 240
; IeeeMode: 1
; LDSByteSize: 16896 bytes/workgroup (compile time only)
; SGPRBlocks: 0
; VGPRBlocks: 1
; NumSGPRsForWavesPerEU: 27
; NumVGPRsForWavesPerEU: 24
; NamedBarCnt: 0
; Occupancy: 16
; WaveLimiterHint : 1
; COMPUTE_PGM_RSRC2:SCRATCH_EN: 0
; COMPUTE_PGM_RSRC2:USER_SGPR: 2
; COMPUTE_PGM_RSRC2:TRAP_HANDLER: 0
; COMPUTE_PGM_RSRC2:TGID_X_EN: 1
; COMPUTE_PGM_RSRC2:TGID_Y_EN: 0
; COMPUTE_PGM_RSRC2:TGID_Z_EN: 0
; COMPUTE_PGM_RSRC2:TIDIG_COMP_CNT: 0
	.section	.text._ZN7rocprim17ROCPRIM_400000_NS6detail17trampoline_kernelINS0_14default_configENS1_21merge_config_selectorINS0_5tupleIJddEEENS0_10empty_typeEEEZNS1_10merge_implIS3_NS0_12zip_iteratorINS5_IJN6thrust23THRUST_200600_302600_NS6detail15normal_iteratorINSC_10device_ptrIKdEEEESI_EEEEESK_NSA_INS5_IJNSE_INSF_IdEEEESM_EEEEEPS7_SP_SP_NSC_11hip_rocprim7__merge17predicate_wrapperIddNSC_7greaterIdEEEEEE10hipError_tPvRmT0_T1_T2_T3_T4_T5_mmT6_P12ihipStream_tbEUlT_E0_NS1_11comp_targetILNS1_3genE5ELNS1_11target_archE942ELNS1_3gpuE9ELNS1_3repE0EEENS1_30default_config_static_selectorELNS0_4arch9wavefront6targetE0EEEvS10_,"axG",@progbits,_ZN7rocprim17ROCPRIM_400000_NS6detail17trampoline_kernelINS0_14default_configENS1_21merge_config_selectorINS0_5tupleIJddEEENS0_10empty_typeEEEZNS1_10merge_implIS3_NS0_12zip_iteratorINS5_IJN6thrust23THRUST_200600_302600_NS6detail15normal_iteratorINSC_10device_ptrIKdEEEESI_EEEEESK_NSA_INS5_IJNSE_INSF_IdEEEESM_EEEEEPS7_SP_SP_NSC_11hip_rocprim7__merge17predicate_wrapperIddNSC_7greaterIdEEEEEE10hipError_tPvRmT0_T1_T2_T3_T4_T5_mmT6_P12ihipStream_tbEUlT_E0_NS1_11comp_targetILNS1_3genE5ELNS1_11target_archE942ELNS1_3gpuE9ELNS1_3repE0EEENS1_30default_config_static_selectorELNS0_4arch9wavefront6targetE0EEEvS10_,comdat
	.protected	_ZN7rocprim17ROCPRIM_400000_NS6detail17trampoline_kernelINS0_14default_configENS1_21merge_config_selectorINS0_5tupleIJddEEENS0_10empty_typeEEEZNS1_10merge_implIS3_NS0_12zip_iteratorINS5_IJN6thrust23THRUST_200600_302600_NS6detail15normal_iteratorINSC_10device_ptrIKdEEEESI_EEEEESK_NSA_INS5_IJNSE_INSF_IdEEEESM_EEEEEPS7_SP_SP_NSC_11hip_rocprim7__merge17predicate_wrapperIddNSC_7greaterIdEEEEEE10hipError_tPvRmT0_T1_T2_T3_T4_T5_mmT6_P12ihipStream_tbEUlT_E0_NS1_11comp_targetILNS1_3genE5ELNS1_11target_archE942ELNS1_3gpuE9ELNS1_3repE0EEENS1_30default_config_static_selectorELNS0_4arch9wavefront6targetE0EEEvS10_ ; -- Begin function _ZN7rocprim17ROCPRIM_400000_NS6detail17trampoline_kernelINS0_14default_configENS1_21merge_config_selectorINS0_5tupleIJddEEENS0_10empty_typeEEEZNS1_10merge_implIS3_NS0_12zip_iteratorINS5_IJN6thrust23THRUST_200600_302600_NS6detail15normal_iteratorINSC_10device_ptrIKdEEEESI_EEEEESK_NSA_INS5_IJNSE_INSF_IdEEEESM_EEEEEPS7_SP_SP_NSC_11hip_rocprim7__merge17predicate_wrapperIddNSC_7greaterIdEEEEEE10hipError_tPvRmT0_T1_T2_T3_T4_T5_mmT6_P12ihipStream_tbEUlT_E0_NS1_11comp_targetILNS1_3genE5ELNS1_11target_archE942ELNS1_3gpuE9ELNS1_3repE0EEENS1_30default_config_static_selectorELNS0_4arch9wavefront6targetE0EEEvS10_
	.globl	_ZN7rocprim17ROCPRIM_400000_NS6detail17trampoline_kernelINS0_14default_configENS1_21merge_config_selectorINS0_5tupleIJddEEENS0_10empty_typeEEEZNS1_10merge_implIS3_NS0_12zip_iteratorINS5_IJN6thrust23THRUST_200600_302600_NS6detail15normal_iteratorINSC_10device_ptrIKdEEEESI_EEEEESK_NSA_INS5_IJNSE_INSF_IdEEEESM_EEEEEPS7_SP_SP_NSC_11hip_rocprim7__merge17predicate_wrapperIddNSC_7greaterIdEEEEEE10hipError_tPvRmT0_T1_T2_T3_T4_T5_mmT6_P12ihipStream_tbEUlT_E0_NS1_11comp_targetILNS1_3genE5ELNS1_11target_archE942ELNS1_3gpuE9ELNS1_3repE0EEENS1_30default_config_static_selectorELNS0_4arch9wavefront6targetE0EEEvS10_
	.p2align	8
	.type	_ZN7rocprim17ROCPRIM_400000_NS6detail17trampoline_kernelINS0_14default_configENS1_21merge_config_selectorINS0_5tupleIJddEEENS0_10empty_typeEEEZNS1_10merge_implIS3_NS0_12zip_iteratorINS5_IJN6thrust23THRUST_200600_302600_NS6detail15normal_iteratorINSC_10device_ptrIKdEEEESI_EEEEESK_NSA_INS5_IJNSE_INSF_IdEEEESM_EEEEEPS7_SP_SP_NSC_11hip_rocprim7__merge17predicate_wrapperIddNSC_7greaterIdEEEEEE10hipError_tPvRmT0_T1_T2_T3_T4_T5_mmT6_P12ihipStream_tbEUlT_E0_NS1_11comp_targetILNS1_3genE5ELNS1_11target_archE942ELNS1_3gpuE9ELNS1_3repE0EEENS1_30default_config_static_selectorELNS0_4arch9wavefront6targetE0EEEvS10_,@function
_ZN7rocprim17ROCPRIM_400000_NS6detail17trampoline_kernelINS0_14default_configENS1_21merge_config_selectorINS0_5tupleIJddEEENS0_10empty_typeEEEZNS1_10merge_implIS3_NS0_12zip_iteratorINS5_IJN6thrust23THRUST_200600_302600_NS6detail15normal_iteratorINSC_10device_ptrIKdEEEESI_EEEEESK_NSA_INS5_IJNSE_INSF_IdEEEESM_EEEEEPS7_SP_SP_NSC_11hip_rocprim7__merge17predicate_wrapperIddNSC_7greaterIdEEEEEE10hipError_tPvRmT0_T1_T2_T3_T4_T5_mmT6_P12ihipStream_tbEUlT_E0_NS1_11comp_targetILNS1_3genE5ELNS1_11target_archE942ELNS1_3gpuE9ELNS1_3repE0EEENS1_30default_config_static_selectorELNS0_4arch9wavefront6targetE0EEEvS10_: ; @_ZN7rocprim17ROCPRIM_400000_NS6detail17trampoline_kernelINS0_14default_configENS1_21merge_config_selectorINS0_5tupleIJddEEENS0_10empty_typeEEEZNS1_10merge_implIS3_NS0_12zip_iteratorINS5_IJN6thrust23THRUST_200600_302600_NS6detail15normal_iteratorINSC_10device_ptrIKdEEEESI_EEEEESK_NSA_INS5_IJNSE_INSF_IdEEEESM_EEEEEPS7_SP_SP_NSC_11hip_rocprim7__merge17predicate_wrapperIddNSC_7greaterIdEEEEEE10hipError_tPvRmT0_T1_T2_T3_T4_T5_mmT6_P12ihipStream_tbEUlT_E0_NS1_11comp_targetILNS1_3genE5ELNS1_11target_archE942ELNS1_3gpuE9ELNS1_3repE0EEENS1_30default_config_static_selectorELNS0_4arch9wavefront6targetE0EEEvS10_
; %bb.0:
	.section	.rodata,"a",@progbits
	.p2align	6, 0x0
	.amdhsa_kernel _ZN7rocprim17ROCPRIM_400000_NS6detail17trampoline_kernelINS0_14default_configENS1_21merge_config_selectorINS0_5tupleIJddEEENS0_10empty_typeEEEZNS1_10merge_implIS3_NS0_12zip_iteratorINS5_IJN6thrust23THRUST_200600_302600_NS6detail15normal_iteratorINSC_10device_ptrIKdEEEESI_EEEEESK_NSA_INS5_IJNSE_INSF_IdEEEESM_EEEEEPS7_SP_SP_NSC_11hip_rocprim7__merge17predicate_wrapperIddNSC_7greaterIdEEEEEE10hipError_tPvRmT0_T1_T2_T3_T4_T5_mmT6_P12ihipStream_tbEUlT_E0_NS1_11comp_targetILNS1_3genE5ELNS1_11target_archE942ELNS1_3gpuE9ELNS1_3repE0EEENS1_30default_config_static_selectorELNS0_4arch9wavefront6targetE0EEEvS10_
		.amdhsa_group_segment_fixed_size 0
		.amdhsa_private_segment_fixed_size 0
		.amdhsa_kernarg_size 112
		.amdhsa_user_sgpr_count 2
		.amdhsa_user_sgpr_dispatch_ptr 0
		.amdhsa_user_sgpr_queue_ptr 0
		.amdhsa_user_sgpr_kernarg_segment_ptr 1
		.amdhsa_user_sgpr_dispatch_id 0
		.amdhsa_user_sgpr_kernarg_preload_length 0
		.amdhsa_user_sgpr_kernarg_preload_offset 0
		.amdhsa_user_sgpr_private_segment_size 0
		.amdhsa_wavefront_size32 1
		.amdhsa_uses_dynamic_stack 0
		.amdhsa_enable_private_segment 0
		.amdhsa_system_sgpr_workgroup_id_x 1
		.amdhsa_system_sgpr_workgroup_id_y 0
		.amdhsa_system_sgpr_workgroup_id_z 0
		.amdhsa_system_sgpr_workgroup_info 0
		.amdhsa_system_vgpr_workitem_id 0
		.amdhsa_next_free_vgpr 1
		.amdhsa_next_free_sgpr 1
		.amdhsa_named_barrier_count 0
		.amdhsa_reserve_vcc 0
		.amdhsa_float_round_mode_32 0
		.amdhsa_float_round_mode_16_64 0
		.amdhsa_float_denorm_mode_32 3
		.amdhsa_float_denorm_mode_16_64 3
		.amdhsa_fp16_overflow 0
		.amdhsa_memory_ordered 1
		.amdhsa_forward_progress 1
		.amdhsa_inst_pref_size 0
		.amdhsa_round_robin_scheduling 0
		.amdhsa_exception_fp_ieee_invalid_op 0
		.amdhsa_exception_fp_denorm_src 0
		.amdhsa_exception_fp_ieee_div_zero 0
		.amdhsa_exception_fp_ieee_overflow 0
		.amdhsa_exception_fp_ieee_underflow 0
		.amdhsa_exception_fp_ieee_inexact 0
		.amdhsa_exception_int_div_zero 0
	.end_amdhsa_kernel
	.section	.text._ZN7rocprim17ROCPRIM_400000_NS6detail17trampoline_kernelINS0_14default_configENS1_21merge_config_selectorINS0_5tupleIJddEEENS0_10empty_typeEEEZNS1_10merge_implIS3_NS0_12zip_iteratorINS5_IJN6thrust23THRUST_200600_302600_NS6detail15normal_iteratorINSC_10device_ptrIKdEEEESI_EEEEESK_NSA_INS5_IJNSE_INSF_IdEEEESM_EEEEEPS7_SP_SP_NSC_11hip_rocprim7__merge17predicate_wrapperIddNSC_7greaterIdEEEEEE10hipError_tPvRmT0_T1_T2_T3_T4_T5_mmT6_P12ihipStream_tbEUlT_E0_NS1_11comp_targetILNS1_3genE5ELNS1_11target_archE942ELNS1_3gpuE9ELNS1_3repE0EEENS1_30default_config_static_selectorELNS0_4arch9wavefront6targetE0EEEvS10_,"axG",@progbits,_ZN7rocprim17ROCPRIM_400000_NS6detail17trampoline_kernelINS0_14default_configENS1_21merge_config_selectorINS0_5tupleIJddEEENS0_10empty_typeEEEZNS1_10merge_implIS3_NS0_12zip_iteratorINS5_IJN6thrust23THRUST_200600_302600_NS6detail15normal_iteratorINSC_10device_ptrIKdEEEESI_EEEEESK_NSA_INS5_IJNSE_INSF_IdEEEESM_EEEEEPS7_SP_SP_NSC_11hip_rocprim7__merge17predicate_wrapperIddNSC_7greaterIdEEEEEE10hipError_tPvRmT0_T1_T2_T3_T4_T5_mmT6_P12ihipStream_tbEUlT_E0_NS1_11comp_targetILNS1_3genE5ELNS1_11target_archE942ELNS1_3gpuE9ELNS1_3repE0EEENS1_30default_config_static_selectorELNS0_4arch9wavefront6targetE0EEEvS10_,comdat
.Lfunc_end327:
	.size	_ZN7rocprim17ROCPRIM_400000_NS6detail17trampoline_kernelINS0_14default_configENS1_21merge_config_selectorINS0_5tupleIJddEEENS0_10empty_typeEEEZNS1_10merge_implIS3_NS0_12zip_iteratorINS5_IJN6thrust23THRUST_200600_302600_NS6detail15normal_iteratorINSC_10device_ptrIKdEEEESI_EEEEESK_NSA_INS5_IJNSE_INSF_IdEEEESM_EEEEEPS7_SP_SP_NSC_11hip_rocprim7__merge17predicate_wrapperIddNSC_7greaterIdEEEEEE10hipError_tPvRmT0_T1_T2_T3_T4_T5_mmT6_P12ihipStream_tbEUlT_E0_NS1_11comp_targetILNS1_3genE5ELNS1_11target_archE942ELNS1_3gpuE9ELNS1_3repE0EEENS1_30default_config_static_selectorELNS0_4arch9wavefront6targetE0EEEvS10_, .Lfunc_end327-_ZN7rocprim17ROCPRIM_400000_NS6detail17trampoline_kernelINS0_14default_configENS1_21merge_config_selectorINS0_5tupleIJddEEENS0_10empty_typeEEEZNS1_10merge_implIS3_NS0_12zip_iteratorINS5_IJN6thrust23THRUST_200600_302600_NS6detail15normal_iteratorINSC_10device_ptrIKdEEEESI_EEEEESK_NSA_INS5_IJNSE_INSF_IdEEEESM_EEEEEPS7_SP_SP_NSC_11hip_rocprim7__merge17predicate_wrapperIddNSC_7greaterIdEEEEEE10hipError_tPvRmT0_T1_T2_T3_T4_T5_mmT6_P12ihipStream_tbEUlT_E0_NS1_11comp_targetILNS1_3genE5ELNS1_11target_archE942ELNS1_3gpuE9ELNS1_3repE0EEENS1_30default_config_static_selectorELNS0_4arch9wavefront6targetE0EEEvS10_
                                        ; -- End function
	.set _ZN7rocprim17ROCPRIM_400000_NS6detail17trampoline_kernelINS0_14default_configENS1_21merge_config_selectorINS0_5tupleIJddEEENS0_10empty_typeEEEZNS1_10merge_implIS3_NS0_12zip_iteratorINS5_IJN6thrust23THRUST_200600_302600_NS6detail15normal_iteratorINSC_10device_ptrIKdEEEESI_EEEEESK_NSA_INS5_IJNSE_INSF_IdEEEESM_EEEEEPS7_SP_SP_NSC_11hip_rocprim7__merge17predicate_wrapperIddNSC_7greaterIdEEEEEE10hipError_tPvRmT0_T1_T2_T3_T4_T5_mmT6_P12ihipStream_tbEUlT_E0_NS1_11comp_targetILNS1_3genE5ELNS1_11target_archE942ELNS1_3gpuE9ELNS1_3repE0EEENS1_30default_config_static_selectorELNS0_4arch9wavefront6targetE0EEEvS10_.num_vgpr, 0
	.set _ZN7rocprim17ROCPRIM_400000_NS6detail17trampoline_kernelINS0_14default_configENS1_21merge_config_selectorINS0_5tupleIJddEEENS0_10empty_typeEEEZNS1_10merge_implIS3_NS0_12zip_iteratorINS5_IJN6thrust23THRUST_200600_302600_NS6detail15normal_iteratorINSC_10device_ptrIKdEEEESI_EEEEESK_NSA_INS5_IJNSE_INSF_IdEEEESM_EEEEEPS7_SP_SP_NSC_11hip_rocprim7__merge17predicate_wrapperIddNSC_7greaterIdEEEEEE10hipError_tPvRmT0_T1_T2_T3_T4_T5_mmT6_P12ihipStream_tbEUlT_E0_NS1_11comp_targetILNS1_3genE5ELNS1_11target_archE942ELNS1_3gpuE9ELNS1_3repE0EEENS1_30default_config_static_selectorELNS0_4arch9wavefront6targetE0EEEvS10_.num_agpr, 0
	.set _ZN7rocprim17ROCPRIM_400000_NS6detail17trampoline_kernelINS0_14default_configENS1_21merge_config_selectorINS0_5tupleIJddEEENS0_10empty_typeEEEZNS1_10merge_implIS3_NS0_12zip_iteratorINS5_IJN6thrust23THRUST_200600_302600_NS6detail15normal_iteratorINSC_10device_ptrIKdEEEESI_EEEEESK_NSA_INS5_IJNSE_INSF_IdEEEESM_EEEEEPS7_SP_SP_NSC_11hip_rocprim7__merge17predicate_wrapperIddNSC_7greaterIdEEEEEE10hipError_tPvRmT0_T1_T2_T3_T4_T5_mmT6_P12ihipStream_tbEUlT_E0_NS1_11comp_targetILNS1_3genE5ELNS1_11target_archE942ELNS1_3gpuE9ELNS1_3repE0EEENS1_30default_config_static_selectorELNS0_4arch9wavefront6targetE0EEEvS10_.numbered_sgpr, 0
	.set _ZN7rocprim17ROCPRIM_400000_NS6detail17trampoline_kernelINS0_14default_configENS1_21merge_config_selectorINS0_5tupleIJddEEENS0_10empty_typeEEEZNS1_10merge_implIS3_NS0_12zip_iteratorINS5_IJN6thrust23THRUST_200600_302600_NS6detail15normal_iteratorINSC_10device_ptrIKdEEEESI_EEEEESK_NSA_INS5_IJNSE_INSF_IdEEEESM_EEEEEPS7_SP_SP_NSC_11hip_rocprim7__merge17predicate_wrapperIddNSC_7greaterIdEEEEEE10hipError_tPvRmT0_T1_T2_T3_T4_T5_mmT6_P12ihipStream_tbEUlT_E0_NS1_11comp_targetILNS1_3genE5ELNS1_11target_archE942ELNS1_3gpuE9ELNS1_3repE0EEENS1_30default_config_static_selectorELNS0_4arch9wavefront6targetE0EEEvS10_.num_named_barrier, 0
	.set _ZN7rocprim17ROCPRIM_400000_NS6detail17trampoline_kernelINS0_14default_configENS1_21merge_config_selectorINS0_5tupleIJddEEENS0_10empty_typeEEEZNS1_10merge_implIS3_NS0_12zip_iteratorINS5_IJN6thrust23THRUST_200600_302600_NS6detail15normal_iteratorINSC_10device_ptrIKdEEEESI_EEEEESK_NSA_INS5_IJNSE_INSF_IdEEEESM_EEEEEPS7_SP_SP_NSC_11hip_rocprim7__merge17predicate_wrapperIddNSC_7greaterIdEEEEEE10hipError_tPvRmT0_T1_T2_T3_T4_T5_mmT6_P12ihipStream_tbEUlT_E0_NS1_11comp_targetILNS1_3genE5ELNS1_11target_archE942ELNS1_3gpuE9ELNS1_3repE0EEENS1_30default_config_static_selectorELNS0_4arch9wavefront6targetE0EEEvS10_.private_seg_size, 0
	.set _ZN7rocprim17ROCPRIM_400000_NS6detail17trampoline_kernelINS0_14default_configENS1_21merge_config_selectorINS0_5tupleIJddEEENS0_10empty_typeEEEZNS1_10merge_implIS3_NS0_12zip_iteratorINS5_IJN6thrust23THRUST_200600_302600_NS6detail15normal_iteratorINSC_10device_ptrIKdEEEESI_EEEEESK_NSA_INS5_IJNSE_INSF_IdEEEESM_EEEEEPS7_SP_SP_NSC_11hip_rocprim7__merge17predicate_wrapperIddNSC_7greaterIdEEEEEE10hipError_tPvRmT0_T1_T2_T3_T4_T5_mmT6_P12ihipStream_tbEUlT_E0_NS1_11comp_targetILNS1_3genE5ELNS1_11target_archE942ELNS1_3gpuE9ELNS1_3repE0EEENS1_30default_config_static_selectorELNS0_4arch9wavefront6targetE0EEEvS10_.uses_vcc, 0
	.set _ZN7rocprim17ROCPRIM_400000_NS6detail17trampoline_kernelINS0_14default_configENS1_21merge_config_selectorINS0_5tupleIJddEEENS0_10empty_typeEEEZNS1_10merge_implIS3_NS0_12zip_iteratorINS5_IJN6thrust23THRUST_200600_302600_NS6detail15normal_iteratorINSC_10device_ptrIKdEEEESI_EEEEESK_NSA_INS5_IJNSE_INSF_IdEEEESM_EEEEEPS7_SP_SP_NSC_11hip_rocprim7__merge17predicate_wrapperIddNSC_7greaterIdEEEEEE10hipError_tPvRmT0_T1_T2_T3_T4_T5_mmT6_P12ihipStream_tbEUlT_E0_NS1_11comp_targetILNS1_3genE5ELNS1_11target_archE942ELNS1_3gpuE9ELNS1_3repE0EEENS1_30default_config_static_selectorELNS0_4arch9wavefront6targetE0EEEvS10_.uses_flat_scratch, 0
	.set _ZN7rocprim17ROCPRIM_400000_NS6detail17trampoline_kernelINS0_14default_configENS1_21merge_config_selectorINS0_5tupleIJddEEENS0_10empty_typeEEEZNS1_10merge_implIS3_NS0_12zip_iteratorINS5_IJN6thrust23THRUST_200600_302600_NS6detail15normal_iteratorINSC_10device_ptrIKdEEEESI_EEEEESK_NSA_INS5_IJNSE_INSF_IdEEEESM_EEEEEPS7_SP_SP_NSC_11hip_rocprim7__merge17predicate_wrapperIddNSC_7greaterIdEEEEEE10hipError_tPvRmT0_T1_T2_T3_T4_T5_mmT6_P12ihipStream_tbEUlT_E0_NS1_11comp_targetILNS1_3genE5ELNS1_11target_archE942ELNS1_3gpuE9ELNS1_3repE0EEENS1_30default_config_static_selectorELNS0_4arch9wavefront6targetE0EEEvS10_.has_dyn_sized_stack, 0
	.set _ZN7rocprim17ROCPRIM_400000_NS6detail17trampoline_kernelINS0_14default_configENS1_21merge_config_selectorINS0_5tupleIJddEEENS0_10empty_typeEEEZNS1_10merge_implIS3_NS0_12zip_iteratorINS5_IJN6thrust23THRUST_200600_302600_NS6detail15normal_iteratorINSC_10device_ptrIKdEEEESI_EEEEESK_NSA_INS5_IJNSE_INSF_IdEEEESM_EEEEEPS7_SP_SP_NSC_11hip_rocprim7__merge17predicate_wrapperIddNSC_7greaterIdEEEEEE10hipError_tPvRmT0_T1_T2_T3_T4_T5_mmT6_P12ihipStream_tbEUlT_E0_NS1_11comp_targetILNS1_3genE5ELNS1_11target_archE942ELNS1_3gpuE9ELNS1_3repE0EEENS1_30default_config_static_selectorELNS0_4arch9wavefront6targetE0EEEvS10_.has_recursion, 0
	.set _ZN7rocprim17ROCPRIM_400000_NS6detail17trampoline_kernelINS0_14default_configENS1_21merge_config_selectorINS0_5tupleIJddEEENS0_10empty_typeEEEZNS1_10merge_implIS3_NS0_12zip_iteratorINS5_IJN6thrust23THRUST_200600_302600_NS6detail15normal_iteratorINSC_10device_ptrIKdEEEESI_EEEEESK_NSA_INS5_IJNSE_INSF_IdEEEESM_EEEEEPS7_SP_SP_NSC_11hip_rocprim7__merge17predicate_wrapperIddNSC_7greaterIdEEEEEE10hipError_tPvRmT0_T1_T2_T3_T4_T5_mmT6_P12ihipStream_tbEUlT_E0_NS1_11comp_targetILNS1_3genE5ELNS1_11target_archE942ELNS1_3gpuE9ELNS1_3repE0EEENS1_30default_config_static_selectorELNS0_4arch9wavefront6targetE0EEEvS10_.has_indirect_call, 0
	.section	.AMDGPU.csdata,"",@progbits
; Kernel info:
; codeLenInByte = 0
; TotalNumSgprs: 0
; NumVgprs: 0
; ScratchSize: 0
; MemoryBound: 0
; FloatMode: 240
; IeeeMode: 1
; LDSByteSize: 0 bytes/workgroup (compile time only)
; SGPRBlocks: 0
; VGPRBlocks: 0
; NumSGPRsForWavesPerEU: 1
; NumVGPRsForWavesPerEU: 1
; NamedBarCnt: 0
; Occupancy: 16
; WaveLimiterHint : 0
; COMPUTE_PGM_RSRC2:SCRATCH_EN: 0
; COMPUTE_PGM_RSRC2:USER_SGPR: 2
; COMPUTE_PGM_RSRC2:TRAP_HANDLER: 0
; COMPUTE_PGM_RSRC2:TGID_X_EN: 1
; COMPUTE_PGM_RSRC2:TGID_Y_EN: 0
; COMPUTE_PGM_RSRC2:TGID_Z_EN: 0
; COMPUTE_PGM_RSRC2:TIDIG_COMP_CNT: 0
	.section	.text._ZN7rocprim17ROCPRIM_400000_NS6detail17trampoline_kernelINS0_14default_configENS1_21merge_config_selectorINS0_5tupleIJddEEENS0_10empty_typeEEEZNS1_10merge_implIS3_NS0_12zip_iteratorINS5_IJN6thrust23THRUST_200600_302600_NS6detail15normal_iteratorINSC_10device_ptrIKdEEEESI_EEEEESK_NSA_INS5_IJNSE_INSF_IdEEEESM_EEEEEPS7_SP_SP_NSC_11hip_rocprim7__merge17predicate_wrapperIddNSC_7greaterIdEEEEEE10hipError_tPvRmT0_T1_T2_T3_T4_T5_mmT6_P12ihipStream_tbEUlT_E0_NS1_11comp_targetILNS1_3genE4ELNS1_11target_archE910ELNS1_3gpuE8ELNS1_3repE0EEENS1_30default_config_static_selectorELNS0_4arch9wavefront6targetE0EEEvS10_,"axG",@progbits,_ZN7rocprim17ROCPRIM_400000_NS6detail17trampoline_kernelINS0_14default_configENS1_21merge_config_selectorINS0_5tupleIJddEEENS0_10empty_typeEEEZNS1_10merge_implIS3_NS0_12zip_iteratorINS5_IJN6thrust23THRUST_200600_302600_NS6detail15normal_iteratorINSC_10device_ptrIKdEEEESI_EEEEESK_NSA_INS5_IJNSE_INSF_IdEEEESM_EEEEEPS7_SP_SP_NSC_11hip_rocprim7__merge17predicate_wrapperIddNSC_7greaterIdEEEEEE10hipError_tPvRmT0_T1_T2_T3_T4_T5_mmT6_P12ihipStream_tbEUlT_E0_NS1_11comp_targetILNS1_3genE4ELNS1_11target_archE910ELNS1_3gpuE8ELNS1_3repE0EEENS1_30default_config_static_selectorELNS0_4arch9wavefront6targetE0EEEvS10_,comdat
	.protected	_ZN7rocprim17ROCPRIM_400000_NS6detail17trampoline_kernelINS0_14default_configENS1_21merge_config_selectorINS0_5tupleIJddEEENS0_10empty_typeEEEZNS1_10merge_implIS3_NS0_12zip_iteratorINS5_IJN6thrust23THRUST_200600_302600_NS6detail15normal_iteratorINSC_10device_ptrIKdEEEESI_EEEEESK_NSA_INS5_IJNSE_INSF_IdEEEESM_EEEEEPS7_SP_SP_NSC_11hip_rocprim7__merge17predicate_wrapperIddNSC_7greaterIdEEEEEE10hipError_tPvRmT0_T1_T2_T3_T4_T5_mmT6_P12ihipStream_tbEUlT_E0_NS1_11comp_targetILNS1_3genE4ELNS1_11target_archE910ELNS1_3gpuE8ELNS1_3repE0EEENS1_30default_config_static_selectorELNS0_4arch9wavefront6targetE0EEEvS10_ ; -- Begin function _ZN7rocprim17ROCPRIM_400000_NS6detail17trampoline_kernelINS0_14default_configENS1_21merge_config_selectorINS0_5tupleIJddEEENS0_10empty_typeEEEZNS1_10merge_implIS3_NS0_12zip_iteratorINS5_IJN6thrust23THRUST_200600_302600_NS6detail15normal_iteratorINSC_10device_ptrIKdEEEESI_EEEEESK_NSA_INS5_IJNSE_INSF_IdEEEESM_EEEEEPS7_SP_SP_NSC_11hip_rocprim7__merge17predicate_wrapperIddNSC_7greaterIdEEEEEE10hipError_tPvRmT0_T1_T2_T3_T4_T5_mmT6_P12ihipStream_tbEUlT_E0_NS1_11comp_targetILNS1_3genE4ELNS1_11target_archE910ELNS1_3gpuE8ELNS1_3repE0EEENS1_30default_config_static_selectorELNS0_4arch9wavefront6targetE0EEEvS10_
	.globl	_ZN7rocprim17ROCPRIM_400000_NS6detail17trampoline_kernelINS0_14default_configENS1_21merge_config_selectorINS0_5tupleIJddEEENS0_10empty_typeEEEZNS1_10merge_implIS3_NS0_12zip_iteratorINS5_IJN6thrust23THRUST_200600_302600_NS6detail15normal_iteratorINSC_10device_ptrIKdEEEESI_EEEEESK_NSA_INS5_IJNSE_INSF_IdEEEESM_EEEEEPS7_SP_SP_NSC_11hip_rocprim7__merge17predicate_wrapperIddNSC_7greaterIdEEEEEE10hipError_tPvRmT0_T1_T2_T3_T4_T5_mmT6_P12ihipStream_tbEUlT_E0_NS1_11comp_targetILNS1_3genE4ELNS1_11target_archE910ELNS1_3gpuE8ELNS1_3repE0EEENS1_30default_config_static_selectorELNS0_4arch9wavefront6targetE0EEEvS10_
	.p2align	8
	.type	_ZN7rocprim17ROCPRIM_400000_NS6detail17trampoline_kernelINS0_14default_configENS1_21merge_config_selectorINS0_5tupleIJddEEENS0_10empty_typeEEEZNS1_10merge_implIS3_NS0_12zip_iteratorINS5_IJN6thrust23THRUST_200600_302600_NS6detail15normal_iteratorINSC_10device_ptrIKdEEEESI_EEEEESK_NSA_INS5_IJNSE_INSF_IdEEEESM_EEEEEPS7_SP_SP_NSC_11hip_rocprim7__merge17predicate_wrapperIddNSC_7greaterIdEEEEEE10hipError_tPvRmT0_T1_T2_T3_T4_T5_mmT6_P12ihipStream_tbEUlT_E0_NS1_11comp_targetILNS1_3genE4ELNS1_11target_archE910ELNS1_3gpuE8ELNS1_3repE0EEENS1_30default_config_static_selectorELNS0_4arch9wavefront6targetE0EEEvS10_,@function
_ZN7rocprim17ROCPRIM_400000_NS6detail17trampoline_kernelINS0_14default_configENS1_21merge_config_selectorINS0_5tupleIJddEEENS0_10empty_typeEEEZNS1_10merge_implIS3_NS0_12zip_iteratorINS5_IJN6thrust23THRUST_200600_302600_NS6detail15normal_iteratorINSC_10device_ptrIKdEEEESI_EEEEESK_NSA_INS5_IJNSE_INSF_IdEEEESM_EEEEEPS7_SP_SP_NSC_11hip_rocprim7__merge17predicate_wrapperIddNSC_7greaterIdEEEEEE10hipError_tPvRmT0_T1_T2_T3_T4_T5_mmT6_P12ihipStream_tbEUlT_E0_NS1_11comp_targetILNS1_3genE4ELNS1_11target_archE910ELNS1_3gpuE8ELNS1_3repE0EEENS1_30default_config_static_selectorELNS0_4arch9wavefront6targetE0EEEvS10_: ; @_ZN7rocprim17ROCPRIM_400000_NS6detail17trampoline_kernelINS0_14default_configENS1_21merge_config_selectorINS0_5tupleIJddEEENS0_10empty_typeEEEZNS1_10merge_implIS3_NS0_12zip_iteratorINS5_IJN6thrust23THRUST_200600_302600_NS6detail15normal_iteratorINSC_10device_ptrIKdEEEESI_EEEEESK_NSA_INS5_IJNSE_INSF_IdEEEESM_EEEEEPS7_SP_SP_NSC_11hip_rocprim7__merge17predicate_wrapperIddNSC_7greaterIdEEEEEE10hipError_tPvRmT0_T1_T2_T3_T4_T5_mmT6_P12ihipStream_tbEUlT_E0_NS1_11comp_targetILNS1_3genE4ELNS1_11target_archE910ELNS1_3gpuE8ELNS1_3repE0EEENS1_30default_config_static_selectorELNS0_4arch9wavefront6targetE0EEEvS10_
; %bb.0:
	.section	.rodata,"a",@progbits
	.p2align	6, 0x0
	.amdhsa_kernel _ZN7rocprim17ROCPRIM_400000_NS6detail17trampoline_kernelINS0_14default_configENS1_21merge_config_selectorINS0_5tupleIJddEEENS0_10empty_typeEEEZNS1_10merge_implIS3_NS0_12zip_iteratorINS5_IJN6thrust23THRUST_200600_302600_NS6detail15normal_iteratorINSC_10device_ptrIKdEEEESI_EEEEESK_NSA_INS5_IJNSE_INSF_IdEEEESM_EEEEEPS7_SP_SP_NSC_11hip_rocprim7__merge17predicate_wrapperIddNSC_7greaterIdEEEEEE10hipError_tPvRmT0_T1_T2_T3_T4_T5_mmT6_P12ihipStream_tbEUlT_E0_NS1_11comp_targetILNS1_3genE4ELNS1_11target_archE910ELNS1_3gpuE8ELNS1_3repE0EEENS1_30default_config_static_selectorELNS0_4arch9wavefront6targetE0EEEvS10_
		.amdhsa_group_segment_fixed_size 0
		.amdhsa_private_segment_fixed_size 0
		.amdhsa_kernarg_size 112
		.amdhsa_user_sgpr_count 2
		.amdhsa_user_sgpr_dispatch_ptr 0
		.amdhsa_user_sgpr_queue_ptr 0
		.amdhsa_user_sgpr_kernarg_segment_ptr 1
		.amdhsa_user_sgpr_dispatch_id 0
		.amdhsa_user_sgpr_kernarg_preload_length 0
		.amdhsa_user_sgpr_kernarg_preload_offset 0
		.amdhsa_user_sgpr_private_segment_size 0
		.amdhsa_wavefront_size32 1
		.amdhsa_uses_dynamic_stack 0
		.amdhsa_enable_private_segment 0
		.amdhsa_system_sgpr_workgroup_id_x 1
		.amdhsa_system_sgpr_workgroup_id_y 0
		.amdhsa_system_sgpr_workgroup_id_z 0
		.amdhsa_system_sgpr_workgroup_info 0
		.amdhsa_system_vgpr_workitem_id 0
		.amdhsa_next_free_vgpr 1
		.amdhsa_next_free_sgpr 1
		.amdhsa_named_barrier_count 0
		.amdhsa_reserve_vcc 0
		.amdhsa_float_round_mode_32 0
		.amdhsa_float_round_mode_16_64 0
		.amdhsa_float_denorm_mode_32 3
		.amdhsa_float_denorm_mode_16_64 3
		.amdhsa_fp16_overflow 0
		.amdhsa_memory_ordered 1
		.amdhsa_forward_progress 1
		.amdhsa_inst_pref_size 0
		.amdhsa_round_robin_scheduling 0
		.amdhsa_exception_fp_ieee_invalid_op 0
		.amdhsa_exception_fp_denorm_src 0
		.amdhsa_exception_fp_ieee_div_zero 0
		.amdhsa_exception_fp_ieee_overflow 0
		.amdhsa_exception_fp_ieee_underflow 0
		.amdhsa_exception_fp_ieee_inexact 0
		.amdhsa_exception_int_div_zero 0
	.end_amdhsa_kernel
	.section	.text._ZN7rocprim17ROCPRIM_400000_NS6detail17trampoline_kernelINS0_14default_configENS1_21merge_config_selectorINS0_5tupleIJddEEENS0_10empty_typeEEEZNS1_10merge_implIS3_NS0_12zip_iteratorINS5_IJN6thrust23THRUST_200600_302600_NS6detail15normal_iteratorINSC_10device_ptrIKdEEEESI_EEEEESK_NSA_INS5_IJNSE_INSF_IdEEEESM_EEEEEPS7_SP_SP_NSC_11hip_rocprim7__merge17predicate_wrapperIddNSC_7greaterIdEEEEEE10hipError_tPvRmT0_T1_T2_T3_T4_T5_mmT6_P12ihipStream_tbEUlT_E0_NS1_11comp_targetILNS1_3genE4ELNS1_11target_archE910ELNS1_3gpuE8ELNS1_3repE0EEENS1_30default_config_static_selectorELNS0_4arch9wavefront6targetE0EEEvS10_,"axG",@progbits,_ZN7rocprim17ROCPRIM_400000_NS6detail17trampoline_kernelINS0_14default_configENS1_21merge_config_selectorINS0_5tupleIJddEEENS0_10empty_typeEEEZNS1_10merge_implIS3_NS0_12zip_iteratorINS5_IJN6thrust23THRUST_200600_302600_NS6detail15normal_iteratorINSC_10device_ptrIKdEEEESI_EEEEESK_NSA_INS5_IJNSE_INSF_IdEEEESM_EEEEEPS7_SP_SP_NSC_11hip_rocprim7__merge17predicate_wrapperIddNSC_7greaterIdEEEEEE10hipError_tPvRmT0_T1_T2_T3_T4_T5_mmT6_P12ihipStream_tbEUlT_E0_NS1_11comp_targetILNS1_3genE4ELNS1_11target_archE910ELNS1_3gpuE8ELNS1_3repE0EEENS1_30default_config_static_selectorELNS0_4arch9wavefront6targetE0EEEvS10_,comdat
.Lfunc_end328:
	.size	_ZN7rocprim17ROCPRIM_400000_NS6detail17trampoline_kernelINS0_14default_configENS1_21merge_config_selectorINS0_5tupleIJddEEENS0_10empty_typeEEEZNS1_10merge_implIS3_NS0_12zip_iteratorINS5_IJN6thrust23THRUST_200600_302600_NS6detail15normal_iteratorINSC_10device_ptrIKdEEEESI_EEEEESK_NSA_INS5_IJNSE_INSF_IdEEEESM_EEEEEPS7_SP_SP_NSC_11hip_rocprim7__merge17predicate_wrapperIddNSC_7greaterIdEEEEEE10hipError_tPvRmT0_T1_T2_T3_T4_T5_mmT6_P12ihipStream_tbEUlT_E0_NS1_11comp_targetILNS1_3genE4ELNS1_11target_archE910ELNS1_3gpuE8ELNS1_3repE0EEENS1_30default_config_static_selectorELNS0_4arch9wavefront6targetE0EEEvS10_, .Lfunc_end328-_ZN7rocprim17ROCPRIM_400000_NS6detail17trampoline_kernelINS0_14default_configENS1_21merge_config_selectorINS0_5tupleIJddEEENS0_10empty_typeEEEZNS1_10merge_implIS3_NS0_12zip_iteratorINS5_IJN6thrust23THRUST_200600_302600_NS6detail15normal_iteratorINSC_10device_ptrIKdEEEESI_EEEEESK_NSA_INS5_IJNSE_INSF_IdEEEESM_EEEEEPS7_SP_SP_NSC_11hip_rocprim7__merge17predicate_wrapperIddNSC_7greaterIdEEEEEE10hipError_tPvRmT0_T1_T2_T3_T4_T5_mmT6_P12ihipStream_tbEUlT_E0_NS1_11comp_targetILNS1_3genE4ELNS1_11target_archE910ELNS1_3gpuE8ELNS1_3repE0EEENS1_30default_config_static_selectorELNS0_4arch9wavefront6targetE0EEEvS10_
                                        ; -- End function
	.set _ZN7rocprim17ROCPRIM_400000_NS6detail17trampoline_kernelINS0_14default_configENS1_21merge_config_selectorINS0_5tupleIJddEEENS0_10empty_typeEEEZNS1_10merge_implIS3_NS0_12zip_iteratorINS5_IJN6thrust23THRUST_200600_302600_NS6detail15normal_iteratorINSC_10device_ptrIKdEEEESI_EEEEESK_NSA_INS5_IJNSE_INSF_IdEEEESM_EEEEEPS7_SP_SP_NSC_11hip_rocprim7__merge17predicate_wrapperIddNSC_7greaterIdEEEEEE10hipError_tPvRmT0_T1_T2_T3_T4_T5_mmT6_P12ihipStream_tbEUlT_E0_NS1_11comp_targetILNS1_3genE4ELNS1_11target_archE910ELNS1_3gpuE8ELNS1_3repE0EEENS1_30default_config_static_selectorELNS0_4arch9wavefront6targetE0EEEvS10_.num_vgpr, 0
	.set _ZN7rocprim17ROCPRIM_400000_NS6detail17trampoline_kernelINS0_14default_configENS1_21merge_config_selectorINS0_5tupleIJddEEENS0_10empty_typeEEEZNS1_10merge_implIS3_NS0_12zip_iteratorINS5_IJN6thrust23THRUST_200600_302600_NS6detail15normal_iteratorINSC_10device_ptrIKdEEEESI_EEEEESK_NSA_INS5_IJNSE_INSF_IdEEEESM_EEEEEPS7_SP_SP_NSC_11hip_rocprim7__merge17predicate_wrapperIddNSC_7greaterIdEEEEEE10hipError_tPvRmT0_T1_T2_T3_T4_T5_mmT6_P12ihipStream_tbEUlT_E0_NS1_11comp_targetILNS1_3genE4ELNS1_11target_archE910ELNS1_3gpuE8ELNS1_3repE0EEENS1_30default_config_static_selectorELNS0_4arch9wavefront6targetE0EEEvS10_.num_agpr, 0
	.set _ZN7rocprim17ROCPRIM_400000_NS6detail17trampoline_kernelINS0_14default_configENS1_21merge_config_selectorINS0_5tupleIJddEEENS0_10empty_typeEEEZNS1_10merge_implIS3_NS0_12zip_iteratorINS5_IJN6thrust23THRUST_200600_302600_NS6detail15normal_iteratorINSC_10device_ptrIKdEEEESI_EEEEESK_NSA_INS5_IJNSE_INSF_IdEEEESM_EEEEEPS7_SP_SP_NSC_11hip_rocprim7__merge17predicate_wrapperIddNSC_7greaterIdEEEEEE10hipError_tPvRmT0_T1_T2_T3_T4_T5_mmT6_P12ihipStream_tbEUlT_E0_NS1_11comp_targetILNS1_3genE4ELNS1_11target_archE910ELNS1_3gpuE8ELNS1_3repE0EEENS1_30default_config_static_selectorELNS0_4arch9wavefront6targetE0EEEvS10_.numbered_sgpr, 0
	.set _ZN7rocprim17ROCPRIM_400000_NS6detail17trampoline_kernelINS0_14default_configENS1_21merge_config_selectorINS0_5tupleIJddEEENS0_10empty_typeEEEZNS1_10merge_implIS3_NS0_12zip_iteratorINS5_IJN6thrust23THRUST_200600_302600_NS6detail15normal_iteratorINSC_10device_ptrIKdEEEESI_EEEEESK_NSA_INS5_IJNSE_INSF_IdEEEESM_EEEEEPS7_SP_SP_NSC_11hip_rocprim7__merge17predicate_wrapperIddNSC_7greaterIdEEEEEE10hipError_tPvRmT0_T1_T2_T3_T4_T5_mmT6_P12ihipStream_tbEUlT_E0_NS1_11comp_targetILNS1_3genE4ELNS1_11target_archE910ELNS1_3gpuE8ELNS1_3repE0EEENS1_30default_config_static_selectorELNS0_4arch9wavefront6targetE0EEEvS10_.num_named_barrier, 0
	.set _ZN7rocprim17ROCPRIM_400000_NS6detail17trampoline_kernelINS0_14default_configENS1_21merge_config_selectorINS0_5tupleIJddEEENS0_10empty_typeEEEZNS1_10merge_implIS3_NS0_12zip_iteratorINS5_IJN6thrust23THRUST_200600_302600_NS6detail15normal_iteratorINSC_10device_ptrIKdEEEESI_EEEEESK_NSA_INS5_IJNSE_INSF_IdEEEESM_EEEEEPS7_SP_SP_NSC_11hip_rocprim7__merge17predicate_wrapperIddNSC_7greaterIdEEEEEE10hipError_tPvRmT0_T1_T2_T3_T4_T5_mmT6_P12ihipStream_tbEUlT_E0_NS1_11comp_targetILNS1_3genE4ELNS1_11target_archE910ELNS1_3gpuE8ELNS1_3repE0EEENS1_30default_config_static_selectorELNS0_4arch9wavefront6targetE0EEEvS10_.private_seg_size, 0
	.set _ZN7rocprim17ROCPRIM_400000_NS6detail17trampoline_kernelINS0_14default_configENS1_21merge_config_selectorINS0_5tupleIJddEEENS0_10empty_typeEEEZNS1_10merge_implIS3_NS0_12zip_iteratorINS5_IJN6thrust23THRUST_200600_302600_NS6detail15normal_iteratorINSC_10device_ptrIKdEEEESI_EEEEESK_NSA_INS5_IJNSE_INSF_IdEEEESM_EEEEEPS7_SP_SP_NSC_11hip_rocprim7__merge17predicate_wrapperIddNSC_7greaterIdEEEEEE10hipError_tPvRmT0_T1_T2_T3_T4_T5_mmT6_P12ihipStream_tbEUlT_E0_NS1_11comp_targetILNS1_3genE4ELNS1_11target_archE910ELNS1_3gpuE8ELNS1_3repE0EEENS1_30default_config_static_selectorELNS0_4arch9wavefront6targetE0EEEvS10_.uses_vcc, 0
	.set _ZN7rocprim17ROCPRIM_400000_NS6detail17trampoline_kernelINS0_14default_configENS1_21merge_config_selectorINS0_5tupleIJddEEENS0_10empty_typeEEEZNS1_10merge_implIS3_NS0_12zip_iteratorINS5_IJN6thrust23THRUST_200600_302600_NS6detail15normal_iteratorINSC_10device_ptrIKdEEEESI_EEEEESK_NSA_INS5_IJNSE_INSF_IdEEEESM_EEEEEPS7_SP_SP_NSC_11hip_rocprim7__merge17predicate_wrapperIddNSC_7greaterIdEEEEEE10hipError_tPvRmT0_T1_T2_T3_T4_T5_mmT6_P12ihipStream_tbEUlT_E0_NS1_11comp_targetILNS1_3genE4ELNS1_11target_archE910ELNS1_3gpuE8ELNS1_3repE0EEENS1_30default_config_static_selectorELNS0_4arch9wavefront6targetE0EEEvS10_.uses_flat_scratch, 0
	.set _ZN7rocprim17ROCPRIM_400000_NS6detail17trampoline_kernelINS0_14default_configENS1_21merge_config_selectorINS0_5tupleIJddEEENS0_10empty_typeEEEZNS1_10merge_implIS3_NS0_12zip_iteratorINS5_IJN6thrust23THRUST_200600_302600_NS6detail15normal_iteratorINSC_10device_ptrIKdEEEESI_EEEEESK_NSA_INS5_IJNSE_INSF_IdEEEESM_EEEEEPS7_SP_SP_NSC_11hip_rocprim7__merge17predicate_wrapperIddNSC_7greaterIdEEEEEE10hipError_tPvRmT0_T1_T2_T3_T4_T5_mmT6_P12ihipStream_tbEUlT_E0_NS1_11comp_targetILNS1_3genE4ELNS1_11target_archE910ELNS1_3gpuE8ELNS1_3repE0EEENS1_30default_config_static_selectorELNS0_4arch9wavefront6targetE0EEEvS10_.has_dyn_sized_stack, 0
	.set _ZN7rocprim17ROCPRIM_400000_NS6detail17trampoline_kernelINS0_14default_configENS1_21merge_config_selectorINS0_5tupleIJddEEENS0_10empty_typeEEEZNS1_10merge_implIS3_NS0_12zip_iteratorINS5_IJN6thrust23THRUST_200600_302600_NS6detail15normal_iteratorINSC_10device_ptrIKdEEEESI_EEEEESK_NSA_INS5_IJNSE_INSF_IdEEEESM_EEEEEPS7_SP_SP_NSC_11hip_rocprim7__merge17predicate_wrapperIddNSC_7greaterIdEEEEEE10hipError_tPvRmT0_T1_T2_T3_T4_T5_mmT6_P12ihipStream_tbEUlT_E0_NS1_11comp_targetILNS1_3genE4ELNS1_11target_archE910ELNS1_3gpuE8ELNS1_3repE0EEENS1_30default_config_static_selectorELNS0_4arch9wavefront6targetE0EEEvS10_.has_recursion, 0
	.set _ZN7rocprim17ROCPRIM_400000_NS6detail17trampoline_kernelINS0_14default_configENS1_21merge_config_selectorINS0_5tupleIJddEEENS0_10empty_typeEEEZNS1_10merge_implIS3_NS0_12zip_iteratorINS5_IJN6thrust23THRUST_200600_302600_NS6detail15normal_iteratorINSC_10device_ptrIKdEEEESI_EEEEESK_NSA_INS5_IJNSE_INSF_IdEEEESM_EEEEEPS7_SP_SP_NSC_11hip_rocprim7__merge17predicate_wrapperIddNSC_7greaterIdEEEEEE10hipError_tPvRmT0_T1_T2_T3_T4_T5_mmT6_P12ihipStream_tbEUlT_E0_NS1_11comp_targetILNS1_3genE4ELNS1_11target_archE910ELNS1_3gpuE8ELNS1_3repE0EEENS1_30default_config_static_selectorELNS0_4arch9wavefront6targetE0EEEvS10_.has_indirect_call, 0
	.section	.AMDGPU.csdata,"",@progbits
; Kernel info:
; codeLenInByte = 0
; TotalNumSgprs: 0
; NumVgprs: 0
; ScratchSize: 0
; MemoryBound: 0
; FloatMode: 240
; IeeeMode: 1
; LDSByteSize: 0 bytes/workgroup (compile time only)
; SGPRBlocks: 0
; VGPRBlocks: 0
; NumSGPRsForWavesPerEU: 1
; NumVGPRsForWavesPerEU: 1
; NamedBarCnt: 0
; Occupancy: 16
; WaveLimiterHint : 0
; COMPUTE_PGM_RSRC2:SCRATCH_EN: 0
; COMPUTE_PGM_RSRC2:USER_SGPR: 2
; COMPUTE_PGM_RSRC2:TRAP_HANDLER: 0
; COMPUTE_PGM_RSRC2:TGID_X_EN: 1
; COMPUTE_PGM_RSRC2:TGID_Y_EN: 0
; COMPUTE_PGM_RSRC2:TGID_Z_EN: 0
; COMPUTE_PGM_RSRC2:TIDIG_COMP_CNT: 0
	.section	.text._ZN7rocprim17ROCPRIM_400000_NS6detail17trampoline_kernelINS0_14default_configENS1_21merge_config_selectorINS0_5tupleIJddEEENS0_10empty_typeEEEZNS1_10merge_implIS3_NS0_12zip_iteratorINS5_IJN6thrust23THRUST_200600_302600_NS6detail15normal_iteratorINSC_10device_ptrIKdEEEESI_EEEEESK_NSA_INS5_IJNSE_INSF_IdEEEESM_EEEEEPS7_SP_SP_NSC_11hip_rocprim7__merge17predicate_wrapperIddNSC_7greaterIdEEEEEE10hipError_tPvRmT0_T1_T2_T3_T4_T5_mmT6_P12ihipStream_tbEUlT_E0_NS1_11comp_targetILNS1_3genE3ELNS1_11target_archE908ELNS1_3gpuE7ELNS1_3repE0EEENS1_30default_config_static_selectorELNS0_4arch9wavefront6targetE0EEEvS10_,"axG",@progbits,_ZN7rocprim17ROCPRIM_400000_NS6detail17trampoline_kernelINS0_14default_configENS1_21merge_config_selectorINS0_5tupleIJddEEENS0_10empty_typeEEEZNS1_10merge_implIS3_NS0_12zip_iteratorINS5_IJN6thrust23THRUST_200600_302600_NS6detail15normal_iteratorINSC_10device_ptrIKdEEEESI_EEEEESK_NSA_INS5_IJNSE_INSF_IdEEEESM_EEEEEPS7_SP_SP_NSC_11hip_rocprim7__merge17predicate_wrapperIddNSC_7greaterIdEEEEEE10hipError_tPvRmT0_T1_T2_T3_T4_T5_mmT6_P12ihipStream_tbEUlT_E0_NS1_11comp_targetILNS1_3genE3ELNS1_11target_archE908ELNS1_3gpuE7ELNS1_3repE0EEENS1_30default_config_static_selectorELNS0_4arch9wavefront6targetE0EEEvS10_,comdat
	.protected	_ZN7rocprim17ROCPRIM_400000_NS6detail17trampoline_kernelINS0_14default_configENS1_21merge_config_selectorINS0_5tupleIJddEEENS0_10empty_typeEEEZNS1_10merge_implIS3_NS0_12zip_iteratorINS5_IJN6thrust23THRUST_200600_302600_NS6detail15normal_iteratorINSC_10device_ptrIKdEEEESI_EEEEESK_NSA_INS5_IJNSE_INSF_IdEEEESM_EEEEEPS7_SP_SP_NSC_11hip_rocprim7__merge17predicate_wrapperIddNSC_7greaterIdEEEEEE10hipError_tPvRmT0_T1_T2_T3_T4_T5_mmT6_P12ihipStream_tbEUlT_E0_NS1_11comp_targetILNS1_3genE3ELNS1_11target_archE908ELNS1_3gpuE7ELNS1_3repE0EEENS1_30default_config_static_selectorELNS0_4arch9wavefront6targetE0EEEvS10_ ; -- Begin function _ZN7rocprim17ROCPRIM_400000_NS6detail17trampoline_kernelINS0_14default_configENS1_21merge_config_selectorINS0_5tupleIJddEEENS0_10empty_typeEEEZNS1_10merge_implIS3_NS0_12zip_iteratorINS5_IJN6thrust23THRUST_200600_302600_NS6detail15normal_iteratorINSC_10device_ptrIKdEEEESI_EEEEESK_NSA_INS5_IJNSE_INSF_IdEEEESM_EEEEEPS7_SP_SP_NSC_11hip_rocprim7__merge17predicate_wrapperIddNSC_7greaterIdEEEEEE10hipError_tPvRmT0_T1_T2_T3_T4_T5_mmT6_P12ihipStream_tbEUlT_E0_NS1_11comp_targetILNS1_3genE3ELNS1_11target_archE908ELNS1_3gpuE7ELNS1_3repE0EEENS1_30default_config_static_selectorELNS0_4arch9wavefront6targetE0EEEvS10_
	.globl	_ZN7rocprim17ROCPRIM_400000_NS6detail17trampoline_kernelINS0_14default_configENS1_21merge_config_selectorINS0_5tupleIJddEEENS0_10empty_typeEEEZNS1_10merge_implIS3_NS0_12zip_iteratorINS5_IJN6thrust23THRUST_200600_302600_NS6detail15normal_iteratorINSC_10device_ptrIKdEEEESI_EEEEESK_NSA_INS5_IJNSE_INSF_IdEEEESM_EEEEEPS7_SP_SP_NSC_11hip_rocprim7__merge17predicate_wrapperIddNSC_7greaterIdEEEEEE10hipError_tPvRmT0_T1_T2_T3_T4_T5_mmT6_P12ihipStream_tbEUlT_E0_NS1_11comp_targetILNS1_3genE3ELNS1_11target_archE908ELNS1_3gpuE7ELNS1_3repE0EEENS1_30default_config_static_selectorELNS0_4arch9wavefront6targetE0EEEvS10_
	.p2align	8
	.type	_ZN7rocprim17ROCPRIM_400000_NS6detail17trampoline_kernelINS0_14default_configENS1_21merge_config_selectorINS0_5tupleIJddEEENS0_10empty_typeEEEZNS1_10merge_implIS3_NS0_12zip_iteratorINS5_IJN6thrust23THRUST_200600_302600_NS6detail15normal_iteratorINSC_10device_ptrIKdEEEESI_EEEEESK_NSA_INS5_IJNSE_INSF_IdEEEESM_EEEEEPS7_SP_SP_NSC_11hip_rocprim7__merge17predicate_wrapperIddNSC_7greaterIdEEEEEE10hipError_tPvRmT0_T1_T2_T3_T4_T5_mmT6_P12ihipStream_tbEUlT_E0_NS1_11comp_targetILNS1_3genE3ELNS1_11target_archE908ELNS1_3gpuE7ELNS1_3repE0EEENS1_30default_config_static_selectorELNS0_4arch9wavefront6targetE0EEEvS10_,@function
_ZN7rocprim17ROCPRIM_400000_NS6detail17trampoline_kernelINS0_14default_configENS1_21merge_config_selectorINS0_5tupleIJddEEENS0_10empty_typeEEEZNS1_10merge_implIS3_NS0_12zip_iteratorINS5_IJN6thrust23THRUST_200600_302600_NS6detail15normal_iteratorINSC_10device_ptrIKdEEEESI_EEEEESK_NSA_INS5_IJNSE_INSF_IdEEEESM_EEEEEPS7_SP_SP_NSC_11hip_rocprim7__merge17predicate_wrapperIddNSC_7greaterIdEEEEEE10hipError_tPvRmT0_T1_T2_T3_T4_T5_mmT6_P12ihipStream_tbEUlT_E0_NS1_11comp_targetILNS1_3genE3ELNS1_11target_archE908ELNS1_3gpuE7ELNS1_3repE0EEENS1_30default_config_static_selectorELNS0_4arch9wavefront6targetE0EEEvS10_: ; @_ZN7rocprim17ROCPRIM_400000_NS6detail17trampoline_kernelINS0_14default_configENS1_21merge_config_selectorINS0_5tupleIJddEEENS0_10empty_typeEEEZNS1_10merge_implIS3_NS0_12zip_iteratorINS5_IJN6thrust23THRUST_200600_302600_NS6detail15normal_iteratorINSC_10device_ptrIKdEEEESI_EEEEESK_NSA_INS5_IJNSE_INSF_IdEEEESM_EEEEEPS7_SP_SP_NSC_11hip_rocprim7__merge17predicate_wrapperIddNSC_7greaterIdEEEEEE10hipError_tPvRmT0_T1_T2_T3_T4_T5_mmT6_P12ihipStream_tbEUlT_E0_NS1_11comp_targetILNS1_3genE3ELNS1_11target_archE908ELNS1_3gpuE7ELNS1_3repE0EEENS1_30default_config_static_selectorELNS0_4arch9wavefront6targetE0EEEvS10_
; %bb.0:
	.section	.rodata,"a",@progbits
	.p2align	6, 0x0
	.amdhsa_kernel _ZN7rocprim17ROCPRIM_400000_NS6detail17trampoline_kernelINS0_14default_configENS1_21merge_config_selectorINS0_5tupleIJddEEENS0_10empty_typeEEEZNS1_10merge_implIS3_NS0_12zip_iteratorINS5_IJN6thrust23THRUST_200600_302600_NS6detail15normal_iteratorINSC_10device_ptrIKdEEEESI_EEEEESK_NSA_INS5_IJNSE_INSF_IdEEEESM_EEEEEPS7_SP_SP_NSC_11hip_rocprim7__merge17predicate_wrapperIddNSC_7greaterIdEEEEEE10hipError_tPvRmT0_T1_T2_T3_T4_T5_mmT6_P12ihipStream_tbEUlT_E0_NS1_11comp_targetILNS1_3genE3ELNS1_11target_archE908ELNS1_3gpuE7ELNS1_3repE0EEENS1_30default_config_static_selectorELNS0_4arch9wavefront6targetE0EEEvS10_
		.amdhsa_group_segment_fixed_size 0
		.amdhsa_private_segment_fixed_size 0
		.amdhsa_kernarg_size 112
		.amdhsa_user_sgpr_count 2
		.amdhsa_user_sgpr_dispatch_ptr 0
		.amdhsa_user_sgpr_queue_ptr 0
		.amdhsa_user_sgpr_kernarg_segment_ptr 1
		.amdhsa_user_sgpr_dispatch_id 0
		.amdhsa_user_sgpr_kernarg_preload_length 0
		.amdhsa_user_sgpr_kernarg_preload_offset 0
		.amdhsa_user_sgpr_private_segment_size 0
		.amdhsa_wavefront_size32 1
		.amdhsa_uses_dynamic_stack 0
		.amdhsa_enable_private_segment 0
		.amdhsa_system_sgpr_workgroup_id_x 1
		.amdhsa_system_sgpr_workgroup_id_y 0
		.amdhsa_system_sgpr_workgroup_id_z 0
		.amdhsa_system_sgpr_workgroup_info 0
		.amdhsa_system_vgpr_workitem_id 0
		.amdhsa_next_free_vgpr 1
		.amdhsa_next_free_sgpr 1
		.amdhsa_named_barrier_count 0
		.amdhsa_reserve_vcc 0
		.amdhsa_float_round_mode_32 0
		.amdhsa_float_round_mode_16_64 0
		.amdhsa_float_denorm_mode_32 3
		.amdhsa_float_denorm_mode_16_64 3
		.amdhsa_fp16_overflow 0
		.amdhsa_memory_ordered 1
		.amdhsa_forward_progress 1
		.amdhsa_inst_pref_size 0
		.amdhsa_round_robin_scheduling 0
		.amdhsa_exception_fp_ieee_invalid_op 0
		.amdhsa_exception_fp_denorm_src 0
		.amdhsa_exception_fp_ieee_div_zero 0
		.amdhsa_exception_fp_ieee_overflow 0
		.amdhsa_exception_fp_ieee_underflow 0
		.amdhsa_exception_fp_ieee_inexact 0
		.amdhsa_exception_int_div_zero 0
	.end_amdhsa_kernel
	.section	.text._ZN7rocprim17ROCPRIM_400000_NS6detail17trampoline_kernelINS0_14default_configENS1_21merge_config_selectorINS0_5tupleIJddEEENS0_10empty_typeEEEZNS1_10merge_implIS3_NS0_12zip_iteratorINS5_IJN6thrust23THRUST_200600_302600_NS6detail15normal_iteratorINSC_10device_ptrIKdEEEESI_EEEEESK_NSA_INS5_IJNSE_INSF_IdEEEESM_EEEEEPS7_SP_SP_NSC_11hip_rocprim7__merge17predicate_wrapperIddNSC_7greaterIdEEEEEE10hipError_tPvRmT0_T1_T2_T3_T4_T5_mmT6_P12ihipStream_tbEUlT_E0_NS1_11comp_targetILNS1_3genE3ELNS1_11target_archE908ELNS1_3gpuE7ELNS1_3repE0EEENS1_30default_config_static_selectorELNS0_4arch9wavefront6targetE0EEEvS10_,"axG",@progbits,_ZN7rocprim17ROCPRIM_400000_NS6detail17trampoline_kernelINS0_14default_configENS1_21merge_config_selectorINS0_5tupleIJddEEENS0_10empty_typeEEEZNS1_10merge_implIS3_NS0_12zip_iteratorINS5_IJN6thrust23THRUST_200600_302600_NS6detail15normal_iteratorINSC_10device_ptrIKdEEEESI_EEEEESK_NSA_INS5_IJNSE_INSF_IdEEEESM_EEEEEPS7_SP_SP_NSC_11hip_rocprim7__merge17predicate_wrapperIddNSC_7greaterIdEEEEEE10hipError_tPvRmT0_T1_T2_T3_T4_T5_mmT6_P12ihipStream_tbEUlT_E0_NS1_11comp_targetILNS1_3genE3ELNS1_11target_archE908ELNS1_3gpuE7ELNS1_3repE0EEENS1_30default_config_static_selectorELNS0_4arch9wavefront6targetE0EEEvS10_,comdat
.Lfunc_end329:
	.size	_ZN7rocprim17ROCPRIM_400000_NS6detail17trampoline_kernelINS0_14default_configENS1_21merge_config_selectorINS0_5tupleIJddEEENS0_10empty_typeEEEZNS1_10merge_implIS3_NS0_12zip_iteratorINS5_IJN6thrust23THRUST_200600_302600_NS6detail15normal_iteratorINSC_10device_ptrIKdEEEESI_EEEEESK_NSA_INS5_IJNSE_INSF_IdEEEESM_EEEEEPS7_SP_SP_NSC_11hip_rocprim7__merge17predicate_wrapperIddNSC_7greaterIdEEEEEE10hipError_tPvRmT0_T1_T2_T3_T4_T5_mmT6_P12ihipStream_tbEUlT_E0_NS1_11comp_targetILNS1_3genE3ELNS1_11target_archE908ELNS1_3gpuE7ELNS1_3repE0EEENS1_30default_config_static_selectorELNS0_4arch9wavefront6targetE0EEEvS10_, .Lfunc_end329-_ZN7rocprim17ROCPRIM_400000_NS6detail17trampoline_kernelINS0_14default_configENS1_21merge_config_selectorINS0_5tupleIJddEEENS0_10empty_typeEEEZNS1_10merge_implIS3_NS0_12zip_iteratorINS5_IJN6thrust23THRUST_200600_302600_NS6detail15normal_iteratorINSC_10device_ptrIKdEEEESI_EEEEESK_NSA_INS5_IJNSE_INSF_IdEEEESM_EEEEEPS7_SP_SP_NSC_11hip_rocprim7__merge17predicate_wrapperIddNSC_7greaterIdEEEEEE10hipError_tPvRmT0_T1_T2_T3_T4_T5_mmT6_P12ihipStream_tbEUlT_E0_NS1_11comp_targetILNS1_3genE3ELNS1_11target_archE908ELNS1_3gpuE7ELNS1_3repE0EEENS1_30default_config_static_selectorELNS0_4arch9wavefront6targetE0EEEvS10_
                                        ; -- End function
	.set _ZN7rocprim17ROCPRIM_400000_NS6detail17trampoline_kernelINS0_14default_configENS1_21merge_config_selectorINS0_5tupleIJddEEENS0_10empty_typeEEEZNS1_10merge_implIS3_NS0_12zip_iteratorINS5_IJN6thrust23THRUST_200600_302600_NS6detail15normal_iteratorINSC_10device_ptrIKdEEEESI_EEEEESK_NSA_INS5_IJNSE_INSF_IdEEEESM_EEEEEPS7_SP_SP_NSC_11hip_rocprim7__merge17predicate_wrapperIddNSC_7greaterIdEEEEEE10hipError_tPvRmT0_T1_T2_T3_T4_T5_mmT6_P12ihipStream_tbEUlT_E0_NS1_11comp_targetILNS1_3genE3ELNS1_11target_archE908ELNS1_3gpuE7ELNS1_3repE0EEENS1_30default_config_static_selectorELNS0_4arch9wavefront6targetE0EEEvS10_.num_vgpr, 0
	.set _ZN7rocprim17ROCPRIM_400000_NS6detail17trampoline_kernelINS0_14default_configENS1_21merge_config_selectorINS0_5tupleIJddEEENS0_10empty_typeEEEZNS1_10merge_implIS3_NS0_12zip_iteratorINS5_IJN6thrust23THRUST_200600_302600_NS6detail15normal_iteratorINSC_10device_ptrIKdEEEESI_EEEEESK_NSA_INS5_IJNSE_INSF_IdEEEESM_EEEEEPS7_SP_SP_NSC_11hip_rocprim7__merge17predicate_wrapperIddNSC_7greaterIdEEEEEE10hipError_tPvRmT0_T1_T2_T3_T4_T5_mmT6_P12ihipStream_tbEUlT_E0_NS1_11comp_targetILNS1_3genE3ELNS1_11target_archE908ELNS1_3gpuE7ELNS1_3repE0EEENS1_30default_config_static_selectorELNS0_4arch9wavefront6targetE0EEEvS10_.num_agpr, 0
	.set _ZN7rocprim17ROCPRIM_400000_NS6detail17trampoline_kernelINS0_14default_configENS1_21merge_config_selectorINS0_5tupleIJddEEENS0_10empty_typeEEEZNS1_10merge_implIS3_NS0_12zip_iteratorINS5_IJN6thrust23THRUST_200600_302600_NS6detail15normal_iteratorINSC_10device_ptrIKdEEEESI_EEEEESK_NSA_INS5_IJNSE_INSF_IdEEEESM_EEEEEPS7_SP_SP_NSC_11hip_rocprim7__merge17predicate_wrapperIddNSC_7greaterIdEEEEEE10hipError_tPvRmT0_T1_T2_T3_T4_T5_mmT6_P12ihipStream_tbEUlT_E0_NS1_11comp_targetILNS1_3genE3ELNS1_11target_archE908ELNS1_3gpuE7ELNS1_3repE0EEENS1_30default_config_static_selectorELNS0_4arch9wavefront6targetE0EEEvS10_.numbered_sgpr, 0
	.set _ZN7rocprim17ROCPRIM_400000_NS6detail17trampoline_kernelINS0_14default_configENS1_21merge_config_selectorINS0_5tupleIJddEEENS0_10empty_typeEEEZNS1_10merge_implIS3_NS0_12zip_iteratorINS5_IJN6thrust23THRUST_200600_302600_NS6detail15normal_iteratorINSC_10device_ptrIKdEEEESI_EEEEESK_NSA_INS5_IJNSE_INSF_IdEEEESM_EEEEEPS7_SP_SP_NSC_11hip_rocprim7__merge17predicate_wrapperIddNSC_7greaterIdEEEEEE10hipError_tPvRmT0_T1_T2_T3_T4_T5_mmT6_P12ihipStream_tbEUlT_E0_NS1_11comp_targetILNS1_3genE3ELNS1_11target_archE908ELNS1_3gpuE7ELNS1_3repE0EEENS1_30default_config_static_selectorELNS0_4arch9wavefront6targetE0EEEvS10_.num_named_barrier, 0
	.set _ZN7rocprim17ROCPRIM_400000_NS6detail17trampoline_kernelINS0_14default_configENS1_21merge_config_selectorINS0_5tupleIJddEEENS0_10empty_typeEEEZNS1_10merge_implIS3_NS0_12zip_iteratorINS5_IJN6thrust23THRUST_200600_302600_NS6detail15normal_iteratorINSC_10device_ptrIKdEEEESI_EEEEESK_NSA_INS5_IJNSE_INSF_IdEEEESM_EEEEEPS7_SP_SP_NSC_11hip_rocprim7__merge17predicate_wrapperIddNSC_7greaterIdEEEEEE10hipError_tPvRmT0_T1_T2_T3_T4_T5_mmT6_P12ihipStream_tbEUlT_E0_NS1_11comp_targetILNS1_3genE3ELNS1_11target_archE908ELNS1_3gpuE7ELNS1_3repE0EEENS1_30default_config_static_selectorELNS0_4arch9wavefront6targetE0EEEvS10_.private_seg_size, 0
	.set _ZN7rocprim17ROCPRIM_400000_NS6detail17trampoline_kernelINS0_14default_configENS1_21merge_config_selectorINS0_5tupleIJddEEENS0_10empty_typeEEEZNS1_10merge_implIS3_NS0_12zip_iteratorINS5_IJN6thrust23THRUST_200600_302600_NS6detail15normal_iteratorINSC_10device_ptrIKdEEEESI_EEEEESK_NSA_INS5_IJNSE_INSF_IdEEEESM_EEEEEPS7_SP_SP_NSC_11hip_rocprim7__merge17predicate_wrapperIddNSC_7greaterIdEEEEEE10hipError_tPvRmT0_T1_T2_T3_T4_T5_mmT6_P12ihipStream_tbEUlT_E0_NS1_11comp_targetILNS1_3genE3ELNS1_11target_archE908ELNS1_3gpuE7ELNS1_3repE0EEENS1_30default_config_static_selectorELNS0_4arch9wavefront6targetE0EEEvS10_.uses_vcc, 0
	.set _ZN7rocprim17ROCPRIM_400000_NS6detail17trampoline_kernelINS0_14default_configENS1_21merge_config_selectorINS0_5tupleIJddEEENS0_10empty_typeEEEZNS1_10merge_implIS3_NS0_12zip_iteratorINS5_IJN6thrust23THRUST_200600_302600_NS6detail15normal_iteratorINSC_10device_ptrIKdEEEESI_EEEEESK_NSA_INS5_IJNSE_INSF_IdEEEESM_EEEEEPS7_SP_SP_NSC_11hip_rocprim7__merge17predicate_wrapperIddNSC_7greaterIdEEEEEE10hipError_tPvRmT0_T1_T2_T3_T4_T5_mmT6_P12ihipStream_tbEUlT_E0_NS1_11comp_targetILNS1_3genE3ELNS1_11target_archE908ELNS1_3gpuE7ELNS1_3repE0EEENS1_30default_config_static_selectorELNS0_4arch9wavefront6targetE0EEEvS10_.uses_flat_scratch, 0
	.set _ZN7rocprim17ROCPRIM_400000_NS6detail17trampoline_kernelINS0_14default_configENS1_21merge_config_selectorINS0_5tupleIJddEEENS0_10empty_typeEEEZNS1_10merge_implIS3_NS0_12zip_iteratorINS5_IJN6thrust23THRUST_200600_302600_NS6detail15normal_iteratorINSC_10device_ptrIKdEEEESI_EEEEESK_NSA_INS5_IJNSE_INSF_IdEEEESM_EEEEEPS7_SP_SP_NSC_11hip_rocprim7__merge17predicate_wrapperIddNSC_7greaterIdEEEEEE10hipError_tPvRmT0_T1_T2_T3_T4_T5_mmT6_P12ihipStream_tbEUlT_E0_NS1_11comp_targetILNS1_3genE3ELNS1_11target_archE908ELNS1_3gpuE7ELNS1_3repE0EEENS1_30default_config_static_selectorELNS0_4arch9wavefront6targetE0EEEvS10_.has_dyn_sized_stack, 0
	.set _ZN7rocprim17ROCPRIM_400000_NS6detail17trampoline_kernelINS0_14default_configENS1_21merge_config_selectorINS0_5tupleIJddEEENS0_10empty_typeEEEZNS1_10merge_implIS3_NS0_12zip_iteratorINS5_IJN6thrust23THRUST_200600_302600_NS6detail15normal_iteratorINSC_10device_ptrIKdEEEESI_EEEEESK_NSA_INS5_IJNSE_INSF_IdEEEESM_EEEEEPS7_SP_SP_NSC_11hip_rocprim7__merge17predicate_wrapperIddNSC_7greaterIdEEEEEE10hipError_tPvRmT0_T1_T2_T3_T4_T5_mmT6_P12ihipStream_tbEUlT_E0_NS1_11comp_targetILNS1_3genE3ELNS1_11target_archE908ELNS1_3gpuE7ELNS1_3repE0EEENS1_30default_config_static_selectorELNS0_4arch9wavefront6targetE0EEEvS10_.has_recursion, 0
	.set _ZN7rocprim17ROCPRIM_400000_NS6detail17trampoline_kernelINS0_14default_configENS1_21merge_config_selectorINS0_5tupleIJddEEENS0_10empty_typeEEEZNS1_10merge_implIS3_NS0_12zip_iteratorINS5_IJN6thrust23THRUST_200600_302600_NS6detail15normal_iteratorINSC_10device_ptrIKdEEEESI_EEEEESK_NSA_INS5_IJNSE_INSF_IdEEEESM_EEEEEPS7_SP_SP_NSC_11hip_rocprim7__merge17predicate_wrapperIddNSC_7greaterIdEEEEEE10hipError_tPvRmT0_T1_T2_T3_T4_T5_mmT6_P12ihipStream_tbEUlT_E0_NS1_11comp_targetILNS1_3genE3ELNS1_11target_archE908ELNS1_3gpuE7ELNS1_3repE0EEENS1_30default_config_static_selectorELNS0_4arch9wavefront6targetE0EEEvS10_.has_indirect_call, 0
	.section	.AMDGPU.csdata,"",@progbits
; Kernel info:
; codeLenInByte = 0
; TotalNumSgprs: 0
; NumVgprs: 0
; ScratchSize: 0
; MemoryBound: 0
; FloatMode: 240
; IeeeMode: 1
; LDSByteSize: 0 bytes/workgroup (compile time only)
; SGPRBlocks: 0
; VGPRBlocks: 0
; NumSGPRsForWavesPerEU: 1
; NumVGPRsForWavesPerEU: 1
; NamedBarCnt: 0
; Occupancy: 16
; WaveLimiterHint : 0
; COMPUTE_PGM_RSRC2:SCRATCH_EN: 0
; COMPUTE_PGM_RSRC2:USER_SGPR: 2
; COMPUTE_PGM_RSRC2:TRAP_HANDLER: 0
; COMPUTE_PGM_RSRC2:TGID_X_EN: 1
; COMPUTE_PGM_RSRC2:TGID_Y_EN: 0
; COMPUTE_PGM_RSRC2:TGID_Z_EN: 0
; COMPUTE_PGM_RSRC2:TIDIG_COMP_CNT: 0
	.section	.text._ZN7rocprim17ROCPRIM_400000_NS6detail17trampoline_kernelINS0_14default_configENS1_21merge_config_selectorINS0_5tupleIJddEEENS0_10empty_typeEEEZNS1_10merge_implIS3_NS0_12zip_iteratorINS5_IJN6thrust23THRUST_200600_302600_NS6detail15normal_iteratorINSC_10device_ptrIKdEEEESI_EEEEESK_NSA_INS5_IJNSE_INSF_IdEEEESM_EEEEEPS7_SP_SP_NSC_11hip_rocprim7__merge17predicate_wrapperIddNSC_7greaterIdEEEEEE10hipError_tPvRmT0_T1_T2_T3_T4_T5_mmT6_P12ihipStream_tbEUlT_E0_NS1_11comp_targetILNS1_3genE2ELNS1_11target_archE906ELNS1_3gpuE6ELNS1_3repE0EEENS1_30default_config_static_selectorELNS0_4arch9wavefront6targetE0EEEvS10_,"axG",@progbits,_ZN7rocprim17ROCPRIM_400000_NS6detail17trampoline_kernelINS0_14default_configENS1_21merge_config_selectorINS0_5tupleIJddEEENS0_10empty_typeEEEZNS1_10merge_implIS3_NS0_12zip_iteratorINS5_IJN6thrust23THRUST_200600_302600_NS6detail15normal_iteratorINSC_10device_ptrIKdEEEESI_EEEEESK_NSA_INS5_IJNSE_INSF_IdEEEESM_EEEEEPS7_SP_SP_NSC_11hip_rocprim7__merge17predicate_wrapperIddNSC_7greaterIdEEEEEE10hipError_tPvRmT0_T1_T2_T3_T4_T5_mmT6_P12ihipStream_tbEUlT_E0_NS1_11comp_targetILNS1_3genE2ELNS1_11target_archE906ELNS1_3gpuE6ELNS1_3repE0EEENS1_30default_config_static_selectorELNS0_4arch9wavefront6targetE0EEEvS10_,comdat
	.protected	_ZN7rocprim17ROCPRIM_400000_NS6detail17trampoline_kernelINS0_14default_configENS1_21merge_config_selectorINS0_5tupleIJddEEENS0_10empty_typeEEEZNS1_10merge_implIS3_NS0_12zip_iteratorINS5_IJN6thrust23THRUST_200600_302600_NS6detail15normal_iteratorINSC_10device_ptrIKdEEEESI_EEEEESK_NSA_INS5_IJNSE_INSF_IdEEEESM_EEEEEPS7_SP_SP_NSC_11hip_rocprim7__merge17predicate_wrapperIddNSC_7greaterIdEEEEEE10hipError_tPvRmT0_T1_T2_T3_T4_T5_mmT6_P12ihipStream_tbEUlT_E0_NS1_11comp_targetILNS1_3genE2ELNS1_11target_archE906ELNS1_3gpuE6ELNS1_3repE0EEENS1_30default_config_static_selectorELNS0_4arch9wavefront6targetE0EEEvS10_ ; -- Begin function _ZN7rocprim17ROCPRIM_400000_NS6detail17trampoline_kernelINS0_14default_configENS1_21merge_config_selectorINS0_5tupleIJddEEENS0_10empty_typeEEEZNS1_10merge_implIS3_NS0_12zip_iteratorINS5_IJN6thrust23THRUST_200600_302600_NS6detail15normal_iteratorINSC_10device_ptrIKdEEEESI_EEEEESK_NSA_INS5_IJNSE_INSF_IdEEEESM_EEEEEPS7_SP_SP_NSC_11hip_rocprim7__merge17predicate_wrapperIddNSC_7greaterIdEEEEEE10hipError_tPvRmT0_T1_T2_T3_T4_T5_mmT6_P12ihipStream_tbEUlT_E0_NS1_11comp_targetILNS1_3genE2ELNS1_11target_archE906ELNS1_3gpuE6ELNS1_3repE0EEENS1_30default_config_static_selectorELNS0_4arch9wavefront6targetE0EEEvS10_
	.globl	_ZN7rocprim17ROCPRIM_400000_NS6detail17trampoline_kernelINS0_14default_configENS1_21merge_config_selectorINS0_5tupleIJddEEENS0_10empty_typeEEEZNS1_10merge_implIS3_NS0_12zip_iteratorINS5_IJN6thrust23THRUST_200600_302600_NS6detail15normal_iteratorINSC_10device_ptrIKdEEEESI_EEEEESK_NSA_INS5_IJNSE_INSF_IdEEEESM_EEEEEPS7_SP_SP_NSC_11hip_rocprim7__merge17predicate_wrapperIddNSC_7greaterIdEEEEEE10hipError_tPvRmT0_T1_T2_T3_T4_T5_mmT6_P12ihipStream_tbEUlT_E0_NS1_11comp_targetILNS1_3genE2ELNS1_11target_archE906ELNS1_3gpuE6ELNS1_3repE0EEENS1_30default_config_static_selectorELNS0_4arch9wavefront6targetE0EEEvS10_
	.p2align	8
	.type	_ZN7rocprim17ROCPRIM_400000_NS6detail17trampoline_kernelINS0_14default_configENS1_21merge_config_selectorINS0_5tupleIJddEEENS0_10empty_typeEEEZNS1_10merge_implIS3_NS0_12zip_iteratorINS5_IJN6thrust23THRUST_200600_302600_NS6detail15normal_iteratorINSC_10device_ptrIKdEEEESI_EEEEESK_NSA_INS5_IJNSE_INSF_IdEEEESM_EEEEEPS7_SP_SP_NSC_11hip_rocprim7__merge17predicate_wrapperIddNSC_7greaterIdEEEEEE10hipError_tPvRmT0_T1_T2_T3_T4_T5_mmT6_P12ihipStream_tbEUlT_E0_NS1_11comp_targetILNS1_3genE2ELNS1_11target_archE906ELNS1_3gpuE6ELNS1_3repE0EEENS1_30default_config_static_selectorELNS0_4arch9wavefront6targetE0EEEvS10_,@function
_ZN7rocprim17ROCPRIM_400000_NS6detail17trampoline_kernelINS0_14default_configENS1_21merge_config_selectorINS0_5tupleIJddEEENS0_10empty_typeEEEZNS1_10merge_implIS3_NS0_12zip_iteratorINS5_IJN6thrust23THRUST_200600_302600_NS6detail15normal_iteratorINSC_10device_ptrIKdEEEESI_EEEEESK_NSA_INS5_IJNSE_INSF_IdEEEESM_EEEEEPS7_SP_SP_NSC_11hip_rocprim7__merge17predicate_wrapperIddNSC_7greaterIdEEEEEE10hipError_tPvRmT0_T1_T2_T3_T4_T5_mmT6_P12ihipStream_tbEUlT_E0_NS1_11comp_targetILNS1_3genE2ELNS1_11target_archE906ELNS1_3gpuE6ELNS1_3repE0EEENS1_30default_config_static_selectorELNS0_4arch9wavefront6targetE0EEEvS10_: ; @_ZN7rocprim17ROCPRIM_400000_NS6detail17trampoline_kernelINS0_14default_configENS1_21merge_config_selectorINS0_5tupleIJddEEENS0_10empty_typeEEEZNS1_10merge_implIS3_NS0_12zip_iteratorINS5_IJN6thrust23THRUST_200600_302600_NS6detail15normal_iteratorINSC_10device_ptrIKdEEEESI_EEEEESK_NSA_INS5_IJNSE_INSF_IdEEEESM_EEEEEPS7_SP_SP_NSC_11hip_rocprim7__merge17predicate_wrapperIddNSC_7greaterIdEEEEEE10hipError_tPvRmT0_T1_T2_T3_T4_T5_mmT6_P12ihipStream_tbEUlT_E0_NS1_11comp_targetILNS1_3genE2ELNS1_11target_archE906ELNS1_3gpuE6ELNS1_3repE0EEENS1_30default_config_static_selectorELNS0_4arch9wavefront6targetE0EEEvS10_
; %bb.0:
	.section	.rodata,"a",@progbits
	.p2align	6, 0x0
	.amdhsa_kernel _ZN7rocprim17ROCPRIM_400000_NS6detail17trampoline_kernelINS0_14default_configENS1_21merge_config_selectorINS0_5tupleIJddEEENS0_10empty_typeEEEZNS1_10merge_implIS3_NS0_12zip_iteratorINS5_IJN6thrust23THRUST_200600_302600_NS6detail15normal_iteratorINSC_10device_ptrIKdEEEESI_EEEEESK_NSA_INS5_IJNSE_INSF_IdEEEESM_EEEEEPS7_SP_SP_NSC_11hip_rocprim7__merge17predicate_wrapperIddNSC_7greaterIdEEEEEE10hipError_tPvRmT0_T1_T2_T3_T4_T5_mmT6_P12ihipStream_tbEUlT_E0_NS1_11comp_targetILNS1_3genE2ELNS1_11target_archE906ELNS1_3gpuE6ELNS1_3repE0EEENS1_30default_config_static_selectorELNS0_4arch9wavefront6targetE0EEEvS10_
		.amdhsa_group_segment_fixed_size 0
		.amdhsa_private_segment_fixed_size 0
		.amdhsa_kernarg_size 112
		.amdhsa_user_sgpr_count 2
		.amdhsa_user_sgpr_dispatch_ptr 0
		.amdhsa_user_sgpr_queue_ptr 0
		.amdhsa_user_sgpr_kernarg_segment_ptr 1
		.amdhsa_user_sgpr_dispatch_id 0
		.amdhsa_user_sgpr_kernarg_preload_length 0
		.amdhsa_user_sgpr_kernarg_preload_offset 0
		.amdhsa_user_sgpr_private_segment_size 0
		.amdhsa_wavefront_size32 1
		.amdhsa_uses_dynamic_stack 0
		.amdhsa_enable_private_segment 0
		.amdhsa_system_sgpr_workgroup_id_x 1
		.amdhsa_system_sgpr_workgroup_id_y 0
		.amdhsa_system_sgpr_workgroup_id_z 0
		.amdhsa_system_sgpr_workgroup_info 0
		.amdhsa_system_vgpr_workitem_id 0
		.amdhsa_next_free_vgpr 1
		.amdhsa_next_free_sgpr 1
		.amdhsa_named_barrier_count 0
		.amdhsa_reserve_vcc 0
		.amdhsa_float_round_mode_32 0
		.amdhsa_float_round_mode_16_64 0
		.amdhsa_float_denorm_mode_32 3
		.amdhsa_float_denorm_mode_16_64 3
		.amdhsa_fp16_overflow 0
		.amdhsa_memory_ordered 1
		.amdhsa_forward_progress 1
		.amdhsa_inst_pref_size 0
		.amdhsa_round_robin_scheduling 0
		.amdhsa_exception_fp_ieee_invalid_op 0
		.amdhsa_exception_fp_denorm_src 0
		.amdhsa_exception_fp_ieee_div_zero 0
		.amdhsa_exception_fp_ieee_overflow 0
		.amdhsa_exception_fp_ieee_underflow 0
		.amdhsa_exception_fp_ieee_inexact 0
		.amdhsa_exception_int_div_zero 0
	.end_amdhsa_kernel
	.section	.text._ZN7rocprim17ROCPRIM_400000_NS6detail17trampoline_kernelINS0_14default_configENS1_21merge_config_selectorINS0_5tupleIJddEEENS0_10empty_typeEEEZNS1_10merge_implIS3_NS0_12zip_iteratorINS5_IJN6thrust23THRUST_200600_302600_NS6detail15normal_iteratorINSC_10device_ptrIKdEEEESI_EEEEESK_NSA_INS5_IJNSE_INSF_IdEEEESM_EEEEEPS7_SP_SP_NSC_11hip_rocprim7__merge17predicate_wrapperIddNSC_7greaterIdEEEEEE10hipError_tPvRmT0_T1_T2_T3_T4_T5_mmT6_P12ihipStream_tbEUlT_E0_NS1_11comp_targetILNS1_3genE2ELNS1_11target_archE906ELNS1_3gpuE6ELNS1_3repE0EEENS1_30default_config_static_selectorELNS0_4arch9wavefront6targetE0EEEvS10_,"axG",@progbits,_ZN7rocprim17ROCPRIM_400000_NS6detail17trampoline_kernelINS0_14default_configENS1_21merge_config_selectorINS0_5tupleIJddEEENS0_10empty_typeEEEZNS1_10merge_implIS3_NS0_12zip_iteratorINS5_IJN6thrust23THRUST_200600_302600_NS6detail15normal_iteratorINSC_10device_ptrIKdEEEESI_EEEEESK_NSA_INS5_IJNSE_INSF_IdEEEESM_EEEEEPS7_SP_SP_NSC_11hip_rocprim7__merge17predicate_wrapperIddNSC_7greaterIdEEEEEE10hipError_tPvRmT0_T1_T2_T3_T4_T5_mmT6_P12ihipStream_tbEUlT_E0_NS1_11comp_targetILNS1_3genE2ELNS1_11target_archE906ELNS1_3gpuE6ELNS1_3repE0EEENS1_30default_config_static_selectorELNS0_4arch9wavefront6targetE0EEEvS10_,comdat
.Lfunc_end330:
	.size	_ZN7rocprim17ROCPRIM_400000_NS6detail17trampoline_kernelINS0_14default_configENS1_21merge_config_selectorINS0_5tupleIJddEEENS0_10empty_typeEEEZNS1_10merge_implIS3_NS0_12zip_iteratorINS5_IJN6thrust23THRUST_200600_302600_NS6detail15normal_iteratorINSC_10device_ptrIKdEEEESI_EEEEESK_NSA_INS5_IJNSE_INSF_IdEEEESM_EEEEEPS7_SP_SP_NSC_11hip_rocprim7__merge17predicate_wrapperIddNSC_7greaterIdEEEEEE10hipError_tPvRmT0_T1_T2_T3_T4_T5_mmT6_P12ihipStream_tbEUlT_E0_NS1_11comp_targetILNS1_3genE2ELNS1_11target_archE906ELNS1_3gpuE6ELNS1_3repE0EEENS1_30default_config_static_selectorELNS0_4arch9wavefront6targetE0EEEvS10_, .Lfunc_end330-_ZN7rocprim17ROCPRIM_400000_NS6detail17trampoline_kernelINS0_14default_configENS1_21merge_config_selectorINS0_5tupleIJddEEENS0_10empty_typeEEEZNS1_10merge_implIS3_NS0_12zip_iteratorINS5_IJN6thrust23THRUST_200600_302600_NS6detail15normal_iteratorINSC_10device_ptrIKdEEEESI_EEEEESK_NSA_INS5_IJNSE_INSF_IdEEEESM_EEEEEPS7_SP_SP_NSC_11hip_rocprim7__merge17predicate_wrapperIddNSC_7greaterIdEEEEEE10hipError_tPvRmT0_T1_T2_T3_T4_T5_mmT6_P12ihipStream_tbEUlT_E0_NS1_11comp_targetILNS1_3genE2ELNS1_11target_archE906ELNS1_3gpuE6ELNS1_3repE0EEENS1_30default_config_static_selectorELNS0_4arch9wavefront6targetE0EEEvS10_
                                        ; -- End function
	.set _ZN7rocprim17ROCPRIM_400000_NS6detail17trampoline_kernelINS0_14default_configENS1_21merge_config_selectorINS0_5tupleIJddEEENS0_10empty_typeEEEZNS1_10merge_implIS3_NS0_12zip_iteratorINS5_IJN6thrust23THRUST_200600_302600_NS6detail15normal_iteratorINSC_10device_ptrIKdEEEESI_EEEEESK_NSA_INS5_IJNSE_INSF_IdEEEESM_EEEEEPS7_SP_SP_NSC_11hip_rocprim7__merge17predicate_wrapperIddNSC_7greaterIdEEEEEE10hipError_tPvRmT0_T1_T2_T3_T4_T5_mmT6_P12ihipStream_tbEUlT_E0_NS1_11comp_targetILNS1_3genE2ELNS1_11target_archE906ELNS1_3gpuE6ELNS1_3repE0EEENS1_30default_config_static_selectorELNS0_4arch9wavefront6targetE0EEEvS10_.num_vgpr, 0
	.set _ZN7rocprim17ROCPRIM_400000_NS6detail17trampoline_kernelINS0_14default_configENS1_21merge_config_selectorINS0_5tupleIJddEEENS0_10empty_typeEEEZNS1_10merge_implIS3_NS0_12zip_iteratorINS5_IJN6thrust23THRUST_200600_302600_NS6detail15normal_iteratorINSC_10device_ptrIKdEEEESI_EEEEESK_NSA_INS5_IJNSE_INSF_IdEEEESM_EEEEEPS7_SP_SP_NSC_11hip_rocprim7__merge17predicate_wrapperIddNSC_7greaterIdEEEEEE10hipError_tPvRmT0_T1_T2_T3_T4_T5_mmT6_P12ihipStream_tbEUlT_E0_NS1_11comp_targetILNS1_3genE2ELNS1_11target_archE906ELNS1_3gpuE6ELNS1_3repE0EEENS1_30default_config_static_selectorELNS0_4arch9wavefront6targetE0EEEvS10_.num_agpr, 0
	.set _ZN7rocprim17ROCPRIM_400000_NS6detail17trampoline_kernelINS0_14default_configENS1_21merge_config_selectorINS0_5tupleIJddEEENS0_10empty_typeEEEZNS1_10merge_implIS3_NS0_12zip_iteratorINS5_IJN6thrust23THRUST_200600_302600_NS6detail15normal_iteratorINSC_10device_ptrIKdEEEESI_EEEEESK_NSA_INS5_IJNSE_INSF_IdEEEESM_EEEEEPS7_SP_SP_NSC_11hip_rocprim7__merge17predicate_wrapperIddNSC_7greaterIdEEEEEE10hipError_tPvRmT0_T1_T2_T3_T4_T5_mmT6_P12ihipStream_tbEUlT_E0_NS1_11comp_targetILNS1_3genE2ELNS1_11target_archE906ELNS1_3gpuE6ELNS1_3repE0EEENS1_30default_config_static_selectorELNS0_4arch9wavefront6targetE0EEEvS10_.numbered_sgpr, 0
	.set _ZN7rocprim17ROCPRIM_400000_NS6detail17trampoline_kernelINS0_14default_configENS1_21merge_config_selectorINS0_5tupleIJddEEENS0_10empty_typeEEEZNS1_10merge_implIS3_NS0_12zip_iteratorINS5_IJN6thrust23THRUST_200600_302600_NS6detail15normal_iteratorINSC_10device_ptrIKdEEEESI_EEEEESK_NSA_INS5_IJNSE_INSF_IdEEEESM_EEEEEPS7_SP_SP_NSC_11hip_rocprim7__merge17predicate_wrapperIddNSC_7greaterIdEEEEEE10hipError_tPvRmT0_T1_T2_T3_T4_T5_mmT6_P12ihipStream_tbEUlT_E0_NS1_11comp_targetILNS1_3genE2ELNS1_11target_archE906ELNS1_3gpuE6ELNS1_3repE0EEENS1_30default_config_static_selectorELNS0_4arch9wavefront6targetE0EEEvS10_.num_named_barrier, 0
	.set _ZN7rocprim17ROCPRIM_400000_NS6detail17trampoline_kernelINS0_14default_configENS1_21merge_config_selectorINS0_5tupleIJddEEENS0_10empty_typeEEEZNS1_10merge_implIS3_NS0_12zip_iteratorINS5_IJN6thrust23THRUST_200600_302600_NS6detail15normal_iteratorINSC_10device_ptrIKdEEEESI_EEEEESK_NSA_INS5_IJNSE_INSF_IdEEEESM_EEEEEPS7_SP_SP_NSC_11hip_rocprim7__merge17predicate_wrapperIddNSC_7greaterIdEEEEEE10hipError_tPvRmT0_T1_T2_T3_T4_T5_mmT6_P12ihipStream_tbEUlT_E0_NS1_11comp_targetILNS1_3genE2ELNS1_11target_archE906ELNS1_3gpuE6ELNS1_3repE0EEENS1_30default_config_static_selectorELNS0_4arch9wavefront6targetE0EEEvS10_.private_seg_size, 0
	.set _ZN7rocprim17ROCPRIM_400000_NS6detail17trampoline_kernelINS0_14default_configENS1_21merge_config_selectorINS0_5tupleIJddEEENS0_10empty_typeEEEZNS1_10merge_implIS3_NS0_12zip_iteratorINS5_IJN6thrust23THRUST_200600_302600_NS6detail15normal_iteratorINSC_10device_ptrIKdEEEESI_EEEEESK_NSA_INS5_IJNSE_INSF_IdEEEESM_EEEEEPS7_SP_SP_NSC_11hip_rocprim7__merge17predicate_wrapperIddNSC_7greaterIdEEEEEE10hipError_tPvRmT0_T1_T2_T3_T4_T5_mmT6_P12ihipStream_tbEUlT_E0_NS1_11comp_targetILNS1_3genE2ELNS1_11target_archE906ELNS1_3gpuE6ELNS1_3repE0EEENS1_30default_config_static_selectorELNS0_4arch9wavefront6targetE0EEEvS10_.uses_vcc, 0
	.set _ZN7rocprim17ROCPRIM_400000_NS6detail17trampoline_kernelINS0_14default_configENS1_21merge_config_selectorINS0_5tupleIJddEEENS0_10empty_typeEEEZNS1_10merge_implIS3_NS0_12zip_iteratorINS5_IJN6thrust23THRUST_200600_302600_NS6detail15normal_iteratorINSC_10device_ptrIKdEEEESI_EEEEESK_NSA_INS5_IJNSE_INSF_IdEEEESM_EEEEEPS7_SP_SP_NSC_11hip_rocprim7__merge17predicate_wrapperIddNSC_7greaterIdEEEEEE10hipError_tPvRmT0_T1_T2_T3_T4_T5_mmT6_P12ihipStream_tbEUlT_E0_NS1_11comp_targetILNS1_3genE2ELNS1_11target_archE906ELNS1_3gpuE6ELNS1_3repE0EEENS1_30default_config_static_selectorELNS0_4arch9wavefront6targetE0EEEvS10_.uses_flat_scratch, 0
	.set _ZN7rocprim17ROCPRIM_400000_NS6detail17trampoline_kernelINS0_14default_configENS1_21merge_config_selectorINS0_5tupleIJddEEENS0_10empty_typeEEEZNS1_10merge_implIS3_NS0_12zip_iteratorINS5_IJN6thrust23THRUST_200600_302600_NS6detail15normal_iteratorINSC_10device_ptrIKdEEEESI_EEEEESK_NSA_INS5_IJNSE_INSF_IdEEEESM_EEEEEPS7_SP_SP_NSC_11hip_rocprim7__merge17predicate_wrapperIddNSC_7greaterIdEEEEEE10hipError_tPvRmT0_T1_T2_T3_T4_T5_mmT6_P12ihipStream_tbEUlT_E0_NS1_11comp_targetILNS1_3genE2ELNS1_11target_archE906ELNS1_3gpuE6ELNS1_3repE0EEENS1_30default_config_static_selectorELNS0_4arch9wavefront6targetE0EEEvS10_.has_dyn_sized_stack, 0
	.set _ZN7rocprim17ROCPRIM_400000_NS6detail17trampoline_kernelINS0_14default_configENS1_21merge_config_selectorINS0_5tupleIJddEEENS0_10empty_typeEEEZNS1_10merge_implIS3_NS0_12zip_iteratorINS5_IJN6thrust23THRUST_200600_302600_NS6detail15normal_iteratorINSC_10device_ptrIKdEEEESI_EEEEESK_NSA_INS5_IJNSE_INSF_IdEEEESM_EEEEEPS7_SP_SP_NSC_11hip_rocprim7__merge17predicate_wrapperIddNSC_7greaterIdEEEEEE10hipError_tPvRmT0_T1_T2_T3_T4_T5_mmT6_P12ihipStream_tbEUlT_E0_NS1_11comp_targetILNS1_3genE2ELNS1_11target_archE906ELNS1_3gpuE6ELNS1_3repE0EEENS1_30default_config_static_selectorELNS0_4arch9wavefront6targetE0EEEvS10_.has_recursion, 0
	.set _ZN7rocprim17ROCPRIM_400000_NS6detail17trampoline_kernelINS0_14default_configENS1_21merge_config_selectorINS0_5tupleIJddEEENS0_10empty_typeEEEZNS1_10merge_implIS3_NS0_12zip_iteratorINS5_IJN6thrust23THRUST_200600_302600_NS6detail15normal_iteratorINSC_10device_ptrIKdEEEESI_EEEEESK_NSA_INS5_IJNSE_INSF_IdEEEESM_EEEEEPS7_SP_SP_NSC_11hip_rocprim7__merge17predicate_wrapperIddNSC_7greaterIdEEEEEE10hipError_tPvRmT0_T1_T2_T3_T4_T5_mmT6_P12ihipStream_tbEUlT_E0_NS1_11comp_targetILNS1_3genE2ELNS1_11target_archE906ELNS1_3gpuE6ELNS1_3repE0EEENS1_30default_config_static_selectorELNS0_4arch9wavefront6targetE0EEEvS10_.has_indirect_call, 0
	.section	.AMDGPU.csdata,"",@progbits
; Kernel info:
; codeLenInByte = 0
; TotalNumSgprs: 0
; NumVgprs: 0
; ScratchSize: 0
; MemoryBound: 0
; FloatMode: 240
; IeeeMode: 1
; LDSByteSize: 0 bytes/workgroup (compile time only)
; SGPRBlocks: 0
; VGPRBlocks: 0
; NumSGPRsForWavesPerEU: 1
; NumVGPRsForWavesPerEU: 1
; NamedBarCnt: 0
; Occupancy: 16
; WaveLimiterHint : 0
; COMPUTE_PGM_RSRC2:SCRATCH_EN: 0
; COMPUTE_PGM_RSRC2:USER_SGPR: 2
; COMPUTE_PGM_RSRC2:TRAP_HANDLER: 0
; COMPUTE_PGM_RSRC2:TGID_X_EN: 1
; COMPUTE_PGM_RSRC2:TGID_Y_EN: 0
; COMPUTE_PGM_RSRC2:TGID_Z_EN: 0
; COMPUTE_PGM_RSRC2:TIDIG_COMP_CNT: 0
	.section	.text._ZN7rocprim17ROCPRIM_400000_NS6detail17trampoline_kernelINS0_14default_configENS1_21merge_config_selectorINS0_5tupleIJddEEENS0_10empty_typeEEEZNS1_10merge_implIS3_NS0_12zip_iteratorINS5_IJN6thrust23THRUST_200600_302600_NS6detail15normal_iteratorINSC_10device_ptrIKdEEEESI_EEEEESK_NSA_INS5_IJNSE_INSF_IdEEEESM_EEEEEPS7_SP_SP_NSC_11hip_rocprim7__merge17predicate_wrapperIddNSC_7greaterIdEEEEEE10hipError_tPvRmT0_T1_T2_T3_T4_T5_mmT6_P12ihipStream_tbEUlT_E0_NS1_11comp_targetILNS1_3genE10ELNS1_11target_archE1201ELNS1_3gpuE5ELNS1_3repE0EEENS1_30default_config_static_selectorELNS0_4arch9wavefront6targetE0EEEvS10_,"axG",@progbits,_ZN7rocprim17ROCPRIM_400000_NS6detail17trampoline_kernelINS0_14default_configENS1_21merge_config_selectorINS0_5tupleIJddEEENS0_10empty_typeEEEZNS1_10merge_implIS3_NS0_12zip_iteratorINS5_IJN6thrust23THRUST_200600_302600_NS6detail15normal_iteratorINSC_10device_ptrIKdEEEESI_EEEEESK_NSA_INS5_IJNSE_INSF_IdEEEESM_EEEEEPS7_SP_SP_NSC_11hip_rocprim7__merge17predicate_wrapperIddNSC_7greaterIdEEEEEE10hipError_tPvRmT0_T1_T2_T3_T4_T5_mmT6_P12ihipStream_tbEUlT_E0_NS1_11comp_targetILNS1_3genE10ELNS1_11target_archE1201ELNS1_3gpuE5ELNS1_3repE0EEENS1_30default_config_static_selectorELNS0_4arch9wavefront6targetE0EEEvS10_,comdat
	.protected	_ZN7rocprim17ROCPRIM_400000_NS6detail17trampoline_kernelINS0_14default_configENS1_21merge_config_selectorINS0_5tupleIJddEEENS0_10empty_typeEEEZNS1_10merge_implIS3_NS0_12zip_iteratorINS5_IJN6thrust23THRUST_200600_302600_NS6detail15normal_iteratorINSC_10device_ptrIKdEEEESI_EEEEESK_NSA_INS5_IJNSE_INSF_IdEEEESM_EEEEEPS7_SP_SP_NSC_11hip_rocprim7__merge17predicate_wrapperIddNSC_7greaterIdEEEEEE10hipError_tPvRmT0_T1_T2_T3_T4_T5_mmT6_P12ihipStream_tbEUlT_E0_NS1_11comp_targetILNS1_3genE10ELNS1_11target_archE1201ELNS1_3gpuE5ELNS1_3repE0EEENS1_30default_config_static_selectorELNS0_4arch9wavefront6targetE0EEEvS10_ ; -- Begin function _ZN7rocprim17ROCPRIM_400000_NS6detail17trampoline_kernelINS0_14default_configENS1_21merge_config_selectorINS0_5tupleIJddEEENS0_10empty_typeEEEZNS1_10merge_implIS3_NS0_12zip_iteratorINS5_IJN6thrust23THRUST_200600_302600_NS6detail15normal_iteratorINSC_10device_ptrIKdEEEESI_EEEEESK_NSA_INS5_IJNSE_INSF_IdEEEESM_EEEEEPS7_SP_SP_NSC_11hip_rocprim7__merge17predicate_wrapperIddNSC_7greaterIdEEEEEE10hipError_tPvRmT0_T1_T2_T3_T4_T5_mmT6_P12ihipStream_tbEUlT_E0_NS1_11comp_targetILNS1_3genE10ELNS1_11target_archE1201ELNS1_3gpuE5ELNS1_3repE0EEENS1_30default_config_static_selectorELNS0_4arch9wavefront6targetE0EEEvS10_
	.globl	_ZN7rocprim17ROCPRIM_400000_NS6detail17trampoline_kernelINS0_14default_configENS1_21merge_config_selectorINS0_5tupleIJddEEENS0_10empty_typeEEEZNS1_10merge_implIS3_NS0_12zip_iteratorINS5_IJN6thrust23THRUST_200600_302600_NS6detail15normal_iteratorINSC_10device_ptrIKdEEEESI_EEEEESK_NSA_INS5_IJNSE_INSF_IdEEEESM_EEEEEPS7_SP_SP_NSC_11hip_rocprim7__merge17predicate_wrapperIddNSC_7greaterIdEEEEEE10hipError_tPvRmT0_T1_T2_T3_T4_T5_mmT6_P12ihipStream_tbEUlT_E0_NS1_11comp_targetILNS1_3genE10ELNS1_11target_archE1201ELNS1_3gpuE5ELNS1_3repE0EEENS1_30default_config_static_selectorELNS0_4arch9wavefront6targetE0EEEvS10_
	.p2align	8
	.type	_ZN7rocprim17ROCPRIM_400000_NS6detail17trampoline_kernelINS0_14default_configENS1_21merge_config_selectorINS0_5tupleIJddEEENS0_10empty_typeEEEZNS1_10merge_implIS3_NS0_12zip_iteratorINS5_IJN6thrust23THRUST_200600_302600_NS6detail15normal_iteratorINSC_10device_ptrIKdEEEESI_EEEEESK_NSA_INS5_IJNSE_INSF_IdEEEESM_EEEEEPS7_SP_SP_NSC_11hip_rocprim7__merge17predicate_wrapperIddNSC_7greaterIdEEEEEE10hipError_tPvRmT0_T1_T2_T3_T4_T5_mmT6_P12ihipStream_tbEUlT_E0_NS1_11comp_targetILNS1_3genE10ELNS1_11target_archE1201ELNS1_3gpuE5ELNS1_3repE0EEENS1_30default_config_static_selectorELNS0_4arch9wavefront6targetE0EEEvS10_,@function
_ZN7rocprim17ROCPRIM_400000_NS6detail17trampoline_kernelINS0_14default_configENS1_21merge_config_selectorINS0_5tupleIJddEEENS0_10empty_typeEEEZNS1_10merge_implIS3_NS0_12zip_iteratorINS5_IJN6thrust23THRUST_200600_302600_NS6detail15normal_iteratorINSC_10device_ptrIKdEEEESI_EEEEESK_NSA_INS5_IJNSE_INSF_IdEEEESM_EEEEEPS7_SP_SP_NSC_11hip_rocprim7__merge17predicate_wrapperIddNSC_7greaterIdEEEEEE10hipError_tPvRmT0_T1_T2_T3_T4_T5_mmT6_P12ihipStream_tbEUlT_E0_NS1_11comp_targetILNS1_3genE10ELNS1_11target_archE1201ELNS1_3gpuE5ELNS1_3repE0EEENS1_30default_config_static_selectorELNS0_4arch9wavefront6targetE0EEEvS10_: ; @_ZN7rocprim17ROCPRIM_400000_NS6detail17trampoline_kernelINS0_14default_configENS1_21merge_config_selectorINS0_5tupleIJddEEENS0_10empty_typeEEEZNS1_10merge_implIS3_NS0_12zip_iteratorINS5_IJN6thrust23THRUST_200600_302600_NS6detail15normal_iteratorINSC_10device_ptrIKdEEEESI_EEEEESK_NSA_INS5_IJNSE_INSF_IdEEEESM_EEEEEPS7_SP_SP_NSC_11hip_rocprim7__merge17predicate_wrapperIddNSC_7greaterIdEEEEEE10hipError_tPvRmT0_T1_T2_T3_T4_T5_mmT6_P12ihipStream_tbEUlT_E0_NS1_11comp_targetILNS1_3genE10ELNS1_11target_archE1201ELNS1_3gpuE5ELNS1_3repE0EEENS1_30default_config_static_selectorELNS0_4arch9wavefront6targetE0EEEvS10_
; %bb.0:
	.section	.rodata,"a",@progbits
	.p2align	6, 0x0
	.amdhsa_kernel _ZN7rocprim17ROCPRIM_400000_NS6detail17trampoline_kernelINS0_14default_configENS1_21merge_config_selectorINS0_5tupleIJddEEENS0_10empty_typeEEEZNS1_10merge_implIS3_NS0_12zip_iteratorINS5_IJN6thrust23THRUST_200600_302600_NS6detail15normal_iteratorINSC_10device_ptrIKdEEEESI_EEEEESK_NSA_INS5_IJNSE_INSF_IdEEEESM_EEEEEPS7_SP_SP_NSC_11hip_rocprim7__merge17predicate_wrapperIddNSC_7greaterIdEEEEEE10hipError_tPvRmT0_T1_T2_T3_T4_T5_mmT6_P12ihipStream_tbEUlT_E0_NS1_11comp_targetILNS1_3genE10ELNS1_11target_archE1201ELNS1_3gpuE5ELNS1_3repE0EEENS1_30default_config_static_selectorELNS0_4arch9wavefront6targetE0EEEvS10_
		.amdhsa_group_segment_fixed_size 0
		.amdhsa_private_segment_fixed_size 0
		.amdhsa_kernarg_size 112
		.amdhsa_user_sgpr_count 2
		.amdhsa_user_sgpr_dispatch_ptr 0
		.amdhsa_user_sgpr_queue_ptr 0
		.amdhsa_user_sgpr_kernarg_segment_ptr 1
		.amdhsa_user_sgpr_dispatch_id 0
		.amdhsa_user_sgpr_kernarg_preload_length 0
		.amdhsa_user_sgpr_kernarg_preload_offset 0
		.amdhsa_user_sgpr_private_segment_size 0
		.amdhsa_wavefront_size32 1
		.amdhsa_uses_dynamic_stack 0
		.amdhsa_enable_private_segment 0
		.amdhsa_system_sgpr_workgroup_id_x 1
		.amdhsa_system_sgpr_workgroup_id_y 0
		.amdhsa_system_sgpr_workgroup_id_z 0
		.amdhsa_system_sgpr_workgroup_info 0
		.amdhsa_system_vgpr_workitem_id 0
		.amdhsa_next_free_vgpr 1
		.amdhsa_next_free_sgpr 1
		.amdhsa_named_barrier_count 0
		.amdhsa_reserve_vcc 0
		.amdhsa_float_round_mode_32 0
		.amdhsa_float_round_mode_16_64 0
		.amdhsa_float_denorm_mode_32 3
		.amdhsa_float_denorm_mode_16_64 3
		.amdhsa_fp16_overflow 0
		.amdhsa_memory_ordered 1
		.amdhsa_forward_progress 1
		.amdhsa_inst_pref_size 0
		.amdhsa_round_robin_scheduling 0
		.amdhsa_exception_fp_ieee_invalid_op 0
		.amdhsa_exception_fp_denorm_src 0
		.amdhsa_exception_fp_ieee_div_zero 0
		.amdhsa_exception_fp_ieee_overflow 0
		.amdhsa_exception_fp_ieee_underflow 0
		.amdhsa_exception_fp_ieee_inexact 0
		.amdhsa_exception_int_div_zero 0
	.end_amdhsa_kernel
	.section	.text._ZN7rocprim17ROCPRIM_400000_NS6detail17trampoline_kernelINS0_14default_configENS1_21merge_config_selectorINS0_5tupleIJddEEENS0_10empty_typeEEEZNS1_10merge_implIS3_NS0_12zip_iteratorINS5_IJN6thrust23THRUST_200600_302600_NS6detail15normal_iteratorINSC_10device_ptrIKdEEEESI_EEEEESK_NSA_INS5_IJNSE_INSF_IdEEEESM_EEEEEPS7_SP_SP_NSC_11hip_rocprim7__merge17predicate_wrapperIddNSC_7greaterIdEEEEEE10hipError_tPvRmT0_T1_T2_T3_T4_T5_mmT6_P12ihipStream_tbEUlT_E0_NS1_11comp_targetILNS1_3genE10ELNS1_11target_archE1201ELNS1_3gpuE5ELNS1_3repE0EEENS1_30default_config_static_selectorELNS0_4arch9wavefront6targetE0EEEvS10_,"axG",@progbits,_ZN7rocprim17ROCPRIM_400000_NS6detail17trampoline_kernelINS0_14default_configENS1_21merge_config_selectorINS0_5tupleIJddEEENS0_10empty_typeEEEZNS1_10merge_implIS3_NS0_12zip_iteratorINS5_IJN6thrust23THRUST_200600_302600_NS6detail15normal_iteratorINSC_10device_ptrIKdEEEESI_EEEEESK_NSA_INS5_IJNSE_INSF_IdEEEESM_EEEEEPS7_SP_SP_NSC_11hip_rocprim7__merge17predicate_wrapperIddNSC_7greaterIdEEEEEE10hipError_tPvRmT0_T1_T2_T3_T4_T5_mmT6_P12ihipStream_tbEUlT_E0_NS1_11comp_targetILNS1_3genE10ELNS1_11target_archE1201ELNS1_3gpuE5ELNS1_3repE0EEENS1_30default_config_static_selectorELNS0_4arch9wavefront6targetE0EEEvS10_,comdat
.Lfunc_end331:
	.size	_ZN7rocprim17ROCPRIM_400000_NS6detail17trampoline_kernelINS0_14default_configENS1_21merge_config_selectorINS0_5tupleIJddEEENS0_10empty_typeEEEZNS1_10merge_implIS3_NS0_12zip_iteratorINS5_IJN6thrust23THRUST_200600_302600_NS6detail15normal_iteratorINSC_10device_ptrIKdEEEESI_EEEEESK_NSA_INS5_IJNSE_INSF_IdEEEESM_EEEEEPS7_SP_SP_NSC_11hip_rocprim7__merge17predicate_wrapperIddNSC_7greaterIdEEEEEE10hipError_tPvRmT0_T1_T2_T3_T4_T5_mmT6_P12ihipStream_tbEUlT_E0_NS1_11comp_targetILNS1_3genE10ELNS1_11target_archE1201ELNS1_3gpuE5ELNS1_3repE0EEENS1_30default_config_static_selectorELNS0_4arch9wavefront6targetE0EEEvS10_, .Lfunc_end331-_ZN7rocprim17ROCPRIM_400000_NS6detail17trampoline_kernelINS0_14default_configENS1_21merge_config_selectorINS0_5tupleIJddEEENS0_10empty_typeEEEZNS1_10merge_implIS3_NS0_12zip_iteratorINS5_IJN6thrust23THRUST_200600_302600_NS6detail15normal_iteratorINSC_10device_ptrIKdEEEESI_EEEEESK_NSA_INS5_IJNSE_INSF_IdEEEESM_EEEEEPS7_SP_SP_NSC_11hip_rocprim7__merge17predicate_wrapperIddNSC_7greaterIdEEEEEE10hipError_tPvRmT0_T1_T2_T3_T4_T5_mmT6_P12ihipStream_tbEUlT_E0_NS1_11comp_targetILNS1_3genE10ELNS1_11target_archE1201ELNS1_3gpuE5ELNS1_3repE0EEENS1_30default_config_static_selectorELNS0_4arch9wavefront6targetE0EEEvS10_
                                        ; -- End function
	.set _ZN7rocprim17ROCPRIM_400000_NS6detail17trampoline_kernelINS0_14default_configENS1_21merge_config_selectorINS0_5tupleIJddEEENS0_10empty_typeEEEZNS1_10merge_implIS3_NS0_12zip_iteratorINS5_IJN6thrust23THRUST_200600_302600_NS6detail15normal_iteratorINSC_10device_ptrIKdEEEESI_EEEEESK_NSA_INS5_IJNSE_INSF_IdEEEESM_EEEEEPS7_SP_SP_NSC_11hip_rocprim7__merge17predicate_wrapperIddNSC_7greaterIdEEEEEE10hipError_tPvRmT0_T1_T2_T3_T4_T5_mmT6_P12ihipStream_tbEUlT_E0_NS1_11comp_targetILNS1_3genE10ELNS1_11target_archE1201ELNS1_3gpuE5ELNS1_3repE0EEENS1_30default_config_static_selectorELNS0_4arch9wavefront6targetE0EEEvS10_.num_vgpr, 0
	.set _ZN7rocprim17ROCPRIM_400000_NS6detail17trampoline_kernelINS0_14default_configENS1_21merge_config_selectorINS0_5tupleIJddEEENS0_10empty_typeEEEZNS1_10merge_implIS3_NS0_12zip_iteratorINS5_IJN6thrust23THRUST_200600_302600_NS6detail15normal_iteratorINSC_10device_ptrIKdEEEESI_EEEEESK_NSA_INS5_IJNSE_INSF_IdEEEESM_EEEEEPS7_SP_SP_NSC_11hip_rocprim7__merge17predicate_wrapperIddNSC_7greaterIdEEEEEE10hipError_tPvRmT0_T1_T2_T3_T4_T5_mmT6_P12ihipStream_tbEUlT_E0_NS1_11comp_targetILNS1_3genE10ELNS1_11target_archE1201ELNS1_3gpuE5ELNS1_3repE0EEENS1_30default_config_static_selectorELNS0_4arch9wavefront6targetE0EEEvS10_.num_agpr, 0
	.set _ZN7rocprim17ROCPRIM_400000_NS6detail17trampoline_kernelINS0_14default_configENS1_21merge_config_selectorINS0_5tupleIJddEEENS0_10empty_typeEEEZNS1_10merge_implIS3_NS0_12zip_iteratorINS5_IJN6thrust23THRUST_200600_302600_NS6detail15normal_iteratorINSC_10device_ptrIKdEEEESI_EEEEESK_NSA_INS5_IJNSE_INSF_IdEEEESM_EEEEEPS7_SP_SP_NSC_11hip_rocprim7__merge17predicate_wrapperIddNSC_7greaterIdEEEEEE10hipError_tPvRmT0_T1_T2_T3_T4_T5_mmT6_P12ihipStream_tbEUlT_E0_NS1_11comp_targetILNS1_3genE10ELNS1_11target_archE1201ELNS1_3gpuE5ELNS1_3repE0EEENS1_30default_config_static_selectorELNS0_4arch9wavefront6targetE0EEEvS10_.numbered_sgpr, 0
	.set _ZN7rocprim17ROCPRIM_400000_NS6detail17trampoline_kernelINS0_14default_configENS1_21merge_config_selectorINS0_5tupleIJddEEENS0_10empty_typeEEEZNS1_10merge_implIS3_NS0_12zip_iteratorINS5_IJN6thrust23THRUST_200600_302600_NS6detail15normal_iteratorINSC_10device_ptrIKdEEEESI_EEEEESK_NSA_INS5_IJNSE_INSF_IdEEEESM_EEEEEPS7_SP_SP_NSC_11hip_rocprim7__merge17predicate_wrapperIddNSC_7greaterIdEEEEEE10hipError_tPvRmT0_T1_T2_T3_T4_T5_mmT6_P12ihipStream_tbEUlT_E0_NS1_11comp_targetILNS1_3genE10ELNS1_11target_archE1201ELNS1_3gpuE5ELNS1_3repE0EEENS1_30default_config_static_selectorELNS0_4arch9wavefront6targetE0EEEvS10_.num_named_barrier, 0
	.set _ZN7rocprim17ROCPRIM_400000_NS6detail17trampoline_kernelINS0_14default_configENS1_21merge_config_selectorINS0_5tupleIJddEEENS0_10empty_typeEEEZNS1_10merge_implIS3_NS0_12zip_iteratorINS5_IJN6thrust23THRUST_200600_302600_NS6detail15normal_iteratorINSC_10device_ptrIKdEEEESI_EEEEESK_NSA_INS5_IJNSE_INSF_IdEEEESM_EEEEEPS7_SP_SP_NSC_11hip_rocprim7__merge17predicate_wrapperIddNSC_7greaterIdEEEEEE10hipError_tPvRmT0_T1_T2_T3_T4_T5_mmT6_P12ihipStream_tbEUlT_E0_NS1_11comp_targetILNS1_3genE10ELNS1_11target_archE1201ELNS1_3gpuE5ELNS1_3repE0EEENS1_30default_config_static_selectorELNS0_4arch9wavefront6targetE0EEEvS10_.private_seg_size, 0
	.set _ZN7rocprim17ROCPRIM_400000_NS6detail17trampoline_kernelINS0_14default_configENS1_21merge_config_selectorINS0_5tupleIJddEEENS0_10empty_typeEEEZNS1_10merge_implIS3_NS0_12zip_iteratorINS5_IJN6thrust23THRUST_200600_302600_NS6detail15normal_iteratorINSC_10device_ptrIKdEEEESI_EEEEESK_NSA_INS5_IJNSE_INSF_IdEEEESM_EEEEEPS7_SP_SP_NSC_11hip_rocprim7__merge17predicate_wrapperIddNSC_7greaterIdEEEEEE10hipError_tPvRmT0_T1_T2_T3_T4_T5_mmT6_P12ihipStream_tbEUlT_E0_NS1_11comp_targetILNS1_3genE10ELNS1_11target_archE1201ELNS1_3gpuE5ELNS1_3repE0EEENS1_30default_config_static_selectorELNS0_4arch9wavefront6targetE0EEEvS10_.uses_vcc, 0
	.set _ZN7rocprim17ROCPRIM_400000_NS6detail17trampoline_kernelINS0_14default_configENS1_21merge_config_selectorINS0_5tupleIJddEEENS0_10empty_typeEEEZNS1_10merge_implIS3_NS0_12zip_iteratorINS5_IJN6thrust23THRUST_200600_302600_NS6detail15normal_iteratorINSC_10device_ptrIKdEEEESI_EEEEESK_NSA_INS5_IJNSE_INSF_IdEEEESM_EEEEEPS7_SP_SP_NSC_11hip_rocprim7__merge17predicate_wrapperIddNSC_7greaterIdEEEEEE10hipError_tPvRmT0_T1_T2_T3_T4_T5_mmT6_P12ihipStream_tbEUlT_E0_NS1_11comp_targetILNS1_3genE10ELNS1_11target_archE1201ELNS1_3gpuE5ELNS1_3repE0EEENS1_30default_config_static_selectorELNS0_4arch9wavefront6targetE0EEEvS10_.uses_flat_scratch, 0
	.set _ZN7rocprim17ROCPRIM_400000_NS6detail17trampoline_kernelINS0_14default_configENS1_21merge_config_selectorINS0_5tupleIJddEEENS0_10empty_typeEEEZNS1_10merge_implIS3_NS0_12zip_iteratorINS5_IJN6thrust23THRUST_200600_302600_NS6detail15normal_iteratorINSC_10device_ptrIKdEEEESI_EEEEESK_NSA_INS5_IJNSE_INSF_IdEEEESM_EEEEEPS7_SP_SP_NSC_11hip_rocprim7__merge17predicate_wrapperIddNSC_7greaterIdEEEEEE10hipError_tPvRmT0_T1_T2_T3_T4_T5_mmT6_P12ihipStream_tbEUlT_E0_NS1_11comp_targetILNS1_3genE10ELNS1_11target_archE1201ELNS1_3gpuE5ELNS1_3repE0EEENS1_30default_config_static_selectorELNS0_4arch9wavefront6targetE0EEEvS10_.has_dyn_sized_stack, 0
	.set _ZN7rocprim17ROCPRIM_400000_NS6detail17trampoline_kernelINS0_14default_configENS1_21merge_config_selectorINS0_5tupleIJddEEENS0_10empty_typeEEEZNS1_10merge_implIS3_NS0_12zip_iteratorINS5_IJN6thrust23THRUST_200600_302600_NS6detail15normal_iteratorINSC_10device_ptrIKdEEEESI_EEEEESK_NSA_INS5_IJNSE_INSF_IdEEEESM_EEEEEPS7_SP_SP_NSC_11hip_rocprim7__merge17predicate_wrapperIddNSC_7greaterIdEEEEEE10hipError_tPvRmT0_T1_T2_T3_T4_T5_mmT6_P12ihipStream_tbEUlT_E0_NS1_11comp_targetILNS1_3genE10ELNS1_11target_archE1201ELNS1_3gpuE5ELNS1_3repE0EEENS1_30default_config_static_selectorELNS0_4arch9wavefront6targetE0EEEvS10_.has_recursion, 0
	.set _ZN7rocprim17ROCPRIM_400000_NS6detail17trampoline_kernelINS0_14default_configENS1_21merge_config_selectorINS0_5tupleIJddEEENS0_10empty_typeEEEZNS1_10merge_implIS3_NS0_12zip_iteratorINS5_IJN6thrust23THRUST_200600_302600_NS6detail15normal_iteratorINSC_10device_ptrIKdEEEESI_EEEEESK_NSA_INS5_IJNSE_INSF_IdEEEESM_EEEEEPS7_SP_SP_NSC_11hip_rocprim7__merge17predicate_wrapperIddNSC_7greaterIdEEEEEE10hipError_tPvRmT0_T1_T2_T3_T4_T5_mmT6_P12ihipStream_tbEUlT_E0_NS1_11comp_targetILNS1_3genE10ELNS1_11target_archE1201ELNS1_3gpuE5ELNS1_3repE0EEENS1_30default_config_static_selectorELNS0_4arch9wavefront6targetE0EEEvS10_.has_indirect_call, 0
	.section	.AMDGPU.csdata,"",@progbits
; Kernel info:
; codeLenInByte = 0
; TotalNumSgprs: 0
; NumVgprs: 0
; ScratchSize: 0
; MemoryBound: 0
; FloatMode: 240
; IeeeMode: 1
; LDSByteSize: 0 bytes/workgroup (compile time only)
; SGPRBlocks: 0
; VGPRBlocks: 0
; NumSGPRsForWavesPerEU: 1
; NumVGPRsForWavesPerEU: 1
; NamedBarCnt: 0
; Occupancy: 16
; WaveLimiterHint : 0
; COMPUTE_PGM_RSRC2:SCRATCH_EN: 0
; COMPUTE_PGM_RSRC2:USER_SGPR: 2
; COMPUTE_PGM_RSRC2:TRAP_HANDLER: 0
; COMPUTE_PGM_RSRC2:TGID_X_EN: 1
; COMPUTE_PGM_RSRC2:TGID_Y_EN: 0
; COMPUTE_PGM_RSRC2:TGID_Z_EN: 0
; COMPUTE_PGM_RSRC2:TIDIG_COMP_CNT: 0
	.section	.text._ZN7rocprim17ROCPRIM_400000_NS6detail17trampoline_kernelINS0_14default_configENS1_21merge_config_selectorINS0_5tupleIJddEEENS0_10empty_typeEEEZNS1_10merge_implIS3_NS0_12zip_iteratorINS5_IJN6thrust23THRUST_200600_302600_NS6detail15normal_iteratorINSC_10device_ptrIKdEEEESI_EEEEESK_NSA_INS5_IJNSE_INSF_IdEEEESM_EEEEEPS7_SP_SP_NSC_11hip_rocprim7__merge17predicate_wrapperIddNSC_7greaterIdEEEEEE10hipError_tPvRmT0_T1_T2_T3_T4_T5_mmT6_P12ihipStream_tbEUlT_E0_NS1_11comp_targetILNS1_3genE10ELNS1_11target_archE1200ELNS1_3gpuE4ELNS1_3repE0EEENS1_30default_config_static_selectorELNS0_4arch9wavefront6targetE0EEEvS10_,"axG",@progbits,_ZN7rocprim17ROCPRIM_400000_NS6detail17trampoline_kernelINS0_14default_configENS1_21merge_config_selectorINS0_5tupleIJddEEENS0_10empty_typeEEEZNS1_10merge_implIS3_NS0_12zip_iteratorINS5_IJN6thrust23THRUST_200600_302600_NS6detail15normal_iteratorINSC_10device_ptrIKdEEEESI_EEEEESK_NSA_INS5_IJNSE_INSF_IdEEEESM_EEEEEPS7_SP_SP_NSC_11hip_rocprim7__merge17predicate_wrapperIddNSC_7greaterIdEEEEEE10hipError_tPvRmT0_T1_T2_T3_T4_T5_mmT6_P12ihipStream_tbEUlT_E0_NS1_11comp_targetILNS1_3genE10ELNS1_11target_archE1200ELNS1_3gpuE4ELNS1_3repE0EEENS1_30default_config_static_selectorELNS0_4arch9wavefront6targetE0EEEvS10_,comdat
	.protected	_ZN7rocprim17ROCPRIM_400000_NS6detail17trampoline_kernelINS0_14default_configENS1_21merge_config_selectorINS0_5tupleIJddEEENS0_10empty_typeEEEZNS1_10merge_implIS3_NS0_12zip_iteratorINS5_IJN6thrust23THRUST_200600_302600_NS6detail15normal_iteratorINSC_10device_ptrIKdEEEESI_EEEEESK_NSA_INS5_IJNSE_INSF_IdEEEESM_EEEEEPS7_SP_SP_NSC_11hip_rocprim7__merge17predicate_wrapperIddNSC_7greaterIdEEEEEE10hipError_tPvRmT0_T1_T2_T3_T4_T5_mmT6_P12ihipStream_tbEUlT_E0_NS1_11comp_targetILNS1_3genE10ELNS1_11target_archE1200ELNS1_3gpuE4ELNS1_3repE0EEENS1_30default_config_static_selectorELNS0_4arch9wavefront6targetE0EEEvS10_ ; -- Begin function _ZN7rocprim17ROCPRIM_400000_NS6detail17trampoline_kernelINS0_14default_configENS1_21merge_config_selectorINS0_5tupleIJddEEENS0_10empty_typeEEEZNS1_10merge_implIS3_NS0_12zip_iteratorINS5_IJN6thrust23THRUST_200600_302600_NS6detail15normal_iteratorINSC_10device_ptrIKdEEEESI_EEEEESK_NSA_INS5_IJNSE_INSF_IdEEEESM_EEEEEPS7_SP_SP_NSC_11hip_rocprim7__merge17predicate_wrapperIddNSC_7greaterIdEEEEEE10hipError_tPvRmT0_T1_T2_T3_T4_T5_mmT6_P12ihipStream_tbEUlT_E0_NS1_11comp_targetILNS1_3genE10ELNS1_11target_archE1200ELNS1_3gpuE4ELNS1_3repE0EEENS1_30default_config_static_selectorELNS0_4arch9wavefront6targetE0EEEvS10_
	.globl	_ZN7rocprim17ROCPRIM_400000_NS6detail17trampoline_kernelINS0_14default_configENS1_21merge_config_selectorINS0_5tupleIJddEEENS0_10empty_typeEEEZNS1_10merge_implIS3_NS0_12zip_iteratorINS5_IJN6thrust23THRUST_200600_302600_NS6detail15normal_iteratorINSC_10device_ptrIKdEEEESI_EEEEESK_NSA_INS5_IJNSE_INSF_IdEEEESM_EEEEEPS7_SP_SP_NSC_11hip_rocprim7__merge17predicate_wrapperIddNSC_7greaterIdEEEEEE10hipError_tPvRmT0_T1_T2_T3_T4_T5_mmT6_P12ihipStream_tbEUlT_E0_NS1_11comp_targetILNS1_3genE10ELNS1_11target_archE1200ELNS1_3gpuE4ELNS1_3repE0EEENS1_30default_config_static_selectorELNS0_4arch9wavefront6targetE0EEEvS10_
	.p2align	8
	.type	_ZN7rocprim17ROCPRIM_400000_NS6detail17trampoline_kernelINS0_14default_configENS1_21merge_config_selectorINS0_5tupleIJddEEENS0_10empty_typeEEEZNS1_10merge_implIS3_NS0_12zip_iteratorINS5_IJN6thrust23THRUST_200600_302600_NS6detail15normal_iteratorINSC_10device_ptrIKdEEEESI_EEEEESK_NSA_INS5_IJNSE_INSF_IdEEEESM_EEEEEPS7_SP_SP_NSC_11hip_rocprim7__merge17predicate_wrapperIddNSC_7greaterIdEEEEEE10hipError_tPvRmT0_T1_T2_T3_T4_T5_mmT6_P12ihipStream_tbEUlT_E0_NS1_11comp_targetILNS1_3genE10ELNS1_11target_archE1200ELNS1_3gpuE4ELNS1_3repE0EEENS1_30default_config_static_selectorELNS0_4arch9wavefront6targetE0EEEvS10_,@function
_ZN7rocprim17ROCPRIM_400000_NS6detail17trampoline_kernelINS0_14default_configENS1_21merge_config_selectorINS0_5tupleIJddEEENS0_10empty_typeEEEZNS1_10merge_implIS3_NS0_12zip_iteratorINS5_IJN6thrust23THRUST_200600_302600_NS6detail15normal_iteratorINSC_10device_ptrIKdEEEESI_EEEEESK_NSA_INS5_IJNSE_INSF_IdEEEESM_EEEEEPS7_SP_SP_NSC_11hip_rocprim7__merge17predicate_wrapperIddNSC_7greaterIdEEEEEE10hipError_tPvRmT0_T1_T2_T3_T4_T5_mmT6_P12ihipStream_tbEUlT_E0_NS1_11comp_targetILNS1_3genE10ELNS1_11target_archE1200ELNS1_3gpuE4ELNS1_3repE0EEENS1_30default_config_static_selectorELNS0_4arch9wavefront6targetE0EEEvS10_: ; @_ZN7rocprim17ROCPRIM_400000_NS6detail17trampoline_kernelINS0_14default_configENS1_21merge_config_selectorINS0_5tupleIJddEEENS0_10empty_typeEEEZNS1_10merge_implIS3_NS0_12zip_iteratorINS5_IJN6thrust23THRUST_200600_302600_NS6detail15normal_iteratorINSC_10device_ptrIKdEEEESI_EEEEESK_NSA_INS5_IJNSE_INSF_IdEEEESM_EEEEEPS7_SP_SP_NSC_11hip_rocprim7__merge17predicate_wrapperIddNSC_7greaterIdEEEEEE10hipError_tPvRmT0_T1_T2_T3_T4_T5_mmT6_P12ihipStream_tbEUlT_E0_NS1_11comp_targetILNS1_3genE10ELNS1_11target_archE1200ELNS1_3gpuE4ELNS1_3repE0EEENS1_30default_config_static_selectorELNS0_4arch9wavefront6targetE0EEEvS10_
; %bb.0:
	.section	.rodata,"a",@progbits
	.p2align	6, 0x0
	.amdhsa_kernel _ZN7rocprim17ROCPRIM_400000_NS6detail17trampoline_kernelINS0_14default_configENS1_21merge_config_selectorINS0_5tupleIJddEEENS0_10empty_typeEEEZNS1_10merge_implIS3_NS0_12zip_iteratorINS5_IJN6thrust23THRUST_200600_302600_NS6detail15normal_iteratorINSC_10device_ptrIKdEEEESI_EEEEESK_NSA_INS5_IJNSE_INSF_IdEEEESM_EEEEEPS7_SP_SP_NSC_11hip_rocprim7__merge17predicate_wrapperIddNSC_7greaterIdEEEEEE10hipError_tPvRmT0_T1_T2_T3_T4_T5_mmT6_P12ihipStream_tbEUlT_E0_NS1_11comp_targetILNS1_3genE10ELNS1_11target_archE1200ELNS1_3gpuE4ELNS1_3repE0EEENS1_30default_config_static_selectorELNS0_4arch9wavefront6targetE0EEEvS10_
		.amdhsa_group_segment_fixed_size 0
		.amdhsa_private_segment_fixed_size 0
		.amdhsa_kernarg_size 112
		.amdhsa_user_sgpr_count 2
		.amdhsa_user_sgpr_dispatch_ptr 0
		.amdhsa_user_sgpr_queue_ptr 0
		.amdhsa_user_sgpr_kernarg_segment_ptr 1
		.amdhsa_user_sgpr_dispatch_id 0
		.amdhsa_user_sgpr_kernarg_preload_length 0
		.amdhsa_user_sgpr_kernarg_preload_offset 0
		.amdhsa_user_sgpr_private_segment_size 0
		.amdhsa_wavefront_size32 1
		.amdhsa_uses_dynamic_stack 0
		.amdhsa_enable_private_segment 0
		.amdhsa_system_sgpr_workgroup_id_x 1
		.amdhsa_system_sgpr_workgroup_id_y 0
		.amdhsa_system_sgpr_workgroup_id_z 0
		.amdhsa_system_sgpr_workgroup_info 0
		.amdhsa_system_vgpr_workitem_id 0
		.amdhsa_next_free_vgpr 1
		.amdhsa_next_free_sgpr 1
		.amdhsa_named_barrier_count 0
		.amdhsa_reserve_vcc 0
		.amdhsa_float_round_mode_32 0
		.amdhsa_float_round_mode_16_64 0
		.amdhsa_float_denorm_mode_32 3
		.amdhsa_float_denorm_mode_16_64 3
		.amdhsa_fp16_overflow 0
		.amdhsa_memory_ordered 1
		.amdhsa_forward_progress 1
		.amdhsa_inst_pref_size 0
		.amdhsa_round_robin_scheduling 0
		.amdhsa_exception_fp_ieee_invalid_op 0
		.amdhsa_exception_fp_denorm_src 0
		.amdhsa_exception_fp_ieee_div_zero 0
		.amdhsa_exception_fp_ieee_overflow 0
		.amdhsa_exception_fp_ieee_underflow 0
		.amdhsa_exception_fp_ieee_inexact 0
		.amdhsa_exception_int_div_zero 0
	.end_amdhsa_kernel
	.section	.text._ZN7rocprim17ROCPRIM_400000_NS6detail17trampoline_kernelINS0_14default_configENS1_21merge_config_selectorINS0_5tupleIJddEEENS0_10empty_typeEEEZNS1_10merge_implIS3_NS0_12zip_iteratorINS5_IJN6thrust23THRUST_200600_302600_NS6detail15normal_iteratorINSC_10device_ptrIKdEEEESI_EEEEESK_NSA_INS5_IJNSE_INSF_IdEEEESM_EEEEEPS7_SP_SP_NSC_11hip_rocprim7__merge17predicate_wrapperIddNSC_7greaterIdEEEEEE10hipError_tPvRmT0_T1_T2_T3_T4_T5_mmT6_P12ihipStream_tbEUlT_E0_NS1_11comp_targetILNS1_3genE10ELNS1_11target_archE1200ELNS1_3gpuE4ELNS1_3repE0EEENS1_30default_config_static_selectorELNS0_4arch9wavefront6targetE0EEEvS10_,"axG",@progbits,_ZN7rocprim17ROCPRIM_400000_NS6detail17trampoline_kernelINS0_14default_configENS1_21merge_config_selectorINS0_5tupleIJddEEENS0_10empty_typeEEEZNS1_10merge_implIS3_NS0_12zip_iteratorINS5_IJN6thrust23THRUST_200600_302600_NS6detail15normal_iteratorINSC_10device_ptrIKdEEEESI_EEEEESK_NSA_INS5_IJNSE_INSF_IdEEEESM_EEEEEPS7_SP_SP_NSC_11hip_rocprim7__merge17predicate_wrapperIddNSC_7greaterIdEEEEEE10hipError_tPvRmT0_T1_T2_T3_T4_T5_mmT6_P12ihipStream_tbEUlT_E0_NS1_11comp_targetILNS1_3genE10ELNS1_11target_archE1200ELNS1_3gpuE4ELNS1_3repE0EEENS1_30default_config_static_selectorELNS0_4arch9wavefront6targetE0EEEvS10_,comdat
.Lfunc_end332:
	.size	_ZN7rocprim17ROCPRIM_400000_NS6detail17trampoline_kernelINS0_14default_configENS1_21merge_config_selectorINS0_5tupleIJddEEENS0_10empty_typeEEEZNS1_10merge_implIS3_NS0_12zip_iteratorINS5_IJN6thrust23THRUST_200600_302600_NS6detail15normal_iteratorINSC_10device_ptrIKdEEEESI_EEEEESK_NSA_INS5_IJNSE_INSF_IdEEEESM_EEEEEPS7_SP_SP_NSC_11hip_rocprim7__merge17predicate_wrapperIddNSC_7greaterIdEEEEEE10hipError_tPvRmT0_T1_T2_T3_T4_T5_mmT6_P12ihipStream_tbEUlT_E0_NS1_11comp_targetILNS1_3genE10ELNS1_11target_archE1200ELNS1_3gpuE4ELNS1_3repE0EEENS1_30default_config_static_selectorELNS0_4arch9wavefront6targetE0EEEvS10_, .Lfunc_end332-_ZN7rocprim17ROCPRIM_400000_NS6detail17trampoline_kernelINS0_14default_configENS1_21merge_config_selectorINS0_5tupleIJddEEENS0_10empty_typeEEEZNS1_10merge_implIS3_NS0_12zip_iteratorINS5_IJN6thrust23THRUST_200600_302600_NS6detail15normal_iteratorINSC_10device_ptrIKdEEEESI_EEEEESK_NSA_INS5_IJNSE_INSF_IdEEEESM_EEEEEPS7_SP_SP_NSC_11hip_rocprim7__merge17predicate_wrapperIddNSC_7greaterIdEEEEEE10hipError_tPvRmT0_T1_T2_T3_T4_T5_mmT6_P12ihipStream_tbEUlT_E0_NS1_11comp_targetILNS1_3genE10ELNS1_11target_archE1200ELNS1_3gpuE4ELNS1_3repE0EEENS1_30default_config_static_selectorELNS0_4arch9wavefront6targetE0EEEvS10_
                                        ; -- End function
	.set _ZN7rocprim17ROCPRIM_400000_NS6detail17trampoline_kernelINS0_14default_configENS1_21merge_config_selectorINS0_5tupleIJddEEENS0_10empty_typeEEEZNS1_10merge_implIS3_NS0_12zip_iteratorINS5_IJN6thrust23THRUST_200600_302600_NS6detail15normal_iteratorINSC_10device_ptrIKdEEEESI_EEEEESK_NSA_INS5_IJNSE_INSF_IdEEEESM_EEEEEPS7_SP_SP_NSC_11hip_rocprim7__merge17predicate_wrapperIddNSC_7greaterIdEEEEEE10hipError_tPvRmT0_T1_T2_T3_T4_T5_mmT6_P12ihipStream_tbEUlT_E0_NS1_11comp_targetILNS1_3genE10ELNS1_11target_archE1200ELNS1_3gpuE4ELNS1_3repE0EEENS1_30default_config_static_selectorELNS0_4arch9wavefront6targetE0EEEvS10_.num_vgpr, 0
	.set _ZN7rocprim17ROCPRIM_400000_NS6detail17trampoline_kernelINS0_14default_configENS1_21merge_config_selectorINS0_5tupleIJddEEENS0_10empty_typeEEEZNS1_10merge_implIS3_NS0_12zip_iteratorINS5_IJN6thrust23THRUST_200600_302600_NS6detail15normal_iteratorINSC_10device_ptrIKdEEEESI_EEEEESK_NSA_INS5_IJNSE_INSF_IdEEEESM_EEEEEPS7_SP_SP_NSC_11hip_rocprim7__merge17predicate_wrapperIddNSC_7greaterIdEEEEEE10hipError_tPvRmT0_T1_T2_T3_T4_T5_mmT6_P12ihipStream_tbEUlT_E0_NS1_11comp_targetILNS1_3genE10ELNS1_11target_archE1200ELNS1_3gpuE4ELNS1_3repE0EEENS1_30default_config_static_selectorELNS0_4arch9wavefront6targetE0EEEvS10_.num_agpr, 0
	.set _ZN7rocprim17ROCPRIM_400000_NS6detail17trampoline_kernelINS0_14default_configENS1_21merge_config_selectorINS0_5tupleIJddEEENS0_10empty_typeEEEZNS1_10merge_implIS3_NS0_12zip_iteratorINS5_IJN6thrust23THRUST_200600_302600_NS6detail15normal_iteratorINSC_10device_ptrIKdEEEESI_EEEEESK_NSA_INS5_IJNSE_INSF_IdEEEESM_EEEEEPS7_SP_SP_NSC_11hip_rocprim7__merge17predicate_wrapperIddNSC_7greaterIdEEEEEE10hipError_tPvRmT0_T1_T2_T3_T4_T5_mmT6_P12ihipStream_tbEUlT_E0_NS1_11comp_targetILNS1_3genE10ELNS1_11target_archE1200ELNS1_3gpuE4ELNS1_3repE0EEENS1_30default_config_static_selectorELNS0_4arch9wavefront6targetE0EEEvS10_.numbered_sgpr, 0
	.set _ZN7rocprim17ROCPRIM_400000_NS6detail17trampoline_kernelINS0_14default_configENS1_21merge_config_selectorINS0_5tupleIJddEEENS0_10empty_typeEEEZNS1_10merge_implIS3_NS0_12zip_iteratorINS5_IJN6thrust23THRUST_200600_302600_NS6detail15normal_iteratorINSC_10device_ptrIKdEEEESI_EEEEESK_NSA_INS5_IJNSE_INSF_IdEEEESM_EEEEEPS7_SP_SP_NSC_11hip_rocprim7__merge17predicate_wrapperIddNSC_7greaterIdEEEEEE10hipError_tPvRmT0_T1_T2_T3_T4_T5_mmT6_P12ihipStream_tbEUlT_E0_NS1_11comp_targetILNS1_3genE10ELNS1_11target_archE1200ELNS1_3gpuE4ELNS1_3repE0EEENS1_30default_config_static_selectorELNS0_4arch9wavefront6targetE0EEEvS10_.num_named_barrier, 0
	.set _ZN7rocprim17ROCPRIM_400000_NS6detail17trampoline_kernelINS0_14default_configENS1_21merge_config_selectorINS0_5tupleIJddEEENS0_10empty_typeEEEZNS1_10merge_implIS3_NS0_12zip_iteratorINS5_IJN6thrust23THRUST_200600_302600_NS6detail15normal_iteratorINSC_10device_ptrIKdEEEESI_EEEEESK_NSA_INS5_IJNSE_INSF_IdEEEESM_EEEEEPS7_SP_SP_NSC_11hip_rocprim7__merge17predicate_wrapperIddNSC_7greaterIdEEEEEE10hipError_tPvRmT0_T1_T2_T3_T4_T5_mmT6_P12ihipStream_tbEUlT_E0_NS1_11comp_targetILNS1_3genE10ELNS1_11target_archE1200ELNS1_3gpuE4ELNS1_3repE0EEENS1_30default_config_static_selectorELNS0_4arch9wavefront6targetE0EEEvS10_.private_seg_size, 0
	.set _ZN7rocprim17ROCPRIM_400000_NS6detail17trampoline_kernelINS0_14default_configENS1_21merge_config_selectorINS0_5tupleIJddEEENS0_10empty_typeEEEZNS1_10merge_implIS3_NS0_12zip_iteratorINS5_IJN6thrust23THRUST_200600_302600_NS6detail15normal_iteratorINSC_10device_ptrIKdEEEESI_EEEEESK_NSA_INS5_IJNSE_INSF_IdEEEESM_EEEEEPS7_SP_SP_NSC_11hip_rocprim7__merge17predicate_wrapperIddNSC_7greaterIdEEEEEE10hipError_tPvRmT0_T1_T2_T3_T4_T5_mmT6_P12ihipStream_tbEUlT_E0_NS1_11comp_targetILNS1_3genE10ELNS1_11target_archE1200ELNS1_3gpuE4ELNS1_3repE0EEENS1_30default_config_static_selectorELNS0_4arch9wavefront6targetE0EEEvS10_.uses_vcc, 0
	.set _ZN7rocprim17ROCPRIM_400000_NS6detail17trampoline_kernelINS0_14default_configENS1_21merge_config_selectorINS0_5tupleIJddEEENS0_10empty_typeEEEZNS1_10merge_implIS3_NS0_12zip_iteratorINS5_IJN6thrust23THRUST_200600_302600_NS6detail15normal_iteratorINSC_10device_ptrIKdEEEESI_EEEEESK_NSA_INS5_IJNSE_INSF_IdEEEESM_EEEEEPS7_SP_SP_NSC_11hip_rocprim7__merge17predicate_wrapperIddNSC_7greaterIdEEEEEE10hipError_tPvRmT0_T1_T2_T3_T4_T5_mmT6_P12ihipStream_tbEUlT_E0_NS1_11comp_targetILNS1_3genE10ELNS1_11target_archE1200ELNS1_3gpuE4ELNS1_3repE0EEENS1_30default_config_static_selectorELNS0_4arch9wavefront6targetE0EEEvS10_.uses_flat_scratch, 0
	.set _ZN7rocprim17ROCPRIM_400000_NS6detail17trampoline_kernelINS0_14default_configENS1_21merge_config_selectorINS0_5tupleIJddEEENS0_10empty_typeEEEZNS1_10merge_implIS3_NS0_12zip_iteratorINS5_IJN6thrust23THRUST_200600_302600_NS6detail15normal_iteratorINSC_10device_ptrIKdEEEESI_EEEEESK_NSA_INS5_IJNSE_INSF_IdEEEESM_EEEEEPS7_SP_SP_NSC_11hip_rocprim7__merge17predicate_wrapperIddNSC_7greaterIdEEEEEE10hipError_tPvRmT0_T1_T2_T3_T4_T5_mmT6_P12ihipStream_tbEUlT_E0_NS1_11comp_targetILNS1_3genE10ELNS1_11target_archE1200ELNS1_3gpuE4ELNS1_3repE0EEENS1_30default_config_static_selectorELNS0_4arch9wavefront6targetE0EEEvS10_.has_dyn_sized_stack, 0
	.set _ZN7rocprim17ROCPRIM_400000_NS6detail17trampoline_kernelINS0_14default_configENS1_21merge_config_selectorINS0_5tupleIJddEEENS0_10empty_typeEEEZNS1_10merge_implIS3_NS0_12zip_iteratorINS5_IJN6thrust23THRUST_200600_302600_NS6detail15normal_iteratorINSC_10device_ptrIKdEEEESI_EEEEESK_NSA_INS5_IJNSE_INSF_IdEEEESM_EEEEEPS7_SP_SP_NSC_11hip_rocprim7__merge17predicate_wrapperIddNSC_7greaterIdEEEEEE10hipError_tPvRmT0_T1_T2_T3_T4_T5_mmT6_P12ihipStream_tbEUlT_E0_NS1_11comp_targetILNS1_3genE10ELNS1_11target_archE1200ELNS1_3gpuE4ELNS1_3repE0EEENS1_30default_config_static_selectorELNS0_4arch9wavefront6targetE0EEEvS10_.has_recursion, 0
	.set _ZN7rocprim17ROCPRIM_400000_NS6detail17trampoline_kernelINS0_14default_configENS1_21merge_config_selectorINS0_5tupleIJddEEENS0_10empty_typeEEEZNS1_10merge_implIS3_NS0_12zip_iteratorINS5_IJN6thrust23THRUST_200600_302600_NS6detail15normal_iteratorINSC_10device_ptrIKdEEEESI_EEEEESK_NSA_INS5_IJNSE_INSF_IdEEEESM_EEEEEPS7_SP_SP_NSC_11hip_rocprim7__merge17predicate_wrapperIddNSC_7greaterIdEEEEEE10hipError_tPvRmT0_T1_T2_T3_T4_T5_mmT6_P12ihipStream_tbEUlT_E0_NS1_11comp_targetILNS1_3genE10ELNS1_11target_archE1200ELNS1_3gpuE4ELNS1_3repE0EEENS1_30default_config_static_selectorELNS0_4arch9wavefront6targetE0EEEvS10_.has_indirect_call, 0
	.section	.AMDGPU.csdata,"",@progbits
; Kernel info:
; codeLenInByte = 0
; TotalNumSgprs: 0
; NumVgprs: 0
; ScratchSize: 0
; MemoryBound: 0
; FloatMode: 240
; IeeeMode: 1
; LDSByteSize: 0 bytes/workgroup (compile time only)
; SGPRBlocks: 0
; VGPRBlocks: 0
; NumSGPRsForWavesPerEU: 1
; NumVGPRsForWavesPerEU: 1
; NamedBarCnt: 0
; Occupancy: 16
; WaveLimiterHint : 0
; COMPUTE_PGM_RSRC2:SCRATCH_EN: 0
; COMPUTE_PGM_RSRC2:USER_SGPR: 2
; COMPUTE_PGM_RSRC2:TRAP_HANDLER: 0
; COMPUTE_PGM_RSRC2:TGID_X_EN: 1
; COMPUTE_PGM_RSRC2:TGID_Y_EN: 0
; COMPUTE_PGM_RSRC2:TGID_Z_EN: 0
; COMPUTE_PGM_RSRC2:TIDIG_COMP_CNT: 0
	.section	.text._ZN7rocprim17ROCPRIM_400000_NS6detail17trampoline_kernelINS0_14default_configENS1_21merge_config_selectorINS0_5tupleIJddEEENS0_10empty_typeEEEZNS1_10merge_implIS3_NS0_12zip_iteratorINS5_IJN6thrust23THRUST_200600_302600_NS6detail15normal_iteratorINSC_10device_ptrIKdEEEESI_EEEEESK_NSA_INS5_IJNSE_INSF_IdEEEESM_EEEEEPS7_SP_SP_NSC_11hip_rocprim7__merge17predicate_wrapperIddNSC_7greaterIdEEEEEE10hipError_tPvRmT0_T1_T2_T3_T4_T5_mmT6_P12ihipStream_tbEUlT_E0_NS1_11comp_targetILNS1_3genE9ELNS1_11target_archE1100ELNS1_3gpuE3ELNS1_3repE0EEENS1_30default_config_static_selectorELNS0_4arch9wavefront6targetE0EEEvS10_,"axG",@progbits,_ZN7rocprim17ROCPRIM_400000_NS6detail17trampoline_kernelINS0_14default_configENS1_21merge_config_selectorINS0_5tupleIJddEEENS0_10empty_typeEEEZNS1_10merge_implIS3_NS0_12zip_iteratorINS5_IJN6thrust23THRUST_200600_302600_NS6detail15normal_iteratorINSC_10device_ptrIKdEEEESI_EEEEESK_NSA_INS5_IJNSE_INSF_IdEEEESM_EEEEEPS7_SP_SP_NSC_11hip_rocprim7__merge17predicate_wrapperIddNSC_7greaterIdEEEEEE10hipError_tPvRmT0_T1_T2_T3_T4_T5_mmT6_P12ihipStream_tbEUlT_E0_NS1_11comp_targetILNS1_3genE9ELNS1_11target_archE1100ELNS1_3gpuE3ELNS1_3repE0EEENS1_30default_config_static_selectorELNS0_4arch9wavefront6targetE0EEEvS10_,comdat
	.protected	_ZN7rocprim17ROCPRIM_400000_NS6detail17trampoline_kernelINS0_14default_configENS1_21merge_config_selectorINS0_5tupleIJddEEENS0_10empty_typeEEEZNS1_10merge_implIS3_NS0_12zip_iteratorINS5_IJN6thrust23THRUST_200600_302600_NS6detail15normal_iteratorINSC_10device_ptrIKdEEEESI_EEEEESK_NSA_INS5_IJNSE_INSF_IdEEEESM_EEEEEPS7_SP_SP_NSC_11hip_rocprim7__merge17predicate_wrapperIddNSC_7greaterIdEEEEEE10hipError_tPvRmT0_T1_T2_T3_T4_T5_mmT6_P12ihipStream_tbEUlT_E0_NS1_11comp_targetILNS1_3genE9ELNS1_11target_archE1100ELNS1_3gpuE3ELNS1_3repE0EEENS1_30default_config_static_selectorELNS0_4arch9wavefront6targetE0EEEvS10_ ; -- Begin function _ZN7rocprim17ROCPRIM_400000_NS6detail17trampoline_kernelINS0_14default_configENS1_21merge_config_selectorINS0_5tupleIJddEEENS0_10empty_typeEEEZNS1_10merge_implIS3_NS0_12zip_iteratorINS5_IJN6thrust23THRUST_200600_302600_NS6detail15normal_iteratorINSC_10device_ptrIKdEEEESI_EEEEESK_NSA_INS5_IJNSE_INSF_IdEEEESM_EEEEEPS7_SP_SP_NSC_11hip_rocprim7__merge17predicate_wrapperIddNSC_7greaterIdEEEEEE10hipError_tPvRmT0_T1_T2_T3_T4_T5_mmT6_P12ihipStream_tbEUlT_E0_NS1_11comp_targetILNS1_3genE9ELNS1_11target_archE1100ELNS1_3gpuE3ELNS1_3repE0EEENS1_30default_config_static_selectorELNS0_4arch9wavefront6targetE0EEEvS10_
	.globl	_ZN7rocprim17ROCPRIM_400000_NS6detail17trampoline_kernelINS0_14default_configENS1_21merge_config_selectorINS0_5tupleIJddEEENS0_10empty_typeEEEZNS1_10merge_implIS3_NS0_12zip_iteratorINS5_IJN6thrust23THRUST_200600_302600_NS6detail15normal_iteratorINSC_10device_ptrIKdEEEESI_EEEEESK_NSA_INS5_IJNSE_INSF_IdEEEESM_EEEEEPS7_SP_SP_NSC_11hip_rocprim7__merge17predicate_wrapperIddNSC_7greaterIdEEEEEE10hipError_tPvRmT0_T1_T2_T3_T4_T5_mmT6_P12ihipStream_tbEUlT_E0_NS1_11comp_targetILNS1_3genE9ELNS1_11target_archE1100ELNS1_3gpuE3ELNS1_3repE0EEENS1_30default_config_static_selectorELNS0_4arch9wavefront6targetE0EEEvS10_
	.p2align	8
	.type	_ZN7rocprim17ROCPRIM_400000_NS6detail17trampoline_kernelINS0_14default_configENS1_21merge_config_selectorINS0_5tupleIJddEEENS0_10empty_typeEEEZNS1_10merge_implIS3_NS0_12zip_iteratorINS5_IJN6thrust23THRUST_200600_302600_NS6detail15normal_iteratorINSC_10device_ptrIKdEEEESI_EEEEESK_NSA_INS5_IJNSE_INSF_IdEEEESM_EEEEEPS7_SP_SP_NSC_11hip_rocprim7__merge17predicate_wrapperIddNSC_7greaterIdEEEEEE10hipError_tPvRmT0_T1_T2_T3_T4_T5_mmT6_P12ihipStream_tbEUlT_E0_NS1_11comp_targetILNS1_3genE9ELNS1_11target_archE1100ELNS1_3gpuE3ELNS1_3repE0EEENS1_30default_config_static_selectorELNS0_4arch9wavefront6targetE0EEEvS10_,@function
_ZN7rocprim17ROCPRIM_400000_NS6detail17trampoline_kernelINS0_14default_configENS1_21merge_config_selectorINS0_5tupleIJddEEENS0_10empty_typeEEEZNS1_10merge_implIS3_NS0_12zip_iteratorINS5_IJN6thrust23THRUST_200600_302600_NS6detail15normal_iteratorINSC_10device_ptrIKdEEEESI_EEEEESK_NSA_INS5_IJNSE_INSF_IdEEEESM_EEEEEPS7_SP_SP_NSC_11hip_rocprim7__merge17predicate_wrapperIddNSC_7greaterIdEEEEEE10hipError_tPvRmT0_T1_T2_T3_T4_T5_mmT6_P12ihipStream_tbEUlT_E0_NS1_11comp_targetILNS1_3genE9ELNS1_11target_archE1100ELNS1_3gpuE3ELNS1_3repE0EEENS1_30default_config_static_selectorELNS0_4arch9wavefront6targetE0EEEvS10_: ; @_ZN7rocprim17ROCPRIM_400000_NS6detail17trampoline_kernelINS0_14default_configENS1_21merge_config_selectorINS0_5tupleIJddEEENS0_10empty_typeEEEZNS1_10merge_implIS3_NS0_12zip_iteratorINS5_IJN6thrust23THRUST_200600_302600_NS6detail15normal_iteratorINSC_10device_ptrIKdEEEESI_EEEEESK_NSA_INS5_IJNSE_INSF_IdEEEESM_EEEEEPS7_SP_SP_NSC_11hip_rocprim7__merge17predicate_wrapperIddNSC_7greaterIdEEEEEE10hipError_tPvRmT0_T1_T2_T3_T4_T5_mmT6_P12ihipStream_tbEUlT_E0_NS1_11comp_targetILNS1_3genE9ELNS1_11target_archE1100ELNS1_3gpuE3ELNS1_3repE0EEENS1_30default_config_static_selectorELNS0_4arch9wavefront6targetE0EEEvS10_
; %bb.0:
	.section	.rodata,"a",@progbits
	.p2align	6, 0x0
	.amdhsa_kernel _ZN7rocprim17ROCPRIM_400000_NS6detail17trampoline_kernelINS0_14default_configENS1_21merge_config_selectorINS0_5tupleIJddEEENS0_10empty_typeEEEZNS1_10merge_implIS3_NS0_12zip_iteratorINS5_IJN6thrust23THRUST_200600_302600_NS6detail15normal_iteratorINSC_10device_ptrIKdEEEESI_EEEEESK_NSA_INS5_IJNSE_INSF_IdEEEESM_EEEEEPS7_SP_SP_NSC_11hip_rocprim7__merge17predicate_wrapperIddNSC_7greaterIdEEEEEE10hipError_tPvRmT0_T1_T2_T3_T4_T5_mmT6_P12ihipStream_tbEUlT_E0_NS1_11comp_targetILNS1_3genE9ELNS1_11target_archE1100ELNS1_3gpuE3ELNS1_3repE0EEENS1_30default_config_static_selectorELNS0_4arch9wavefront6targetE0EEEvS10_
		.amdhsa_group_segment_fixed_size 0
		.amdhsa_private_segment_fixed_size 0
		.amdhsa_kernarg_size 112
		.amdhsa_user_sgpr_count 2
		.amdhsa_user_sgpr_dispatch_ptr 0
		.amdhsa_user_sgpr_queue_ptr 0
		.amdhsa_user_sgpr_kernarg_segment_ptr 1
		.amdhsa_user_sgpr_dispatch_id 0
		.amdhsa_user_sgpr_kernarg_preload_length 0
		.amdhsa_user_sgpr_kernarg_preload_offset 0
		.amdhsa_user_sgpr_private_segment_size 0
		.amdhsa_wavefront_size32 1
		.amdhsa_uses_dynamic_stack 0
		.amdhsa_enable_private_segment 0
		.amdhsa_system_sgpr_workgroup_id_x 1
		.amdhsa_system_sgpr_workgroup_id_y 0
		.amdhsa_system_sgpr_workgroup_id_z 0
		.amdhsa_system_sgpr_workgroup_info 0
		.amdhsa_system_vgpr_workitem_id 0
		.amdhsa_next_free_vgpr 1
		.amdhsa_next_free_sgpr 1
		.amdhsa_named_barrier_count 0
		.amdhsa_reserve_vcc 0
		.amdhsa_float_round_mode_32 0
		.amdhsa_float_round_mode_16_64 0
		.amdhsa_float_denorm_mode_32 3
		.amdhsa_float_denorm_mode_16_64 3
		.amdhsa_fp16_overflow 0
		.amdhsa_memory_ordered 1
		.amdhsa_forward_progress 1
		.amdhsa_inst_pref_size 0
		.amdhsa_round_robin_scheduling 0
		.amdhsa_exception_fp_ieee_invalid_op 0
		.amdhsa_exception_fp_denorm_src 0
		.amdhsa_exception_fp_ieee_div_zero 0
		.amdhsa_exception_fp_ieee_overflow 0
		.amdhsa_exception_fp_ieee_underflow 0
		.amdhsa_exception_fp_ieee_inexact 0
		.amdhsa_exception_int_div_zero 0
	.end_amdhsa_kernel
	.section	.text._ZN7rocprim17ROCPRIM_400000_NS6detail17trampoline_kernelINS0_14default_configENS1_21merge_config_selectorINS0_5tupleIJddEEENS0_10empty_typeEEEZNS1_10merge_implIS3_NS0_12zip_iteratorINS5_IJN6thrust23THRUST_200600_302600_NS6detail15normal_iteratorINSC_10device_ptrIKdEEEESI_EEEEESK_NSA_INS5_IJNSE_INSF_IdEEEESM_EEEEEPS7_SP_SP_NSC_11hip_rocprim7__merge17predicate_wrapperIddNSC_7greaterIdEEEEEE10hipError_tPvRmT0_T1_T2_T3_T4_T5_mmT6_P12ihipStream_tbEUlT_E0_NS1_11comp_targetILNS1_3genE9ELNS1_11target_archE1100ELNS1_3gpuE3ELNS1_3repE0EEENS1_30default_config_static_selectorELNS0_4arch9wavefront6targetE0EEEvS10_,"axG",@progbits,_ZN7rocprim17ROCPRIM_400000_NS6detail17trampoline_kernelINS0_14default_configENS1_21merge_config_selectorINS0_5tupleIJddEEENS0_10empty_typeEEEZNS1_10merge_implIS3_NS0_12zip_iteratorINS5_IJN6thrust23THRUST_200600_302600_NS6detail15normal_iteratorINSC_10device_ptrIKdEEEESI_EEEEESK_NSA_INS5_IJNSE_INSF_IdEEEESM_EEEEEPS7_SP_SP_NSC_11hip_rocprim7__merge17predicate_wrapperIddNSC_7greaterIdEEEEEE10hipError_tPvRmT0_T1_T2_T3_T4_T5_mmT6_P12ihipStream_tbEUlT_E0_NS1_11comp_targetILNS1_3genE9ELNS1_11target_archE1100ELNS1_3gpuE3ELNS1_3repE0EEENS1_30default_config_static_selectorELNS0_4arch9wavefront6targetE0EEEvS10_,comdat
.Lfunc_end333:
	.size	_ZN7rocprim17ROCPRIM_400000_NS6detail17trampoline_kernelINS0_14default_configENS1_21merge_config_selectorINS0_5tupleIJddEEENS0_10empty_typeEEEZNS1_10merge_implIS3_NS0_12zip_iteratorINS5_IJN6thrust23THRUST_200600_302600_NS6detail15normal_iteratorINSC_10device_ptrIKdEEEESI_EEEEESK_NSA_INS5_IJNSE_INSF_IdEEEESM_EEEEEPS7_SP_SP_NSC_11hip_rocprim7__merge17predicate_wrapperIddNSC_7greaterIdEEEEEE10hipError_tPvRmT0_T1_T2_T3_T4_T5_mmT6_P12ihipStream_tbEUlT_E0_NS1_11comp_targetILNS1_3genE9ELNS1_11target_archE1100ELNS1_3gpuE3ELNS1_3repE0EEENS1_30default_config_static_selectorELNS0_4arch9wavefront6targetE0EEEvS10_, .Lfunc_end333-_ZN7rocprim17ROCPRIM_400000_NS6detail17trampoline_kernelINS0_14default_configENS1_21merge_config_selectorINS0_5tupleIJddEEENS0_10empty_typeEEEZNS1_10merge_implIS3_NS0_12zip_iteratorINS5_IJN6thrust23THRUST_200600_302600_NS6detail15normal_iteratorINSC_10device_ptrIKdEEEESI_EEEEESK_NSA_INS5_IJNSE_INSF_IdEEEESM_EEEEEPS7_SP_SP_NSC_11hip_rocprim7__merge17predicate_wrapperIddNSC_7greaterIdEEEEEE10hipError_tPvRmT0_T1_T2_T3_T4_T5_mmT6_P12ihipStream_tbEUlT_E0_NS1_11comp_targetILNS1_3genE9ELNS1_11target_archE1100ELNS1_3gpuE3ELNS1_3repE0EEENS1_30default_config_static_selectorELNS0_4arch9wavefront6targetE0EEEvS10_
                                        ; -- End function
	.set _ZN7rocprim17ROCPRIM_400000_NS6detail17trampoline_kernelINS0_14default_configENS1_21merge_config_selectorINS0_5tupleIJddEEENS0_10empty_typeEEEZNS1_10merge_implIS3_NS0_12zip_iteratorINS5_IJN6thrust23THRUST_200600_302600_NS6detail15normal_iteratorINSC_10device_ptrIKdEEEESI_EEEEESK_NSA_INS5_IJNSE_INSF_IdEEEESM_EEEEEPS7_SP_SP_NSC_11hip_rocprim7__merge17predicate_wrapperIddNSC_7greaterIdEEEEEE10hipError_tPvRmT0_T1_T2_T3_T4_T5_mmT6_P12ihipStream_tbEUlT_E0_NS1_11comp_targetILNS1_3genE9ELNS1_11target_archE1100ELNS1_3gpuE3ELNS1_3repE0EEENS1_30default_config_static_selectorELNS0_4arch9wavefront6targetE0EEEvS10_.num_vgpr, 0
	.set _ZN7rocprim17ROCPRIM_400000_NS6detail17trampoline_kernelINS0_14default_configENS1_21merge_config_selectorINS0_5tupleIJddEEENS0_10empty_typeEEEZNS1_10merge_implIS3_NS0_12zip_iteratorINS5_IJN6thrust23THRUST_200600_302600_NS6detail15normal_iteratorINSC_10device_ptrIKdEEEESI_EEEEESK_NSA_INS5_IJNSE_INSF_IdEEEESM_EEEEEPS7_SP_SP_NSC_11hip_rocprim7__merge17predicate_wrapperIddNSC_7greaterIdEEEEEE10hipError_tPvRmT0_T1_T2_T3_T4_T5_mmT6_P12ihipStream_tbEUlT_E0_NS1_11comp_targetILNS1_3genE9ELNS1_11target_archE1100ELNS1_3gpuE3ELNS1_3repE0EEENS1_30default_config_static_selectorELNS0_4arch9wavefront6targetE0EEEvS10_.num_agpr, 0
	.set _ZN7rocprim17ROCPRIM_400000_NS6detail17trampoline_kernelINS0_14default_configENS1_21merge_config_selectorINS0_5tupleIJddEEENS0_10empty_typeEEEZNS1_10merge_implIS3_NS0_12zip_iteratorINS5_IJN6thrust23THRUST_200600_302600_NS6detail15normal_iteratorINSC_10device_ptrIKdEEEESI_EEEEESK_NSA_INS5_IJNSE_INSF_IdEEEESM_EEEEEPS7_SP_SP_NSC_11hip_rocprim7__merge17predicate_wrapperIddNSC_7greaterIdEEEEEE10hipError_tPvRmT0_T1_T2_T3_T4_T5_mmT6_P12ihipStream_tbEUlT_E0_NS1_11comp_targetILNS1_3genE9ELNS1_11target_archE1100ELNS1_3gpuE3ELNS1_3repE0EEENS1_30default_config_static_selectorELNS0_4arch9wavefront6targetE0EEEvS10_.numbered_sgpr, 0
	.set _ZN7rocprim17ROCPRIM_400000_NS6detail17trampoline_kernelINS0_14default_configENS1_21merge_config_selectorINS0_5tupleIJddEEENS0_10empty_typeEEEZNS1_10merge_implIS3_NS0_12zip_iteratorINS5_IJN6thrust23THRUST_200600_302600_NS6detail15normal_iteratorINSC_10device_ptrIKdEEEESI_EEEEESK_NSA_INS5_IJNSE_INSF_IdEEEESM_EEEEEPS7_SP_SP_NSC_11hip_rocprim7__merge17predicate_wrapperIddNSC_7greaterIdEEEEEE10hipError_tPvRmT0_T1_T2_T3_T4_T5_mmT6_P12ihipStream_tbEUlT_E0_NS1_11comp_targetILNS1_3genE9ELNS1_11target_archE1100ELNS1_3gpuE3ELNS1_3repE0EEENS1_30default_config_static_selectorELNS0_4arch9wavefront6targetE0EEEvS10_.num_named_barrier, 0
	.set _ZN7rocprim17ROCPRIM_400000_NS6detail17trampoline_kernelINS0_14default_configENS1_21merge_config_selectorINS0_5tupleIJddEEENS0_10empty_typeEEEZNS1_10merge_implIS3_NS0_12zip_iteratorINS5_IJN6thrust23THRUST_200600_302600_NS6detail15normal_iteratorINSC_10device_ptrIKdEEEESI_EEEEESK_NSA_INS5_IJNSE_INSF_IdEEEESM_EEEEEPS7_SP_SP_NSC_11hip_rocprim7__merge17predicate_wrapperIddNSC_7greaterIdEEEEEE10hipError_tPvRmT0_T1_T2_T3_T4_T5_mmT6_P12ihipStream_tbEUlT_E0_NS1_11comp_targetILNS1_3genE9ELNS1_11target_archE1100ELNS1_3gpuE3ELNS1_3repE0EEENS1_30default_config_static_selectorELNS0_4arch9wavefront6targetE0EEEvS10_.private_seg_size, 0
	.set _ZN7rocprim17ROCPRIM_400000_NS6detail17trampoline_kernelINS0_14default_configENS1_21merge_config_selectorINS0_5tupleIJddEEENS0_10empty_typeEEEZNS1_10merge_implIS3_NS0_12zip_iteratorINS5_IJN6thrust23THRUST_200600_302600_NS6detail15normal_iteratorINSC_10device_ptrIKdEEEESI_EEEEESK_NSA_INS5_IJNSE_INSF_IdEEEESM_EEEEEPS7_SP_SP_NSC_11hip_rocprim7__merge17predicate_wrapperIddNSC_7greaterIdEEEEEE10hipError_tPvRmT0_T1_T2_T3_T4_T5_mmT6_P12ihipStream_tbEUlT_E0_NS1_11comp_targetILNS1_3genE9ELNS1_11target_archE1100ELNS1_3gpuE3ELNS1_3repE0EEENS1_30default_config_static_selectorELNS0_4arch9wavefront6targetE0EEEvS10_.uses_vcc, 0
	.set _ZN7rocprim17ROCPRIM_400000_NS6detail17trampoline_kernelINS0_14default_configENS1_21merge_config_selectorINS0_5tupleIJddEEENS0_10empty_typeEEEZNS1_10merge_implIS3_NS0_12zip_iteratorINS5_IJN6thrust23THRUST_200600_302600_NS6detail15normal_iteratorINSC_10device_ptrIKdEEEESI_EEEEESK_NSA_INS5_IJNSE_INSF_IdEEEESM_EEEEEPS7_SP_SP_NSC_11hip_rocprim7__merge17predicate_wrapperIddNSC_7greaterIdEEEEEE10hipError_tPvRmT0_T1_T2_T3_T4_T5_mmT6_P12ihipStream_tbEUlT_E0_NS1_11comp_targetILNS1_3genE9ELNS1_11target_archE1100ELNS1_3gpuE3ELNS1_3repE0EEENS1_30default_config_static_selectorELNS0_4arch9wavefront6targetE0EEEvS10_.uses_flat_scratch, 0
	.set _ZN7rocprim17ROCPRIM_400000_NS6detail17trampoline_kernelINS0_14default_configENS1_21merge_config_selectorINS0_5tupleIJddEEENS0_10empty_typeEEEZNS1_10merge_implIS3_NS0_12zip_iteratorINS5_IJN6thrust23THRUST_200600_302600_NS6detail15normal_iteratorINSC_10device_ptrIKdEEEESI_EEEEESK_NSA_INS5_IJNSE_INSF_IdEEEESM_EEEEEPS7_SP_SP_NSC_11hip_rocprim7__merge17predicate_wrapperIddNSC_7greaterIdEEEEEE10hipError_tPvRmT0_T1_T2_T3_T4_T5_mmT6_P12ihipStream_tbEUlT_E0_NS1_11comp_targetILNS1_3genE9ELNS1_11target_archE1100ELNS1_3gpuE3ELNS1_3repE0EEENS1_30default_config_static_selectorELNS0_4arch9wavefront6targetE0EEEvS10_.has_dyn_sized_stack, 0
	.set _ZN7rocprim17ROCPRIM_400000_NS6detail17trampoline_kernelINS0_14default_configENS1_21merge_config_selectorINS0_5tupleIJddEEENS0_10empty_typeEEEZNS1_10merge_implIS3_NS0_12zip_iteratorINS5_IJN6thrust23THRUST_200600_302600_NS6detail15normal_iteratorINSC_10device_ptrIKdEEEESI_EEEEESK_NSA_INS5_IJNSE_INSF_IdEEEESM_EEEEEPS7_SP_SP_NSC_11hip_rocprim7__merge17predicate_wrapperIddNSC_7greaterIdEEEEEE10hipError_tPvRmT0_T1_T2_T3_T4_T5_mmT6_P12ihipStream_tbEUlT_E0_NS1_11comp_targetILNS1_3genE9ELNS1_11target_archE1100ELNS1_3gpuE3ELNS1_3repE0EEENS1_30default_config_static_selectorELNS0_4arch9wavefront6targetE0EEEvS10_.has_recursion, 0
	.set _ZN7rocprim17ROCPRIM_400000_NS6detail17trampoline_kernelINS0_14default_configENS1_21merge_config_selectorINS0_5tupleIJddEEENS0_10empty_typeEEEZNS1_10merge_implIS3_NS0_12zip_iteratorINS5_IJN6thrust23THRUST_200600_302600_NS6detail15normal_iteratorINSC_10device_ptrIKdEEEESI_EEEEESK_NSA_INS5_IJNSE_INSF_IdEEEESM_EEEEEPS7_SP_SP_NSC_11hip_rocprim7__merge17predicate_wrapperIddNSC_7greaterIdEEEEEE10hipError_tPvRmT0_T1_T2_T3_T4_T5_mmT6_P12ihipStream_tbEUlT_E0_NS1_11comp_targetILNS1_3genE9ELNS1_11target_archE1100ELNS1_3gpuE3ELNS1_3repE0EEENS1_30default_config_static_selectorELNS0_4arch9wavefront6targetE0EEEvS10_.has_indirect_call, 0
	.section	.AMDGPU.csdata,"",@progbits
; Kernel info:
; codeLenInByte = 0
; TotalNumSgprs: 0
; NumVgprs: 0
; ScratchSize: 0
; MemoryBound: 0
; FloatMode: 240
; IeeeMode: 1
; LDSByteSize: 0 bytes/workgroup (compile time only)
; SGPRBlocks: 0
; VGPRBlocks: 0
; NumSGPRsForWavesPerEU: 1
; NumVGPRsForWavesPerEU: 1
; NamedBarCnt: 0
; Occupancy: 16
; WaveLimiterHint : 0
; COMPUTE_PGM_RSRC2:SCRATCH_EN: 0
; COMPUTE_PGM_RSRC2:USER_SGPR: 2
; COMPUTE_PGM_RSRC2:TRAP_HANDLER: 0
; COMPUTE_PGM_RSRC2:TGID_X_EN: 1
; COMPUTE_PGM_RSRC2:TGID_Y_EN: 0
; COMPUTE_PGM_RSRC2:TGID_Z_EN: 0
; COMPUTE_PGM_RSRC2:TIDIG_COMP_CNT: 0
	.section	.text._ZN7rocprim17ROCPRIM_400000_NS6detail17trampoline_kernelINS0_14default_configENS1_21merge_config_selectorINS0_5tupleIJddEEENS0_10empty_typeEEEZNS1_10merge_implIS3_NS0_12zip_iteratorINS5_IJN6thrust23THRUST_200600_302600_NS6detail15normal_iteratorINSC_10device_ptrIKdEEEESI_EEEEESK_NSA_INS5_IJNSE_INSF_IdEEEESM_EEEEEPS7_SP_SP_NSC_11hip_rocprim7__merge17predicate_wrapperIddNSC_7greaterIdEEEEEE10hipError_tPvRmT0_T1_T2_T3_T4_T5_mmT6_P12ihipStream_tbEUlT_E0_NS1_11comp_targetILNS1_3genE8ELNS1_11target_archE1030ELNS1_3gpuE2ELNS1_3repE0EEENS1_30default_config_static_selectorELNS0_4arch9wavefront6targetE0EEEvS10_,"axG",@progbits,_ZN7rocprim17ROCPRIM_400000_NS6detail17trampoline_kernelINS0_14default_configENS1_21merge_config_selectorINS0_5tupleIJddEEENS0_10empty_typeEEEZNS1_10merge_implIS3_NS0_12zip_iteratorINS5_IJN6thrust23THRUST_200600_302600_NS6detail15normal_iteratorINSC_10device_ptrIKdEEEESI_EEEEESK_NSA_INS5_IJNSE_INSF_IdEEEESM_EEEEEPS7_SP_SP_NSC_11hip_rocprim7__merge17predicate_wrapperIddNSC_7greaterIdEEEEEE10hipError_tPvRmT0_T1_T2_T3_T4_T5_mmT6_P12ihipStream_tbEUlT_E0_NS1_11comp_targetILNS1_3genE8ELNS1_11target_archE1030ELNS1_3gpuE2ELNS1_3repE0EEENS1_30default_config_static_selectorELNS0_4arch9wavefront6targetE0EEEvS10_,comdat
	.protected	_ZN7rocprim17ROCPRIM_400000_NS6detail17trampoline_kernelINS0_14default_configENS1_21merge_config_selectorINS0_5tupleIJddEEENS0_10empty_typeEEEZNS1_10merge_implIS3_NS0_12zip_iteratorINS5_IJN6thrust23THRUST_200600_302600_NS6detail15normal_iteratorINSC_10device_ptrIKdEEEESI_EEEEESK_NSA_INS5_IJNSE_INSF_IdEEEESM_EEEEEPS7_SP_SP_NSC_11hip_rocprim7__merge17predicate_wrapperIddNSC_7greaterIdEEEEEE10hipError_tPvRmT0_T1_T2_T3_T4_T5_mmT6_P12ihipStream_tbEUlT_E0_NS1_11comp_targetILNS1_3genE8ELNS1_11target_archE1030ELNS1_3gpuE2ELNS1_3repE0EEENS1_30default_config_static_selectorELNS0_4arch9wavefront6targetE0EEEvS10_ ; -- Begin function _ZN7rocprim17ROCPRIM_400000_NS6detail17trampoline_kernelINS0_14default_configENS1_21merge_config_selectorINS0_5tupleIJddEEENS0_10empty_typeEEEZNS1_10merge_implIS3_NS0_12zip_iteratorINS5_IJN6thrust23THRUST_200600_302600_NS6detail15normal_iteratorINSC_10device_ptrIKdEEEESI_EEEEESK_NSA_INS5_IJNSE_INSF_IdEEEESM_EEEEEPS7_SP_SP_NSC_11hip_rocprim7__merge17predicate_wrapperIddNSC_7greaterIdEEEEEE10hipError_tPvRmT0_T1_T2_T3_T4_T5_mmT6_P12ihipStream_tbEUlT_E0_NS1_11comp_targetILNS1_3genE8ELNS1_11target_archE1030ELNS1_3gpuE2ELNS1_3repE0EEENS1_30default_config_static_selectorELNS0_4arch9wavefront6targetE0EEEvS10_
	.globl	_ZN7rocprim17ROCPRIM_400000_NS6detail17trampoline_kernelINS0_14default_configENS1_21merge_config_selectorINS0_5tupleIJddEEENS0_10empty_typeEEEZNS1_10merge_implIS3_NS0_12zip_iteratorINS5_IJN6thrust23THRUST_200600_302600_NS6detail15normal_iteratorINSC_10device_ptrIKdEEEESI_EEEEESK_NSA_INS5_IJNSE_INSF_IdEEEESM_EEEEEPS7_SP_SP_NSC_11hip_rocprim7__merge17predicate_wrapperIddNSC_7greaterIdEEEEEE10hipError_tPvRmT0_T1_T2_T3_T4_T5_mmT6_P12ihipStream_tbEUlT_E0_NS1_11comp_targetILNS1_3genE8ELNS1_11target_archE1030ELNS1_3gpuE2ELNS1_3repE0EEENS1_30default_config_static_selectorELNS0_4arch9wavefront6targetE0EEEvS10_
	.p2align	8
	.type	_ZN7rocprim17ROCPRIM_400000_NS6detail17trampoline_kernelINS0_14default_configENS1_21merge_config_selectorINS0_5tupleIJddEEENS0_10empty_typeEEEZNS1_10merge_implIS3_NS0_12zip_iteratorINS5_IJN6thrust23THRUST_200600_302600_NS6detail15normal_iteratorINSC_10device_ptrIKdEEEESI_EEEEESK_NSA_INS5_IJNSE_INSF_IdEEEESM_EEEEEPS7_SP_SP_NSC_11hip_rocprim7__merge17predicate_wrapperIddNSC_7greaterIdEEEEEE10hipError_tPvRmT0_T1_T2_T3_T4_T5_mmT6_P12ihipStream_tbEUlT_E0_NS1_11comp_targetILNS1_3genE8ELNS1_11target_archE1030ELNS1_3gpuE2ELNS1_3repE0EEENS1_30default_config_static_selectorELNS0_4arch9wavefront6targetE0EEEvS10_,@function
_ZN7rocprim17ROCPRIM_400000_NS6detail17trampoline_kernelINS0_14default_configENS1_21merge_config_selectorINS0_5tupleIJddEEENS0_10empty_typeEEEZNS1_10merge_implIS3_NS0_12zip_iteratorINS5_IJN6thrust23THRUST_200600_302600_NS6detail15normal_iteratorINSC_10device_ptrIKdEEEESI_EEEEESK_NSA_INS5_IJNSE_INSF_IdEEEESM_EEEEEPS7_SP_SP_NSC_11hip_rocprim7__merge17predicate_wrapperIddNSC_7greaterIdEEEEEE10hipError_tPvRmT0_T1_T2_T3_T4_T5_mmT6_P12ihipStream_tbEUlT_E0_NS1_11comp_targetILNS1_3genE8ELNS1_11target_archE1030ELNS1_3gpuE2ELNS1_3repE0EEENS1_30default_config_static_selectorELNS0_4arch9wavefront6targetE0EEEvS10_: ; @_ZN7rocprim17ROCPRIM_400000_NS6detail17trampoline_kernelINS0_14default_configENS1_21merge_config_selectorINS0_5tupleIJddEEENS0_10empty_typeEEEZNS1_10merge_implIS3_NS0_12zip_iteratorINS5_IJN6thrust23THRUST_200600_302600_NS6detail15normal_iteratorINSC_10device_ptrIKdEEEESI_EEEEESK_NSA_INS5_IJNSE_INSF_IdEEEESM_EEEEEPS7_SP_SP_NSC_11hip_rocprim7__merge17predicate_wrapperIddNSC_7greaterIdEEEEEE10hipError_tPvRmT0_T1_T2_T3_T4_T5_mmT6_P12ihipStream_tbEUlT_E0_NS1_11comp_targetILNS1_3genE8ELNS1_11target_archE1030ELNS1_3gpuE2ELNS1_3repE0EEENS1_30default_config_static_selectorELNS0_4arch9wavefront6targetE0EEEvS10_
; %bb.0:
	.section	.rodata,"a",@progbits
	.p2align	6, 0x0
	.amdhsa_kernel _ZN7rocprim17ROCPRIM_400000_NS6detail17trampoline_kernelINS0_14default_configENS1_21merge_config_selectorINS0_5tupleIJddEEENS0_10empty_typeEEEZNS1_10merge_implIS3_NS0_12zip_iteratorINS5_IJN6thrust23THRUST_200600_302600_NS6detail15normal_iteratorINSC_10device_ptrIKdEEEESI_EEEEESK_NSA_INS5_IJNSE_INSF_IdEEEESM_EEEEEPS7_SP_SP_NSC_11hip_rocprim7__merge17predicate_wrapperIddNSC_7greaterIdEEEEEE10hipError_tPvRmT0_T1_T2_T3_T4_T5_mmT6_P12ihipStream_tbEUlT_E0_NS1_11comp_targetILNS1_3genE8ELNS1_11target_archE1030ELNS1_3gpuE2ELNS1_3repE0EEENS1_30default_config_static_selectorELNS0_4arch9wavefront6targetE0EEEvS10_
		.amdhsa_group_segment_fixed_size 0
		.amdhsa_private_segment_fixed_size 0
		.amdhsa_kernarg_size 112
		.amdhsa_user_sgpr_count 2
		.amdhsa_user_sgpr_dispatch_ptr 0
		.amdhsa_user_sgpr_queue_ptr 0
		.amdhsa_user_sgpr_kernarg_segment_ptr 1
		.amdhsa_user_sgpr_dispatch_id 0
		.amdhsa_user_sgpr_kernarg_preload_length 0
		.amdhsa_user_sgpr_kernarg_preload_offset 0
		.amdhsa_user_sgpr_private_segment_size 0
		.amdhsa_wavefront_size32 1
		.amdhsa_uses_dynamic_stack 0
		.amdhsa_enable_private_segment 0
		.amdhsa_system_sgpr_workgroup_id_x 1
		.amdhsa_system_sgpr_workgroup_id_y 0
		.amdhsa_system_sgpr_workgroup_id_z 0
		.amdhsa_system_sgpr_workgroup_info 0
		.amdhsa_system_vgpr_workitem_id 0
		.amdhsa_next_free_vgpr 1
		.amdhsa_next_free_sgpr 1
		.amdhsa_named_barrier_count 0
		.amdhsa_reserve_vcc 0
		.amdhsa_float_round_mode_32 0
		.amdhsa_float_round_mode_16_64 0
		.amdhsa_float_denorm_mode_32 3
		.amdhsa_float_denorm_mode_16_64 3
		.amdhsa_fp16_overflow 0
		.amdhsa_memory_ordered 1
		.amdhsa_forward_progress 1
		.amdhsa_inst_pref_size 0
		.amdhsa_round_robin_scheduling 0
		.amdhsa_exception_fp_ieee_invalid_op 0
		.amdhsa_exception_fp_denorm_src 0
		.amdhsa_exception_fp_ieee_div_zero 0
		.amdhsa_exception_fp_ieee_overflow 0
		.amdhsa_exception_fp_ieee_underflow 0
		.amdhsa_exception_fp_ieee_inexact 0
		.amdhsa_exception_int_div_zero 0
	.end_amdhsa_kernel
	.section	.text._ZN7rocprim17ROCPRIM_400000_NS6detail17trampoline_kernelINS0_14default_configENS1_21merge_config_selectorINS0_5tupleIJddEEENS0_10empty_typeEEEZNS1_10merge_implIS3_NS0_12zip_iteratorINS5_IJN6thrust23THRUST_200600_302600_NS6detail15normal_iteratorINSC_10device_ptrIKdEEEESI_EEEEESK_NSA_INS5_IJNSE_INSF_IdEEEESM_EEEEEPS7_SP_SP_NSC_11hip_rocprim7__merge17predicate_wrapperIddNSC_7greaterIdEEEEEE10hipError_tPvRmT0_T1_T2_T3_T4_T5_mmT6_P12ihipStream_tbEUlT_E0_NS1_11comp_targetILNS1_3genE8ELNS1_11target_archE1030ELNS1_3gpuE2ELNS1_3repE0EEENS1_30default_config_static_selectorELNS0_4arch9wavefront6targetE0EEEvS10_,"axG",@progbits,_ZN7rocprim17ROCPRIM_400000_NS6detail17trampoline_kernelINS0_14default_configENS1_21merge_config_selectorINS0_5tupleIJddEEENS0_10empty_typeEEEZNS1_10merge_implIS3_NS0_12zip_iteratorINS5_IJN6thrust23THRUST_200600_302600_NS6detail15normal_iteratorINSC_10device_ptrIKdEEEESI_EEEEESK_NSA_INS5_IJNSE_INSF_IdEEEESM_EEEEEPS7_SP_SP_NSC_11hip_rocprim7__merge17predicate_wrapperIddNSC_7greaterIdEEEEEE10hipError_tPvRmT0_T1_T2_T3_T4_T5_mmT6_P12ihipStream_tbEUlT_E0_NS1_11comp_targetILNS1_3genE8ELNS1_11target_archE1030ELNS1_3gpuE2ELNS1_3repE0EEENS1_30default_config_static_selectorELNS0_4arch9wavefront6targetE0EEEvS10_,comdat
.Lfunc_end334:
	.size	_ZN7rocprim17ROCPRIM_400000_NS6detail17trampoline_kernelINS0_14default_configENS1_21merge_config_selectorINS0_5tupleIJddEEENS0_10empty_typeEEEZNS1_10merge_implIS3_NS0_12zip_iteratorINS5_IJN6thrust23THRUST_200600_302600_NS6detail15normal_iteratorINSC_10device_ptrIKdEEEESI_EEEEESK_NSA_INS5_IJNSE_INSF_IdEEEESM_EEEEEPS7_SP_SP_NSC_11hip_rocprim7__merge17predicate_wrapperIddNSC_7greaterIdEEEEEE10hipError_tPvRmT0_T1_T2_T3_T4_T5_mmT6_P12ihipStream_tbEUlT_E0_NS1_11comp_targetILNS1_3genE8ELNS1_11target_archE1030ELNS1_3gpuE2ELNS1_3repE0EEENS1_30default_config_static_selectorELNS0_4arch9wavefront6targetE0EEEvS10_, .Lfunc_end334-_ZN7rocprim17ROCPRIM_400000_NS6detail17trampoline_kernelINS0_14default_configENS1_21merge_config_selectorINS0_5tupleIJddEEENS0_10empty_typeEEEZNS1_10merge_implIS3_NS0_12zip_iteratorINS5_IJN6thrust23THRUST_200600_302600_NS6detail15normal_iteratorINSC_10device_ptrIKdEEEESI_EEEEESK_NSA_INS5_IJNSE_INSF_IdEEEESM_EEEEEPS7_SP_SP_NSC_11hip_rocprim7__merge17predicate_wrapperIddNSC_7greaterIdEEEEEE10hipError_tPvRmT0_T1_T2_T3_T4_T5_mmT6_P12ihipStream_tbEUlT_E0_NS1_11comp_targetILNS1_3genE8ELNS1_11target_archE1030ELNS1_3gpuE2ELNS1_3repE0EEENS1_30default_config_static_selectorELNS0_4arch9wavefront6targetE0EEEvS10_
                                        ; -- End function
	.set _ZN7rocprim17ROCPRIM_400000_NS6detail17trampoline_kernelINS0_14default_configENS1_21merge_config_selectorINS0_5tupleIJddEEENS0_10empty_typeEEEZNS1_10merge_implIS3_NS0_12zip_iteratorINS5_IJN6thrust23THRUST_200600_302600_NS6detail15normal_iteratorINSC_10device_ptrIKdEEEESI_EEEEESK_NSA_INS5_IJNSE_INSF_IdEEEESM_EEEEEPS7_SP_SP_NSC_11hip_rocprim7__merge17predicate_wrapperIddNSC_7greaterIdEEEEEE10hipError_tPvRmT0_T1_T2_T3_T4_T5_mmT6_P12ihipStream_tbEUlT_E0_NS1_11comp_targetILNS1_3genE8ELNS1_11target_archE1030ELNS1_3gpuE2ELNS1_3repE0EEENS1_30default_config_static_selectorELNS0_4arch9wavefront6targetE0EEEvS10_.num_vgpr, 0
	.set _ZN7rocprim17ROCPRIM_400000_NS6detail17trampoline_kernelINS0_14default_configENS1_21merge_config_selectorINS0_5tupleIJddEEENS0_10empty_typeEEEZNS1_10merge_implIS3_NS0_12zip_iteratorINS5_IJN6thrust23THRUST_200600_302600_NS6detail15normal_iteratorINSC_10device_ptrIKdEEEESI_EEEEESK_NSA_INS5_IJNSE_INSF_IdEEEESM_EEEEEPS7_SP_SP_NSC_11hip_rocprim7__merge17predicate_wrapperIddNSC_7greaterIdEEEEEE10hipError_tPvRmT0_T1_T2_T3_T4_T5_mmT6_P12ihipStream_tbEUlT_E0_NS1_11comp_targetILNS1_3genE8ELNS1_11target_archE1030ELNS1_3gpuE2ELNS1_3repE0EEENS1_30default_config_static_selectorELNS0_4arch9wavefront6targetE0EEEvS10_.num_agpr, 0
	.set _ZN7rocprim17ROCPRIM_400000_NS6detail17trampoline_kernelINS0_14default_configENS1_21merge_config_selectorINS0_5tupleIJddEEENS0_10empty_typeEEEZNS1_10merge_implIS3_NS0_12zip_iteratorINS5_IJN6thrust23THRUST_200600_302600_NS6detail15normal_iteratorINSC_10device_ptrIKdEEEESI_EEEEESK_NSA_INS5_IJNSE_INSF_IdEEEESM_EEEEEPS7_SP_SP_NSC_11hip_rocprim7__merge17predicate_wrapperIddNSC_7greaterIdEEEEEE10hipError_tPvRmT0_T1_T2_T3_T4_T5_mmT6_P12ihipStream_tbEUlT_E0_NS1_11comp_targetILNS1_3genE8ELNS1_11target_archE1030ELNS1_3gpuE2ELNS1_3repE0EEENS1_30default_config_static_selectorELNS0_4arch9wavefront6targetE0EEEvS10_.numbered_sgpr, 0
	.set _ZN7rocprim17ROCPRIM_400000_NS6detail17trampoline_kernelINS0_14default_configENS1_21merge_config_selectorINS0_5tupleIJddEEENS0_10empty_typeEEEZNS1_10merge_implIS3_NS0_12zip_iteratorINS5_IJN6thrust23THRUST_200600_302600_NS6detail15normal_iteratorINSC_10device_ptrIKdEEEESI_EEEEESK_NSA_INS5_IJNSE_INSF_IdEEEESM_EEEEEPS7_SP_SP_NSC_11hip_rocprim7__merge17predicate_wrapperIddNSC_7greaterIdEEEEEE10hipError_tPvRmT0_T1_T2_T3_T4_T5_mmT6_P12ihipStream_tbEUlT_E0_NS1_11comp_targetILNS1_3genE8ELNS1_11target_archE1030ELNS1_3gpuE2ELNS1_3repE0EEENS1_30default_config_static_selectorELNS0_4arch9wavefront6targetE0EEEvS10_.num_named_barrier, 0
	.set _ZN7rocprim17ROCPRIM_400000_NS6detail17trampoline_kernelINS0_14default_configENS1_21merge_config_selectorINS0_5tupleIJddEEENS0_10empty_typeEEEZNS1_10merge_implIS3_NS0_12zip_iteratorINS5_IJN6thrust23THRUST_200600_302600_NS6detail15normal_iteratorINSC_10device_ptrIKdEEEESI_EEEEESK_NSA_INS5_IJNSE_INSF_IdEEEESM_EEEEEPS7_SP_SP_NSC_11hip_rocprim7__merge17predicate_wrapperIddNSC_7greaterIdEEEEEE10hipError_tPvRmT0_T1_T2_T3_T4_T5_mmT6_P12ihipStream_tbEUlT_E0_NS1_11comp_targetILNS1_3genE8ELNS1_11target_archE1030ELNS1_3gpuE2ELNS1_3repE0EEENS1_30default_config_static_selectorELNS0_4arch9wavefront6targetE0EEEvS10_.private_seg_size, 0
	.set _ZN7rocprim17ROCPRIM_400000_NS6detail17trampoline_kernelINS0_14default_configENS1_21merge_config_selectorINS0_5tupleIJddEEENS0_10empty_typeEEEZNS1_10merge_implIS3_NS0_12zip_iteratorINS5_IJN6thrust23THRUST_200600_302600_NS6detail15normal_iteratorINSC_10device_ptrIKdEEEESI_EEEEESK_NSA_INS5_IJNSE_INSF_IdEEEESM_EEEEEPS7_SP_SP_NSC_11hip_rocprim7__merge17predicate_wrapperIddNSC_7greaterIdEEEEEE10hipError_tPvRmT0_T1_T2_T3_T4_T5_mmT6_P12ihipStream_tbEUlT_E0_NS1_11comp_targetILNS1_3genE8ELNS1_11target_archE1030ELNS1_3gpuE2ELNS1_3repE0EEENS1_30default_config_static_selectorELNS0_4arch9wavefront6targetE0EEEvS10_.uses_vcc, 0
	.set _ZN7rocprim17ROCPRIM_400000_NS6detail17trampoline_kernelINS0_14default_configENS1_21merge_config_selectorINS0_5tupleIJddEEENS0_10empty_typeEEEZNS1_10merge_implIS3_NS0_12zip_iteratorINS5_IJN6thrust23THRUST_200600_302600_NS6detail15normal_iteratorINSC_10device_ptrIKdEEEESI_EEEEESK_NSA_INS5_IJNSE_INSF_IdEEEESM_EEEEEPS7_SP_SP_NSC_11hip_rocprim7__merge17predicate_wrapperIddNSC_7greaterIdEEEEEE10hipError_tPvRmT0_T1_T2_T3_T4_T5_mmT6_P12ihipStream_tbEUlT_E0_NS1_11comp_targetILNS1_3genE8ELNS1_11target_archE1030ELNS1_3gpuE2ELNS1_3repE0EEENS1_30default_config_static_selectorELNS0_4arch9wavefront6targetE0EEEvS10_.uses_flat_scratch, 0
	.set _ZN7rocprim17ROCPRIM_400000_NS6detail17trampoline_kernelINS0_14default_configENS1_21merge_config_selectorINS0_5tupleIJddEEENS0_10empty_typeEEEZNS1_10merge_implIS3_NS0_12zip_iteratorINS5_IJN6thrust23THRUST_200600_302600_NS6detail15normal_iteratorINSC_10device_ptrIKdEEEESI_EEEEESK_NSA_INS5_IJNSE_INSF_IdEEEESM_EEEEEPS7_SP_SP_NSC_11hip_rocprim7__merge17predicate_wrapperIddNSC_7greaterIdEEEEEE10hipError_tPvRmT0_T1_T2_T3_T4_T5_mmT6_P12ihipStream_tbEUlT_E0_NS1_11comp_targetILNS1_3genE8ELNS1_11target_archE1030ELNS1_3gpuE2ELNS1_3repE0EEENS1_30default_config_static_selectorELNS0_4arch9wavefront6targetE0EEEvS10_.has_dyn_sized_stack, 0
	.set _ZN7rocprim17ROCPRIM_400000_NS6detail17trampoline_kernelINS0_14default_configENS1_21merge_config_selectorINS0_5tupleIJddEEENS0_10empty_typeEEEZNS1_10merge_implIS3_NS0_12zip_iteratorINS5_IJN6thrust23THRUST_200600_302600_NS6detail15normal_iteratorINSC_10device_ptrIKdEEEESI_EEEEESK_NSA_INS5_IJNSE_INSF_IdEEEESM_EEEEEPS7_SP_SP_NSC_11hip_rocprim7__merge17predicate_wrapperIddNSC_7greaterIdEEEEEE10hipError_tPvRmT0_T1_T2_T3_T4_T5_mmT6_P12ihipStream_tbEUlT_E0_NS1_11comp_targetILNS1_3genE8ELNS1_11target_archE1030ELNS1_3gpuE2ELNS1_3repE0EEENS1_30default_config_static_selectorELNS0_4arch9wavefront6targetE0EEEvS10_.has_recursion, 0
	.set _ZN7rocprim17ROCPRIM_400000_NS6detail17trampoline_kernelINS0_14default_configENS1_21merge_config_selectorINS0_5tupleIJddEEENS0_10empty_typeEEEZNS1_10merge_implIS3_NS0_12zip_iteratorINS5_IJN6thrust23THRUST_200600_302600_NS6detail15normal_iteratorINSC_10device_ptrIKdEEEESI_EEEEESK_NSA_INS5_IJNSE_INSF_IdEEEESM_EEEEEPS7_SP_SP_NSC_11hip_rocprim7__merge17predicate_wrapperIddNSC_7greaterIdEEEEEE10hipError_tPvRmT0_T1_T2_T3_T4_T5_mmT6_P12ihipStream_tbEUlT_E0_NS1_11comp_targetILNS1_3genE8ELNS1_11target_archE1030ELNS1_3gpuE2ELNS1_3repE0EEENS1_30default_config_static_selectorELNS0_4arch9wavefront6targetE0EEEvS10_.has_indirect_call, 0
	.section	.AMDGPU.csdata,"",@progbits
; Kernel info:
; codeLenInByte = 0
; TotalNumSgprs: 0
; NumVgprs: 0
; ScratchSize: 0
; MemoryBound: 0
; FloatMode: 240
; IeeeMode: 1
; LDSByteSize: 0 bytes/workgroup (compile time only)
; SGPRBlocks: 0
; VGPRBlocks: 0
; NumSGPRsForWavesPerEU: 1
; NumVGPRsForWavesPerEU: 1
; NamedBarCnt: 0
; Occupancy: 16
; WaveLimiterHint : 0
; COMPUTE_PGM_RSRC2:SCRATCH_EN: 0
; COMPUTE_PGM_RSRC2:USER_SGPR: 2
; COMPUTE_PGM_RSRC2:TRAP_HANDLER: 0
; COMPUTE_PGM_RSRC2:TGID_X_EN: 1
; COMPUTE_PGM_RSRC2:TGID_Y_EN: 0
; COMPUTE_PGM_RSRC2:TGID_Z_EN: 0
; COMPUTE_PGM_RSRC2:TIDIG_COMP_CNT: 0
	.section	.text._ZN7rocprim17ROCPRIM_400000_NS6detail17trampoline_kernelINS0_14default_configENS1_21merge_config_selectorINS0_5tupleIJffEEENS0_10empty_typeEEEZNS1_10merge_implIS3_NS0_12zip_iteratorINS5_IJN6thrust23THRUST_200600_302600_NS6detail15normal_iteratorINSC_10device_ptrIKfEEEESI_EEEEESK_NSA_INS5_IJNSE_INSF_IfEEEESM_EEEEEPS7_SP_SP_NSC_11hip_rocprim7__merge17predicate_wrapperIffNSC_7greaterIfEEEEEE10hipError_tPvRmT0_T1_T2_T3_T4_T5_mmT6_P12ihipStream_tbEUlT_E_NS1_11comp_targetILNS1_3genE0ELNS1_11target_archE4294967295ELNS1_3gpuE0ELNS1_3repE0EEENS1_30default_config_static_selectorELNS0_4arch9wavefront6targetE0EEEvS10_,"axG",@progbits,_ZN7rocprim17ROCPRIM_400000_NS6detail17trampoline_kernelINS0_14default_configENS1_21merge_config_selectorINS0_5tupleIJffEEENS0_10empty_typeEEEZNS1_10merge_implIS3_NS0_12zip_iteratorINS5_IJN6thrust23THRUST_200600_302600_NS6detail15normal_iteratorINSC_10device_ptrIKfEEEESI_EEEEESK_NSA_INS5_IJNSE_INSF_IfEEEESM_EEEEEPS7_SP_SP_NSC_11hip_rocprim7__merge17predicate_wrapperIffNSC_7greaterIfEEEEEE10hipError_tPvRmT0_T1_T2_T3_T4_T5_mmT6_P12ihipStream_tbEUlT_E_NS1_11comp_targetILNS1_3genE0ELNS1_11target_archE4294967295ELNS1_3gpuE0ELNS1_3repE0EEENS1_30default_config_static_selectorELNS0_4arch9wavefront6targetE0EEEvS10_,comdat
	.protected	_ZN7rocprim17ROCPRIM_400000_NS6detail17trampoline_kernelINS0_14default_configENS1_21merge_config_selectorINS0_5tupleIJffEEENS0_10empty_typeEEEZNS1_10merge_implIS3_NS0_12zip_iteratorINS5_IJN6thrust23THRUST_200600_302600_NS6detail15normal_iteratorINSC_10device_ptrIKfEEEESI_EEEEESK_NSA_INS5_IJNSE_INSF_IfEEEESM_EEEEEPS7_SP_SP_NSC_11hip_rocprim7__merge17predicate_wrapperIffNSC_7greaterIfEEEEEE10hipError_tPvRmT0_T1_T2_T3_T4_T5_mmT6_P12ihipStream_tbEUlT_E_NS1_11comp_targetILNS1_3genE0ELNS1_11target_archE4294967295ELNS1_3gpuE0ELNS1_3repE0EEENS1_30default_config_static_selectorELNS0_4arch9wavefront6targetE0EEEvS10_ ; -- Begin function _ZN7rocprim17ROCPRIM_400000_NS6detail17trampoline_kernelINS0_14default_configENS1_21merge_config_selectorINS0_5tupleIJffEEENS0_10empty_typeEEEZNS1_10merge_implIS3_NS0_12zip_iteratorINS5_IJN6thrust23THRUST_200600_302600_NS6detail15normal_iteratorINSC_10device_ptrIKfEEEESI_EEEEESK_NSA_INS5_IJNSE_INSF_IfEEEESM_EEEEEPS7_SP_SP_NSC_11hip_rocprim7__merge17predicate_wrapperIffNSC_7greaterIfEEEEEE10hipError_tPvRmT0_T1_T2_T3_T4_T5_mmT6_P12ihipStream_tbEUlT_E_NS1_11comp_targetILNS1_3genE0ELNS1_11target_archE4294967295ELNS1_3gpuE0ELNS1_3repE0EEENS1_30default_config_static_selectorELNS0_4arch9wavefront6targetE0EEEvS10_
	.globl	_ZN7rocprim17ROCPRIM_400000_NS6detail17trampoline_kernelINS0_14default_configENS1_21merge_config_selectorINS0_5tupleIJffEEENS0_10empty_typeEEEZNS1_10merge_implIS3_NS0_12zip_iteratorINS5_IJN6thrust23THRUST_200600_302600_NS6detail15normal_iteratorINSC_10device_ptrIKfEEEESI_EEEEESK_NSA_INS5_IJNSE_INSF_IfEEEESM_EEEEEPS7_SP_SP_NSC_11hip_rocprim7__merge17predicate_wrapperIffNSC_7greaterIfEEEEEE10hipError_tPvRmT0_T1_T2_T3_T4_T5_mmT6_P12ihipStream_tbEUlT_E_NS1_11comp_targetILNS1_3genE0ELNS1_11target_archE4294967295ELNS1_3gpuE0ELNS1_3repE0EEENS1_30default_config_static_selectorELNS0_4arch9wavefront6targetE0EEEvS10_
	.p2align	8
	.type	_ZN7rocprim17ROCPRIM_400000_NS6detail17trampoline_kernelINS0_14default_configENS1_21merge_config_selectorINS0_5tupleIJffEEENS0_10empty_typeEEEZNS1_10merge_implIS3_NS0_12zip_iteratorINS5_IJN6thrust23THRUST_200600_302600_NS6detail15normal_iteratorINSC_10device_ptrIKfEEEESI_EEEEESK_NSA_INS5_IJNSE_INSF_IfEEEESM_EEEEEPS7_SP_SP_NSC_11hip_rocprim7__merge17predicate_wrapperIffNSC_7greaterIfEEEEEE10hipError_tPvRmT0_T1_T2_T3_T4_T5_mmT6_P12ihipStream_tbEUlT_E_NS1_11comp_targetILNS1_3genE0ELNS1_11target_archE4294967295ELNS1_3gpuE0ELNS1_3repE0EEENS1_30default_config_static_selectorELNS0_4arch9wavefront6targetE0EEEvS10_,@function
_ZN7rocprim17ROCPRIM_400000_NS6detail17trampoline_kernelINS0_14default_configENS1_21merge_config_selectorINS0_5tupleIJffEEENS0_10empty_typeEEEZNS1_10merge_implIS3_NS0_12zip_iteratorINS5_IJN6thrust23THRUST_200600_302600_NS6detail15normal_iteratorINSC_10device_ptrIKfEEEESI_EEEEESK_NSA_INS5_IJNSE_INSF_IfEEEESM_EEEEEPS7_SP_SP_NSC_11hip_rocprim7__merge17predicate_wrapperIffNSC_7greaterIfEEEEEE10hipError_tPvRmT0_T1_T2_T3_T4_T5_mmT6_P12ihipStream_tbEUlT_E_NS1_11comp_targetILNS1_3genE0ELNS1_11target_archE4294967295ELNS1_3gpuE0ELNS1_3repE0EEENS1_30default_config_static_selectorELNS0_4arch9wavefront6targetE0EEEvS10_: ; @_ZN7rocprim17ROCPRIM_400000_NS6detail17trampoline_kernelINS0_14default_configENS1_21merge_config_selectorINS0_5tupleIJffEEENS0_10empty_typeEEEZNS1_10merge_implIS3_NS0_12zip_iteratorINS5_IJN6thrust23THRUST_200600_302600_NS6detail15normal_iteratorINSC_10device_ptrIKfEEEESI_EEEEESK_NSA_INS5_IJNSE_INSF_IfEEEESM_EEEEEPS7_SP_SP_NSC_11hip_rocprim7__merge17predicate_wrapperIffNSC_7greaterIfEEEEEE10hipError_tPvRmT0_T1_T2_T3_T4_T5_mmT6_P12ihipStream_tbEUlT_E_NS1_11comp_targetILNS1_3genE0ELNS1_11target_archE4294967295ELNS1_3gpuE0ELNS1_3repE0EEENS1_30default_config_static_selectorELNS0_4arch9wavefront6targetE0EEEvS10_
; %bb.0:
	s_clause 0x2
	s_load_b32 s4, s[0:1], 0x38
	s_load_b32 s2, s[0:1], 0x4c
	s_load_b128 s[8:11], s[0:1], 0x28
	s_getreg_b32 s7, hwreg(HW_REG_IB_STS2, 6, 4)
	s_wait_kmcnt 0x0
	s_cvt_f32_u32 s3, s4
	s_and_b32 s6, s2, 0xffff
	s_and_b32 s2, ttmp6, 15
	s_delay_alu instid0(SALU_CYCLE_1) | instskip(SKIP_1) | instid1(SALU_CYCLE_1)
	v_rcp_iflag_f32_e32 v1, s3
	s_bfe_u32 s3, ttmp6, 0x4000c
	s_add_co_i32 s3, s3, 1
	s_delay_alu instid0(SALU_CYCLE_1) | instskip(NEXT) | instid1(SALU_CYCLE_1)
	s_mul_i32 s3, ttmp9, s3
	s_add_co_i32 s2, s2, s3
	v_nop
	s_delay_alu instid0(TRANS32_DEP_1)
	v_readfirstlane_b32 s5, v1
	s_cmp_eq_u32 s7, 0
	s_cselect_b32 s7, ttmp9, s2
	s_sub_co_i32 s12, 0, s4
	s_mul_f32 s5, s5, 0x4f7ffffe
	s_add_nc_u64 s[2:3], s[10:11], s[8:9]
	v_mad_u32 v6, s7, s6, v0
	s_add_co_i32 s13, s4, s2
	s_cvt_u32_f32 s5, s5
	s_add_co_i32 s13, s13, -1
	s_delay_alu instid0(SALU_CYCLE_2) | instskip(NEXT) | instid1(SALU_CYCLE_1)
	s_mul_i32 s12, s12, s5
	s_mul_hi_u32 s12, s5, s12
	s_delay_alu instid0(SALU_CYCLE_1) | instskip(NEXT) | instid1(SALU_CYCLE_1)
	s_add_co_i32 s5, s5, s12
	s_mul_hi_u32 s5, s13, s5
	s_delay_alu instid0(SALU_CYCLE_1) | instskip(SKIP_2) | instid1(SALU_CYCLE_1)
	s_mul_i32 s12, s5, s4
	s_add_co_i32 s7, s5, 1
	s_sub_co_i32 s6, s13, s12
	s_sub_co_i32 s12, s6, s4
	s_cmp_ge_u32 s6, s4
	s_cselect_b32 s5, s7, s5
	s_cselect_b32 s6, s12, s6
	s_add_co_i32 s7, s5, 1
	s_cmp_ge_u32 s6, s4
	s_cselect_b32 s5, s7, s5
	s_delay_alu instid0(SALU_CYCLE_1)
	v_cmp_ge_u32_e32 vcc_lo, s5, v6
	s_and_saveexec_b32 s5, vcc_lo
	s_cbranch_execz .LBB335_6
; %bb.1:
	v_mul_lo_u32 v0, v6, s4
	v_mov_b32_e32 v1, 0
	s_load_b128 s[4:7], s[0:1], 0x0
	s_delay_alu instid0(VALU_DEP_1) | instskip(SKIP_1) | instid1(VALU_DEP_1)
	v_min_u64 v[4:5], v[0:1], s[2:3]
	s_mov_b32 s2, exec_lo
	v_max_u64 v[0:1], v[4:5], s[10:11]
	v_min_u64 v[2:3], v[4:5], s[8:9]
	s_delay_alu instid0(VALU_DEP_2) | instskip(NEXT) | instid1(VALU_DEP_1)
	v_sub_nc_u64_e64 v[0:1], v[0:1], s[10:11]
	v_cmpx_lt_u64_e64 v[0:1], v[2:3]
	s_cbranch_execz .LBB335_5
; %bb.2:
	s_wait_xcnt 0x0
	s_load_b64 s[0:1], s[0:1], 0x18
	s_wait_kmcnt 0x0
	v_lshl_add_u64 v[4:5], v[4:5], 2, s[0:1]
	s_mov_b32 s0, 0
.LBB335_3:                              ; =>This Inner Loop Header: Depth=1
	v_add_nc_u64_e32 v[8:9], v[2:3], v[0:1]
	s_delay_alu instid0(VALU_DEP_1) | instskip(NEXT) | instid1(VALU_DEP_1)
	v_lshrrev_b64 v[8:9], 1, v[8:9]
	v_lshlrev_b64_e32 v[10:11], 2, v[8:9]
	s_delay_alu instid0(VALU_DEP_1) | instskip(NEXT) | instid1(VALU_DEP_2)
	v_xor_b32_e32 v13, -1, v11
	v_xor_b32_e32 v12, -4, v10
	v_add_nc_u64_e32 v[10:11], s[6:7], v[10:11]
	s_delay_alu instid0(VALU_DEP_2)
	v_add_nc_u64_e32 v[12:13], v[4:5], v[12:13]
	global_load_b32 v7, v[10:11], off
	global_load_b32 v14, v[12:13], off
	s_wait_xcnt 0x1
	v_add_nc_u64_e32 v[10:11], 1, v[8:9]
	s_wait_loadcnt 0x0
	v_cmp_gt_f32_e32 vcc_lo, v14, v7
	v_dual_cndmask_b32 v3, v3, v9 :: v_dual_cndmask_b32 v2, v2, v8
	s_delay_alu instid0(VALU_DEP_3) | instskip(NEXT) | instid1(VALU_DEP_1)
	v_dual_cndmask_b32 v1, v11, v1 :: v_dual_cndmask_b32 v0, v10, v0
	v_cmp_ge_u64_e32 vcc_lo, v[0:1], v[2:3]
	s_or_b32 s0, vcc_lo, s0
	s_delay_alu instid0(SALU_CYCLE_1)
	s_and_not1_b32 exec_lo, exec_lo, s0
	s_cbranch_execnz .LBB335_3
; %bb.4:
	s_or_b32 exec_lo, exec_lo, s0
.LBB335_5:
	s_delay_alu instid0(SALU_CYCLE_1)
	s_or_b32 exec_lo, exec_lo, s2
	s_wait_kmcnt 0x0
	global_store_b32 v6, v0, s[4:5] scale_offset
.LBB335_6:
	s_endpgm
	.section	.rodata,"a",@progbits
	.p2align	6, 0x0
	.amdhsa_kernel _ZN7rocprim17ROCPRIM_400000_NS6detail17trampoline_kernelINS0_14default_configENS1_21merge_config_selectorINS0_5tupleIJffEEENS0_10empty_typeEEEZNS1_10merge_implIS3_NS0_12zip_iteratorINS5_IJN6thrust23THRUST_200600_302600_NS6detail15normal_iteratorINSC_10device_ptrIKfEEEESI_EEEEESK_NSA_INS5_IJNSE_INSF_IfEEEESM_EEEEEPS7_SP_SP_NSC_11hip_rocprim7__merge17predicate_wrapperIffNSC_7greaterIfEEEEEE10hipError_tPvRmT0_T1_T2_T3_T4_T5_mmT6_P12ihipStream_tbEUlT_E_NS1_11comp_targetILNS1_3genE0ELNS1_11target_archE4294967295ELNS1_3gpuE0ELNS1_3repE0EEENS1_30default_config_static_selectorELNS0_4arch9wavefront6targetE0EEEvS10_
		.amdhsa_group_segment_fixed_size 0
		.amdhsa_private_segment_fixed_size 0
		.amdhsa_kernarg_size 320
		.amdhsa_user_sgpr_count 2
		.amdhsa_user_sgpr_dispatch_ptr 0
		.amdhsa_user_sgpr_queue_ptr 0
		.amdhsa_user_sgpr_kernarg_segment_ptr 1
		.amdhsa_user_sgpr_dispatch_id 0
		.amdhsa_user_sgpr_kernarg_preload_length 0
		.amdhsa_user_sgpr_kernarg_preload_offset 0
		.amdhsa_user_sgpr_private_segment_size 0
		.amdhsa_wavefront_size32 1
		.amdhsa_uses_dynamic_stack 0
		.amdhsa_enable_private_segment 0
		.amdhsa_system_sgpr_workgroup_id_x 1
		.amdhsa_system_sgpr_workgroup_id_y 0
		.amdhsa_system_sgpr_workgroup_id_z 0
		.amdhsa_system_sgpr_workgroup_info 0
		.amdhsa_system_vgpr_workitem_id 0
		.amdhsa_next_free_vgpr 15
		.amdhsa_next_free_sgpr 14
		.amdhsa_named_barrier_count 0
		.amdhsa_reserve_vcc 1
		.amdhsa_float_round_mode_32 0
		.amdhsa_float_round_mode_16_64 0
		.amdhsa_float_denorm_mode_32 3
		.amdhsa_float_denorm_mode_16_64 3
		.amdhsa_fp16_overflow 0
		.amdhsa_memory_ordered 1
		.amdhsa_forward_progress 1
		.amdhsa_inst_pref_size 4
		.amdhsa_round_robin_scheduling 0
		.amdhsa_exception_fp_ieee_invalid_op 0
		.amdhsa_exception_fp_denorm_src 0
		.amdhsa_exception_fp_ieee_div_zero 0
		.amdhsa_exception_fp_ieee_overflow 0
		.amdhsa_exception_fp_ieee_underflow 0
		.amdhsa_exception_fp_ieee_inexact 0
		.amdhsa_exception_int_div_zero 0
	.end_amdhsa_kernel
	.section	.text._ZN7rocprim17ROCPRIM_400000_NS6detail17trampoline_kernelINS0_14default_configENS1_21merge_config_selectorINS0_5tupleIJffEEENS0_10empty_typeEEEZNS1_10merge_implIS3_NS0_12zip_iteratorINS5_IJN6thrust23THRUST_200600_302600_NS6detail15normal_iteratorINSC_10device_ptrIKfEEEESI_EEEEESK_NSA_INS5_IJNSE_INSF_IfEEEESM_EEEEEPS7_SP_SP_NSC_11hip_rocprim7__merge17predicate_wrapperIffNSC_7greaterIfEEEEEE10hipError_tPvRmT0_T1_T2_T3_T4_T5_mmT6_P12ihipStream_tbEUlT_E_NS1_11comp_targetILNS1_3genE0ELNS1_11target_archE4294967295ELNS1_3gpuE0ELNS1_3repE0EEENS1_30default_config_static_selectorELNS0_4arch9wavefront6targetE0EEEvS10_,"axG",@progbits,_ZN7rocprim17ROCPRIM_400000_NS6detail17trampoline_kernelINS0_14default_configENS1_21merge_config_selectorINS0_5tupleIJffEEENS0_10empty_typeEEEZNS1_10merge_implIS3_NS0_12zip_iteratorINS5_IJN6thrust23THRUST_200600_302600_NS6detail15normal_iteratorINSC_10device_ptrIKfEEEESI_EEEEESK_NSA_INS5_IJNSE_INSF_IfEEEESM_EEEEEPS7_SP_SP_NSC_11hip_rocprim7__merge17predicate_wrapperIffNSC_7greaterIfEEEEEE10hipError_tPvRmT0_T1_T2_T3_T4_T5_mmT6_P12ihipStream_tbEUlT_E_NS1_11comp_targetILNS1_3genE0ELNS1_11target_archE4294967295ELNS1_3gpuE0ELNS1_3repE0EEENS1_30default_config_static_selectorELNS0_4arch9wavefront6targetE0EEEvS10_,comdat
.Lfunc_end335:
	.size	_ZN7rocprim17ROCPRIM_400000_NS6detail17trampoline_kernelINS0_14default_configENS1_21merge_config_selectorINS0_5tupleIJffEEENS0_10empty_typeEEEZNS1_10merge_implIS3_NS0_12zip_iteratorINS5_IJN6thrust23THRUST_200600_302600_NS6detail15normal_iteratorINSC_10device_ptrIKfEEEESI_EEEEESK_NSA_INS5_IJNSE_INSF_IfEEEESM_EEEEEPS7_SP_SP_NSC_11hip_rocprim7__merge17predicate_wrapperIffNSC_7greaterIfEEEEEE10hipError_tPvRmT0_T1_T2_T3_T4_T5_mmT6_P12ihipStream_tbEUlT_E_NS1_11comp_targetILNS1_3genE0ELNS1_11target_archE4294967295ELNS1_3gpuE0ELNS1_3repE0EEENS1_30default_config_static_selectorELNS0_4arch9wavefront6targetE0EEEvS10_, .Lfunc_end335-_ZN7rocprim17ROCPRIM_400000_NS6detail17trampoline_kernelINS0_14default_configENS1_21merge_config_selectorINS0_5tupleIJffEEENS0_10empty_typeEEEZNS1_10merge_implIS3_NS0_12zip_iteratorINS5_IJN6thrust23THRUST_200600_302600_NS6detail15normal_iteratorINSC_10device_ptrIKfEEEESI_EEEEESK_NSA_INS5_IJNSE_INSF_IfEEEESM_EEEEEPS7_SP_SP_NSC_11hip_rocprim7__merge17predicate_wrapperIffNSC_7greaterIfEEEEEE10hipError_tPvRmT0_T1_T2_T3_T4_T5_mmT6_P12ihipStream_tbEUlT_E_NS1_11comp_targetILNS1_3genE0ELNS1_11target_archE4294967295ELNS1_3gpuE0ELNS1_3repE0EEENS1_30default_config_static_selectorELNS0_4arch9wavefront6targetE0EEEvS10_
                                        ; -- End function
	.set _ZN7rocprim17ROCPRIM_400000_NS6detail17trampoline_kernelINS0_14default_configENS1_21merge_config_selectorINS0_5tupleIJffEEENS0_10empty_typeEEEZNS1_10merge_implIS3_NS0_12zip_iteratorINS5_IJN6thrust23THRUST_200600_302600_NS6detail15normal_iteratorINSC_10device_ptrIKfEEEESI_EEEEESK_NSA_INS5_IJNSE_INSF_IfEEEESM_EEEEEPS7_SP_SP_NSC_11hip_rocprim7__merge17predicate_wrapperIffNSC_7greaterIfEEEEEE10hipError_tPvRmT0_T1_T2_T3_T4_T5_mmT6_P12ihipStream_tbEUlT_E_NS1_11comp_targetILNS1_3genE0ELNS1_11target_archE4294967295ELNS1_3gpuE0ELNS1_3repE0EEENS1_30default_config_static_selectorELNS0_4arch9wavefront6targetE0EEEvS10_.num_vgpr, 15
	.set _ZN7rocprim17ROCPRIM_400000_NS6detail17trampoline_kernelINS0_14default_configENS1_21merge_config_selectorINS0_5tupleIJffEEENS0_10empty_typeEEEZNS1_10merge_implIS3_NS0_12zip_iteratorINS5_IJN6thrust23THRUST_200600_302600_NS6detail15normal_iteratorINSC_10device_ptrIKfEEEESI_EEEEESK_NSA_INS5_IJNSE_INSF_IfEEEESM_EEEEEPS7_SP_SP_NSC_11hip_rocprim7__merge17predicate_wrapperIffNSC_7greaterIfEEEEEE10hipError_tPvRmT0_T1_T2_T3_T4_T5_mmT6_P12ihipStream_tbEUlT_E_NS1_11comp_targetILNS1_3genE0ELNS1_11target_archE4294967295ELNS1_3gpuE0ELNS1_3repE0EEENS1_30default_config_static_selectorELNS0_4arch9wavefront6targetE0EEEvS10_.num_agpr, 0
	.set _ZN7rocprim17ROCPRIM_400000_NS6detail17trampoline_kernelINS0_14default_configENS1_21merge_config_selectorINS0_5tupleIJffEEENS0_10empty_typeEEEZNS1_10merge_implIS3_NS0_12zip_iteratorINS5_IJN6thrust23THRUST_200600_302600_NS6detail15normal_iteratorINSC_10device_ptrIKfEEEESI_EEEEESK_NSA_INS5_IJNSE_INSF_IfEEEESM_EEEEEPS7_SP_SP_NSC_11hip_rocprim7__merge17predicate_wrapperIffNSC_7greaterIfEEEEEE10hipError_tPvRmT0_T1_T2_T3_T4_T5_mmT6_P12ihipStream_tbEUlT_E_NS1_11comp_targetILNS1_3genE0ELNS1_11target_archE4294967295ELNS1_3gpuE0ELNS1_3repE0EEENS1_30default_config_static_selectorELNS0_4arch9wavefront6targetE0EEEvS10_.numbered_sgpr, 14
	.set _ZN7rocprim17ROCPRIM_400000_NS6detail17trampoline_kernelINS0_14default_configENS1_21merge_config_selectorINS0_5tupleIJffEEENS0_10empty_typeEEEZNS1_10merge_implIS3_NS0_12zip_iteratorINS5_IJN6thrust23THRUST_200600_302600_NS6detail15normal_iteratorINSC_10device_ptrIKfEEEESI_EEEEESK_NSA_INS5_IJNSE_INSF_IfEEEESM_EEEEEPS7_SP_SP_NSC_11hip_rocprim7__merge17predicate_wrapperIffNSC_7greaterIfEEEEEE10hipError_tPvRmT0_T1_T2_T3_T4_T5_mmT6_P12ihipStream_tbEUlT_E_NS1_11comp_targetILNS1_3genE0ELNS1_11target_archE4294967295ELNS1_3gpuE0ELNS1_3repE0EEENS1_30default_config_static_selectorELNS0_4arch9wavefront6targetE0EEEvS10_.num_named_barrier, 0
	.set _ZN7rocprim17ROCPRIM_400000_NS6detail17trampoline_kernelINS0_14default_configENS1_21merge_config_selectorINS0_5tupleIJffEEENS0_10empty_typeEEEZNS1_10merge_implIS3_NS0_12zip_iteratorINS5_IJN6thrust23THRUST_200600_302600_NS6detail15normal_iteratorINSC_10device_ptrIKfEEEESI_EEEEESK_NSA_INS5_IJNSE_INSF_IfEEEESM_EEEEEPS7_SP_SP_NSC_11hip_rocprim7__merge17predicate_wrapperIffNSC_7greaterIfEEEEEE10hipError_tPvRmT0_T1_T2_T3_T4_T5_mmT6_P12ihipStream_tbEUlT_E_NS1_11comp_targetILNS1_3genE0ELNS1_11target_archE4294967295ELNS1_3gpuE0ELNS1_3repE0EEENS1_30default_config_static_selectorELNS0_4arch9wavefront6targetE0EEEvS10_.private_seg_size, 0
	.set _ZN7rocprim17ROCPRIM_400000_NS6detail17trampoline_kernelINS0_14default_configENS1_21merge_config_selectorINS0_5tupleIJffEEENS0_10empty_typeEEEZNS1_10merge_implIS3_NS0_12zip_iteratorINS5_IJN6thrust23THRUST_200600_302600_NS6detail15normal_iteratorINSC_10device_ptrIKfEEEESI_EEEEESK_NSA_INS5_IJNSE_INSF_IfEEEESM_EEEEEPS7_SP_SP_NSC_11hip_rocprim7__merge17predicate_wrapperIffNSC_7greaterIfEEEEEE10hipError_tPvRmT0_T1_T2_T3_T4_T5_mmT6_P12ihipStream_tbEUlT_E_NS1_11comp_targetILNS1_3genE0ELNS1_11target_archE4294967295ELNS1_3gpuE0ELNS1_3repE0EEENS1_30default_config_static_selectorELNS0_4arch9wavefront6targetE0EEEvS10_.uses_vcc, 1
	.set _ZN7rocprim17ROCPRIM_400000_NS6detail17trampoline_kernelINS0_14default_configENS1_21merge_config_selectorINS0_5tupleIJffEEENS0_10empty_typeEEEZNS1_10merge_implIS3_NS0_12zip_iteratorINS5_IJN6thrust23THRUST_200600_302600_NS6detail15normal_iteratorINSC_10device_ptrIKfEEEESI_EEEEESK_NSA_INS5_IJNSE_INSF_IfEEEESM_EEEEEPS7_SP_SP_NSC_11hip_rocprim7__merge17predicate_wrapperIffNSC_7greaterIfEEEEEE10hipError_tPvRmT0_T1_T2_T3_T4_T5_mmT6_P12ihipStream_tbEUlT_E_NS1_11comp_targetILNS1_3genE0ELNS1_11target_archE4294967295ELNS1_3gpuE0ELNS1_3repE0EEENS1_30default_config_static_selectorELNS0_4arch9wavefront6targetE0EEEvS10_.uses_flat_scratch, 0
	.set _ZN7rocprim17ROCPRIM_400000_NS6detail17trampoline_kernelINS0_14default_configENS1_21merge_config_selectorINS0_5tupleIJffEEENS0_10empty_typeEEEZNS1_10merge_implIS3_NS0_12zip_iteratorINS5_IJN6thrust23THRUST_200600_302600_NS6detail15normal_iteratorINSC_10device_ptrIKfEEEESI_EEEEESK_NSA_INS5_IJNSE_INSF_IfEEEESM_EEEEEPS7_SP_SP_NSC_11hip_rocprim7__merge17predicate_wrapperIffNSC_7greaterIfEEEEEE10hipError_tPvRmT0_T1_T2_T3_T4_T5_mmT6_P12ihipStream_tbEUlT_E_NS1_11comp_targetILNS1_3genE0ELNS1_11target_archE4294967295ELNS1_3gpuE0ELNS1_3repE0EEENS1_30default_config_static_selectorELNS0_4arch9wavefront6targetE0EEEvS10_.has_dyn_sized_stack, 0
	.set _ZN7rocprim17ROCPRIM_400000_NS6detail17trampoline_kernelINS0_14default_configENS1_21merge_config_selectorINS0_5tupleIJffEEENS0_10empty_typeEEEZNS1_10merge_implIS3_NS0_12zip_iteratorINS5_IJN6thrust23THRUST_200600_302600_NS6detail15normal_iteratorINSC_10device_ptrIKfEEEESI_EEEEESK_NSA_INS5_IJNSE_INSF_IfEEEESM_EEEEEPS7_SP_SP_NSC_11hip_rocprim7__merge17predicate_wrapperIffNSC_7greaterIfEEEEEE10hipError_tPvRmT0_T1_T2_T3_T4_T5_mmT6_P12ihipStream_tbEUlT_E_NS1_11comp_targetILNS1_3genE0ELNS1_11target_archE4294967295ELNS1_3gpuE0ELNS1_3repE0EEENS1_30default_config_static_selectorELNS0_4arch9wavefront6targetE0EEEvS10_.has_recursion, 0
	.set _ZN7rocprim17ROCPRIM_400000_NS6detail17trampoline_kernelINS0_14default_configENS1_21merge_config_selectorINS0_5tupleIJffEEENS0_10empty_typeEEEZNS1_10merge_implIS3_NS0_12zip_iteratorINS5_IJN6thrust23THRUST_200600_302600_NS6detail15normal_iteratorINSC_10device_ptrIKfEEEESI_EEEEESK_NSA_INS5_IJNSE_INSF_IfEEEESM_EEEEEPS7_SP_SP_NSC_11hip_rocprim7__merge17predicate_wrapperIffNSC_7greaterIfEEEEEE10hipError_tPvRmT0_T1_T2_T3_T4_T5_mmT6_P12ihipStream_tbEUlT_E_NS1_11comp_targetILNS1_3genE0ELNS1_11target_archE4294967295ELNS1_3gpuE0ELNS1_3repE0EEENS1_30default_config_static_selectorELNS0_4arch9wavefront6targetE0EEEvS10_.has_indirect_call, 0
	.section	.AMDGPU.csdata,"",@progbits
; Kernel info:
; codeLenInByte = 484
; TotalNumSgprs: 16
; NumVgprs: 15
; ScratchSize: 0
; MemoryBound: 0
; FloatMode: 240
; IeeeMode: 1
; LDSByteSize: 0 bytes/workgroup (compile time only)
; SGPRBlocks: 0
; VGPRBlocks: 0
; NumSGPRsForWavesPerEU: 16
; NumVGPRsForWavesPerEU: 15
; NamedBarCnt: 0
; Occupancy: 16
; WaveLimiterHint : 0
; COMPUTE_PGM_RSRC2:SCRATCH_EN: 0
; COMPUTE_PGM_RSRC2:USER_SGPR: 2
; COMPUTE_PGM_RSRC2:TRAP_HANDLER: 0
; COMPUTE_PGM_RSRC2:TGID_X_EN: 1
; COMPUTE_PGM_RSRC2:TGID_Y_EN: 0
; COMPUTE_PGM_RSRC2:TGID_Z_EN: 0
; COMPUTE_PGM_RSRC2:TIDIG_COMP_CNT: 0
	.section	.text._ZN7rocprim17ROCPRIM_400000_NS6detail17trampoline_kernelINS0_14default_configENS1_21merge_config_selectorINS0_5tupleIJffEEENS0_10empty_typeEEEZNS1_10merge_implIS3_NS0_12zip_iteratorINS5_IJN6thrust23THRUST_200600_302600_NS6detail15normal_iteratorINSC_10device_ptrIKfEEEESI_EEEEESK_NSA_INS5_IJNSE_INSF_IfEEEESM_EEEEEPS7_SP_SP_NSC_11hip_rocprim7__merge17predicate_wrapperIffNSC_7greaterIfEEEEEE10hipError_tPvRmT0_T1_T2_T3_T4_T5_mmT6_P12ihipStream_tbEUlT_E_NS1_11comp_targetILNS1_3genE5ELNS1_11target_archE942ELNS1_3gpuE9ELNS1_3repE0EEENS1_30default_config_static_selectorELNS0_4arch9wavefront6targetE0EEEvS10_,"axG",@progbits,_ZN7rocprim17ROCPRIM_400000_NS6detail17trampoline_kernelINS0_14default_configENS1_21merge_config_selectorINS0_5tupleIJffEEENS0_10empty_typeEEEZNS1_10merge_implIS3_NS0_12zip_iteratorINS5_IJN6thrust23THRUST_200600_302600_NS6detail15normal_iteratorINSC_10device_ptrIKfEEEESI_EEEEESK_NSA_INS5_IJNSE_INSF_IfEEEESM_EEEEEPS7_SP_SP_NSC_11hip_rocprim7__merge17predicate_wrapperIffNSC_7greaterIfEEEEEE10hipError_tPvRmT0_T1_T2_T3_T4_T5_mmT6_P12ihipStream_tbEUlT_E_NS1_11comp_targetILNS1_3genE5ELNS1_11target_archE942ELNS1_3gpuE9ELNS1_3repE0EEENS1_30default_config_static_selectorELNS0_4arch9wavefront6targetE0EEEvS10_,comdat
	.protected	_ZN7rocprim17ROCPRIM_400000_NS6detail17trampoline_kernelINS0_14default_configENS1_21merge_config_selectorINS0_5tupleIJffEEENS0_10empty_typeEEEZNS1_10merge_implIS3_NS0_12zip_iteratorINS5_IJN6thrust23THRUST_200600_302600_NS6detail15normal_iteratorINSC_10device_ptrIKfEEEESI_EEEEESK_NSA_INS5_IJNSE_INSF_IfEEEESM_EEEEEPS7_SP_SP_NSC_11hip_rocprim7__merge17predicate_wrapperIffNSC_7greaterIfEEEEEE10hipError_tPvRmT0_T1_T2_T3_T4_T5_mmT6_P12ihipStream_tbEUlT_E_NS1_11comp_targetILNS1_3genE5ELNS1_11target_archE942ELNS1_3gpuE9ELNS1_3repE0EEENS1_30default_config_static_selectorELNS0_4arch9wavefront6targetE0EEEvS10_ ; -- Begin function _ZN7rocprim17ROCPRIM_400000_NS6detail17trampoline_kernelINS0_14default_configENS1_21merge_config_selectorINS0_5tupleIJffEEENS0_10empty_typeEEEZNS1_10merge_implIS3_NS0_12zip_iteratorINS5_IJN6thrust23THRUST_200600_302600_NS6detail15normal_iteratorINSC_10device_ptrIKfEEEESI_EEEEESK_NSA_INS5_IJNSE_INSF_IfEEEESM_EEEEEPS7_SP_SP_NSC_11hip_rocprim7__merge17predicate_wrapperIffNSC_7greaterIfEEEEEE10hipError_tPvRmT0_T1_T2_T3_T4_T5_mmT6_P12ihipStream_tbEUlT_E_NS1_11comp_targetILNS1_3genE5ELNS1_11target_archE942ELNS1_3gpuE9ELNS1_3repE0EEENS1_30default_config_static_selectorELNS0_4arch9wavefront6targetE0EEEvS10_
	.globl	_ZN7rocprim17ROCPRIM_400000_NS6detail17trampoline_kernelINS0_14default_configENS1_21merge_config_selectorINS0_5tupleIJffEEENS0_10empty_typeEEEZNS1_10merge_implIS3_NS0_12zip_iteratorINS5_IJN6thrust23THRUST_200600_302600_NS6detail15normal_iteratorINSC_10device_ptrIKfEEEESI_EEEEESK_NSA_INS5_IJNSE_INSF_IfEEEESM_EEEEEPS7_SP_SP_NSC_11hip_rocprim7__merge17predicate_wrapperIffNSC_7greaterIfEEEEEE10hipError_tPvRmT0_T1_T2_T3_T4_T5_mmT6_P12ihipStream_tbEUlT_E_NS1_11comp_targetILNS1_3genE5ELNS1_11target_archE942ELNS1_3gpuE9ELNS1_3repE0EEENS1_30default_config_static_selectorELNS0_4arch9wavefront6targetE0EEEvS10_
	.p2align	8
	.type	_ZN7rocprim17ROCPRIM_400000_NS6detail17trampoline_kernelINS0_14default_configENS1_21merge_config_selectorINS0_5tupleIJffEEENS0_10empty_typeEEEZNS1_10merge_implIS3_NS0_12zip_iteratorINS5_IJN6thrust23THRUST_200600_302600_NS6detail15normal_iteratorINSC_10device_ptrIKfEEEESI_EEEEESK_NSA_INS5_IJNSE_INSF_IfEEEESM_EEEEEPS7_SP_SP_NSC_11hip_rocprim7__merge17predicate_wrapperIffNSC_7greaterIfEEEEEE10hipError_tPvRmT0_T1_T2_T3_T4_T5_mmT6_P12ihipStream_tbEUlT_E_NS1_11comp_targetILNS1_3genE5ELNS1_11target_archE942ELNS1_3gpuE9ELNS1_3repE0EEENS1_30default_config_static_selectorELNS0_4arch9wavefront6targetE0EEEvS10_,@function
_ZN7rocprim17ROCPRIM_400000_NS6detail17trampoline_kernelINS0_14default_configENS1_21merge_config_selectorINS0_5tupleIJffEEENS0_10empty_typeEEEZNS1_10merge_implIS3_NS0_12zip_iteratorINS5_IJN6thrust23THRUST_200600_302600_NS6detail15normal_iteratorINSC_10device_ptrIKfEEEESI_EEEEESK_NSA_INS5_IJNSE_INSF_IfEEEESM_EEEEEPS7_SP_SP_NSC_11hip_rocprim7__merge17predicate_wrapperIffNSC_7greaterIfEEEEEE10hipError_tPvRmT0_T1_T2_T3_T4_T5_mmT6_P12ihipStream_tbEUlT_E_NS1_11comp_targetILNS1_3genE5ELNS1_11target_archE942ELNS1_3gpuE9ELNS1_3repE0EEENS1_30default_config_static_selectorELNS0_4arch9wavefront6targetE0EEEvS10_: ; @_ZN7rocprim17ROCPRIM_400000_NS6detail17trampoline_kernelINS0_14default_configENS1_21merge_config_selectorINS0_5tupleIJffEEENS0_10empty_typeEEEZNS1_10merge_implIS3_NS0_12zip_iteratorINS5_IJN6thrust23THRUST_200600_302600_NS6detail15normal_iteratorINSC_10device_ptrIKfEEEESI_EEEEESK_NSA_INS5_IJNSE_INSF_IfEEEESM_EEEEEPS7_SP_SP_NSC_11hip_rocprim7__merge17predicate_wrapperIffNSC_7greaterIfEEEEEE10hipError_tPvRmT0_T1_T2_T3_T4_T5_mmT6_P12ihipStream_tbEUlT_E_NS1_11comp_targetILNS1_3genE5ELNS1_11target_archE942ELNS1_3gpuE9ELNS1_3repE0EEENS1_30default_config_static_selectorELNS0_4arch9wavefront6targetE0EEEvS10_
; %bb.0:
	.section	.rodata,"a",@progbits
	.p2align	6, 0x0
	.amdhsa_kernel _ZN7rocprim17ROCPRIM_400000_NS6detail17trampoline_kernelINS0_14default_configENS1_21merge_config_selectorINS0_5tupleIJffEEENS0_10empty_typeEEEZNS1_10merge_implIS3_NS0_12zip_iteratorINS5_IJN6thrust23THRUST_200600_302600_NS6detail15normal_iteratorINSC_10device_ptrIKfEEEESI_EEEEESK_NSA_INS5_IJNSE_INSF_IfEEEESM_EEEEEPS7_SP_SP_NSC_11hip_rocprim7__merge17predicate_wrapperIffNSC_7greaterIfEEEEEE10hipError_tPvRmT0_T1_T2_T3_T4_T5_mmT6_P12ihipStream_tbEUlT_E_NS1_11comp_targetILNS1_3genE5ELNS1_11target_archE942ELNS1_3gpuE9ELNS1_3repE0EEENS1_30default_config_static_selectorELNS0_4arch9wavefront6targetE0EEEvS10_
		.amdhsa_group_segment_fixed_size 0
		.amdhsa_private_segment_fixed_size 0
		.amdhsa_kernarg_size 64
		.amdhsa_user_sgpr_count 2
		.amdhsa_user_sgpr_dispatch_ptr 0
		.amdhsa_user_sgpr_queue_ptr 0
		.amdhsa_user_sgpr_kernarg_segment_ptr 1
		.amdhsa_user_sgpr_dispatch_id 0
		.amdhsa_user_sgpr_kernarg_preload_length 0
		.amdhsa_user_sgpr_kernarg_preload_offset 0
		.amdhsa_user_sgpr_private_segment_size 0
		.amdhsa_wavefront_size32 1
		.amdhsa_uses_dynamic_stack 0
		.amdhsa_enable_private_segment 0
		.amdhsa_system_sgpr_workgroup_id_x 1
		.amdhsa_system_sgpr_workgroup_id_y 0
		.amdhsa_system_sgpr_workgroup_id_z 0
		.amdhsa_system_sgpr_workgroup_info 0
		.amdhsa_system_vgpr_workitem_id 0
		.amdhsa_next_free_vgpr 1
		.amdhsa_next_free_sgpr 1
		.amdhsa_named_barrier_count 0
		.amdhsa_reserve_vcc 0
		.amdhsa_float_round_mode_32 0
		.amdhsa_float_round_mode_16_64 0
		.amdhsa_float_denorm_mode_32 3
		.amdhsa_float_denorm_mode_16_64 3
		.amdhsa_fp16_overflow 0
		.amdhsa_memory_ordered 1
		.amdhsa_forward_progress 1
		.amdhsa_inst_pref_size 0
		.amdhsa_round_robin_scheduling 0
		.amdhsa_exception_fp_ieee_invalid_op 0
		.amdhsa_exception_fp_denorm_src 0
		.amdhsa_exception_fp_ieee_div_zero 0
		.amdhsa_exception_fp_ieee_overflow 0
		.amdhsa_exception_fp_ieee_underflow 0
		.amdhsa_exception_fp_ieee_inexact 0
		.amdhsa_exception_int_div_zero 0
	.end_amdhsa_kernel
	.section	.text._ZN7rocprim17ROCPRIM_400000_NS6detail17trampoline_kernelINS0_14default_configENS1_21merge_config_selectorINS0_5tupleIJffEEENS0_10empty_typeEEEZNS1_10merge_implIS3_NS0_12zip_iteratorINS5_IJN6thrust23THRUST_200600_302600_NS6detail15normal_iteratorINSC_10device_ptrIKfEEEESI_EEEEESK_NSA_INS5_IJNSE_INSF_IfEEEESM_EEEEEPS7_SP_SP_NSC_11hip_rocprim7__merge17predicate_wrapperIffNSC_7greaterIfEEEEEE10hipError_tPvRmT0_T1_T2_T3_T4_T5_mmT6_P12ihipStream_tbEUlT_E_NS1_11comp_targetILNS1_3genE5ELNS1_11target_archE942ELNS1_3gpuE9ELNS1_3repE0EEENS1_30default_config_static_selectorELNS0_4arch9wavefront6targetE0EEEvS10_,"axG",@progbits,_ZN7rocprim17ROCPRIM_400000_NS6detail17trampoline_kernelINS0_14default_configENS1_21merge_config_selectorINS0_5tupleIJffEEENS0_10empty_typeEEEZNS1_10merge_implIS3_NS0_12zip_iteratorINS5_IJN6thrust23THRUST_200600_302600_NS6detail15normal_iteratorINSC_10device_ptrIKfEEEESI_EEEEESK_NSA_INS5_IJNSE_INSF_IfEEEESM_EEEEEPS7_SP_SP_NSC_11hip_rocprim7__merge17predicate_wrapperIffNSC_7greaterIfEEEEEE10hipError_tPvRmT0_T1_T2_T3_T4_T5_mmT6_P12ihipStream_tbEUlT_E_NS1_11comp_targetILNS1_3genE5ELNS1_11target_archE942ELNS1_3gpuE9ELNS1_3repE0EEENS1_30default_config_static_selectorELNS0_4arch9wavefront6targetE0EEEvS10_,comdat
.Lfunc_end336:
	.size	_ZN7rocprim17ROCPRIM_400000_NS6detail17trampoline_kernelINS0_14default_configENS1_21merge_config_selectorINS0_5tupleIJffEEENS0_10empty_typeEEEZNS1_10merge_implIS3_NS0_12zip_iteratorINS5_IJN6thrust23THRUST_200600_302600_NS6detail15normal_iteratorINSC_10device_ptrIKfEEEESI_EEEEESK_NSA_INS5_IJNSE_INSF_IfEEEESM_EEEEEPS7_SP_SP_NSC_11hip_rocprim7__merge17predicate_wrapperIffNSC_7greaterIfEEEEEE10hipError_tPvRmT0_T1_T2_T3_T4_T5_mmT6_P12ihipStream_tbEUlT_E_NS1_11comp_targetILNS1_3genE5ELNS1_11target_archE942ELNS1_3gpuE9ELNS1_3repE0EEENS1_30default_config_static_selectorELNS0_4arch9wavefront6targetE0EEEvS10_, .Lfunc_end336-_ZN7rocprim17ROCPRIM_400000_NS6detail17trampoline_kernelINS0_14default_configENS1_21merge_config_selectorINS0_5tupleIJffEEENS0_10empty_typeEEEZNS1_10merge_implIS3_NS0_12zip_iteratorINS5_IJN6thrust23THRUST_200600_302600_NS6detail15normal_iteratorINSC_10device_ptrIKfEEEESI_EEEEESK_NSA_INS5_IJNSE_INSF_IfEEEESM_EEEEEPS7_SP_SP_NSC_11hip_rocprim7__merge17predicate_wrapperIffNSC_7greaterIfEEEEEE10hipError_tPvRmT0_T1_T2_T3_T4_T5_mmT6_P12ihipStream_tbEUlT_E_NS1_11comp_targetILNS1_3genE5ELNS1_11target_archE942ELNS1_3gpuE9ELNS1_3repE0EEENS1_30default_config_static_selectorELNS0_4arch9wavefront6targetE0EEEvS10_
                                        ; -- End function
	.set _ZN7rocprim17ROCPRIM_400000_NS6detail17trampoline_kernelINS0_14default_configENS1_21merge_config_selectorINS0_5tupleIJffEEENS0_10empty_typeEEEZNS1_10merge_implIS3_NS0_12zip_iteratorINS5_IJN6thrust23THRUST_200600_302600_NS6detail15normal_iteratorINSC_10device_ptrIKfEEEESI_EEEEESK_NSA_INS5_IJNSE_INSF_IfEEEESM_EEEEEPS7_SP_SP_NSC_11hip_rocprim7__merge17predicate_wrapperIffNSC_7greaterIfEEEEEE10hipError_tPvRmT0_T1_T2_T3_T4_T5_mmT6_P12ihipStream_tbEUlT_E_NS1_11comp_targetILNS1_3genE5ELNS1_11target_archE942ELNS1_3gpuE9ELNS1_3repE0EEENS1_30default_config_static_selectorELNS0_4arch9wavefront6targetE0EEEvS10_.num_vgpr, 0
	.set _ZN7rocprim17ROCPRIM_400000_NS6detail17trampoline_kernelINS0_14default_configENS1_21merge_config_selectorINS0_5tupleIJffEEENS0_10empty_typeEEEZNS1_10merge_implIS3_NS0_12zip_iteratorINS5_IJN6thrust23THRUST_200600_302600_NS6detail15normal_iteratorINSC_10device_ptrIKfEEEESI_EEEEESK_NSA_INS5_IJNSE_INSF_IfEEEESM_EEEEEPS7_SP_SP_NSC_11hip_rocprim7__merge17predicate_wrapperIffNSC_7greaterIfEEEEEE10hipError_tPvRmT0_T1_T2_T3_T4_T5_mmT6_P12ihipStream_tbEUlT_E_NS1_11comp_targetILNS1_3genE5ELNS1_11target_archE942ELNS1_3gpuE9ELNS1_3repE0EEENS1_30default_config_static_selectorELNS0_4arch9wavefront6targetE0EEEvS10_.num_agpr, 0
	.set _ZN7rocprim17ROCPRIM_400000_NS6detail17trampoline_kernelINS0_14default_configENS1_21merge_config_selectorINS0_5tupleIJffEEENS0_10empty_typeEEEZNS1_10merge_implIS3_NS0_12zip_iteratorINS5_IJN6thrust23THRUST_200600_302600_NS6detail15normal_iteratorINSC_10device_ptrIKfEEEESI_EEEEESK_NSA_INS5_IJNSE_INSF_IfEEEESM_EEEEEPS7_SP_SP_NSC_11hip_rocprim7__merge17predicate_wrapperIffNSC_7greaterIfEEEEEE10hipError_tPvRmT0_T1_T2_T3_T4_T5_mmT6_P12ihipStream_tbEUlT_E_NS1_11comp_targetILNS1_3genE5ELNS1_11target_archE942ELNS1_3gpuE9ELNS1_3repE0EEENS1_30default_config_static_selectorELNS0_4arch9wavefront6targetE0EEEvS10_.numbered_sgpr, 0
	.set _ZN7rocprim17ROCPRIM_400000_NS6detail17trampoline_kernelINS0_14default_configENS1_21merge_config_selectorINS0_5tupleIJffEEENS0_10empty_typeEEEZNS1_10merge_implIS3_NS0_12zip_iteratorINS5_IJN6thrust23THRUST_200600_302600_NS6detail15normal_iteratorINSC_10device_ptrIKfEEEESI_EEEEESK_NSA_INS5_IJNSE_INSF_IfEEEESM_EEEEEPS7_SP_SP_NSC_11hip_rocprim7__merge17predicate_wrapperIffNSC_7greaterIfEEEEEE10hipError_tPvRmT0_T1_T2_T3_T4_T5_mmT6_P12ihipStream_tbEUlT_E_NS1_11comp_targetILNS1_3genE5ELNS1_11target_archE942ELNS1_3gpuE9ELNS1_3repE0EEENS1_30default_config_static_selectorELNS0_4arch9wavefront6targetE0EEEvS10_.num_named_barrier, 0
	.set _ZN7rocprim17ROCPRIM_400000_NS6detail17trampoline_kernelINS0_14default_configENS1_21merge_config_selectorINS0_5tupleIJffEEENS0_10empty_typeEEEZNS1_10merge_implIS3_NS0_12zip_iteratorINS5_IJN6thrust23THRUST_200600_302600_NS6detail15normal_iteratorINSC_10device_ptrIKfEEEESI_EEEEESK_NSA_INS5_IJNSE_INSF_IfEEEESM_EEEEEPS7_SP_SP_NSC_11hip_rocprim7__merge17predicate_wrapperIffNSC_7greaterIfEEEEEE10hipError_tPvRmT0_T1_T2_T3_T4_T5_mmT6_P12ihipStream_tbEUlT_E_NS1_11comp_targetILNS1_3genE5ELNS1_11target_archE942ELNS1_3gpuE9ELNS1_3repE0EEENS1_30default_config_static_selectorELNS0_4arch9wavefront6targetE0EEEvS10_.private_seg_size, 0
	.set _ZN7rocprim17ROCPRIM_400000_NS6detail17trampoline_kernelINS0_14default_configENS1_21merge_config_selectorINS0_5tupleIJffEEENS0_10empty_typeEEEZNS1_10merge_implIS3_NS0_12zip_iteratorINS5_IJN6thrust23THRUST_200600_302600_NS6detail15normal_iteratorINSC_10device_ptrIKfEEEESI_EEEEESK_NSA_INS5_IJNSE_INSF_IfEEEESM_EEEEEPS7_SP_SP_NSC_11hip_rocprim7__merge17predicate_wrapperIffNSC_7greaterIfEEEEEE10hipError_tPvRmT0_T1_T2_T3_T4_T5_mmT6_P12ihipStream_tbEUlT_E_NS1_11comp_targetILNS1_3genE5ELNS1_11target_archE942ELNS1_3gpuE9ELNS1_3repE0EEENS1_30default_config_static_selectorELNS0_4arch9wavefront6targetE0EEEvS10_.uses_vcc, 0
	.set _ZN7rocprim17ROCPRIM_400000_NS6detail17trampoline_kernelINS0_14default_configENS1_21merge_config_selectorINS0_5tupleIJffEEENS0_10empty_typeEEEZNS1_10merge_implIS3_NS0_12zip_iteratorINS5_IJN6thrust23THRUST_200600_302600_NS6detail15normal_iteratorINSC_10device_ptrIKfEEEESI_EEEEESK_NSA_INS5_IJNSE_INSF_IfEEEESM_EEEEEPS7_SP_SP_NSC_11hip_rocprim7__merge17predicate_wrapperIffNSC_7greaterIfEEEEEE10hipError_tPvRmT0_T1_T2_T3_T4_T5_mmT6_P12ihipStream_tbEUlT_E_NS1_11comp_targetILNS1_3genE5ELNS1_11target_archE942ELNS1_3gpuE9ELNS1_3repE0EEENS1_30default_config_static_selectorELNS0_4arch9wavefront6targetE0EEEvS10_.uses_flat_scratch, 0
	.set _ZN7rocprim17ROCPRIM_400000_NS6detail17trampoline_kernelINS0_14default_configENS1_21merge_config_selectorINS0_5tupleIJffEEENS0_10empty_typeEEEZNS1_10merge_implIS3_NS0_12zip_iteratorINS5_IJN6thrust23THRUST_200600_302600_NS6detail15normal_iteratorINSC_10device_ptrIKfEEEESI_EEEEESK_NSA_INS5_IJNSE_INSF_IfEEEESM_EEEEEPS7_SP_SP_NSC_11hip_rocprim7__merge17predicate_wrapperIffNSC_7greaterIfEEEEEE10hipError_tPvRmT0_T1_T2_T3_T4_T5_mmT6_P12ihipStream_tbEUlT_E_NS1_11comp_targetILNS1_3genE5ELNS1_11target_archE942ELNS1_3gpuE9ELNS1_3repE0EEENS1_30default_config_static_selectorELNS0_4arch9wavefront6targetE0EEEvS10_.has_dyn_sized_stack, 0
	.set _ZN7rocprim17ROCPRIM_400000_NS6detail17trampoline_kernelINS0_14default_configENS1_21merge_config_selectorINS0_5tupleIJffEEENS0_10empty_typeEEEZNS1_10merge_implIS3_NS0_12zip_iteratorINS5_IJN6thrust23THRUST_200600_302600_NS6detail15normal_iteratorINSC_10device_ptrIKfEEEESI_EEEEESK_NSA_INS5_IJNSE_INSF_IfEEEESM_EEEEEPS7_SP_SP_NSC_11hip_rocprim7__merge17predicate_wrapperIffNSC_7greaterIfEEEEEE10hipError_tPvRmT0_T1_T2_T3_T4_T5_mmT6_P12ihipStream_tbEUlT_E_NS1_11comp_targetILNS1_3genE5ELNS1_11target_archE942ELNS1_3gpuE9ELNS1_3repE0EEENS1_30default_config_static_selectorELNS0_4arch9wavefront6targetE0EEEvS10_.has_recursion, 0
	.set _ZN7rocprim17ROCPRIM_400000_NS6detail17trampoline_kernelINS0_14default_configENS1_21merge_config_selectorINS0_5tupleIJffEEENS0_10empty_typeEEEZNS1_10merge_implIS3_NS0_12zip_iteratorINS5_IJN6thrust23THRUST_200600_302600_NS6detail15normal_iteratorINSC_10device_ptrIKfEEEESI_EEEEESK_NSA_INS5_IJNSE_INSF_IfEEEESM_EEEEEPS7_SP_SP_NSC_11hip_rocprim7__merge17predicate_wrapperIffNSC_7greaterIfEEEEEE10hipError_tPvRmT0_T1_T2_T3_T4_T5_mmT6_P12ihipStream_tbEUlT_E_NS1_11comp_targetILNS1_3genE5ELNS1_11target_archE942ELNS1_3gpuE9ELNS1_3repE0EEENS1_30default_config_static_selectorELNS0_4arch9wavefront6targetE0EEEvS10_.has_indirect_call, 0
	.section	.AMDGPU.csdata,"",@progbits
; Kernel info:
; codeLenInByte = 0
; TotalNumSgprs: 0
; NumVgprs: 0
; ScratchSize: 0
; MemoryBound: 0
; FloatMode: 240
; IeeeMode: 1
; LDSByteSize: 0 bytes/workgroup (compile time only)
; SGPRBlocks: 0
; VGPRBlocks: 0
; NumSGPRsForWavesPerEU: 1
; NumVGPRsForWavesPerEU: 1
; NamedBarCnt: 0
; Occupancy: 16
; WaveLimiterHint : 0
; COMPUTE_PGM_RSRC2:SCRATCH_EN: 0
; COMPUTE_PGM_RSRC2:USER_SGPR: 2
; COMPUTE_PGM_RSRC2:TRAP_HANDLER: 0
; COMPUTE_PGM_RSRC2:TGID_X_EN: 1
; COMPUTE_PGM_RSRC2:TGID_Y_EN: 0
; COMPUTE_PGM_RSRC2:TGID_Z_EN: 0
; COMPUTE_PGM_RSRC2:TIDIG_COMP_CNT: 0
	.section	.text._ZN7rocprim17ROCPRIM_400000_NS6detail17trampoline_kernelINS0_14default_configENS1_21merge_config_selectorINS0_5tupleIJffEEENS0_10empty_typeEEEZNS1_10merge_implIS3_NS0_12zip_iteratorINS5_IJN6thrust23THRUST_200600_302600_NS6detail15normal_iteratorINSC_10device_ptrIKfEEEESI_EEEEESK_NSA_INS5_IJNSE_INSF_IfEEEESM_EEEEEPS7_SP_SP_NSC_11hip_rocprim7__merge17predicate_wrapperIffNSC_7greaterIfEEEEEE10hipError_tPvRmT0_T1_T2_T3_T4_T5_mmT6_P12ihipStream_tbEUlT_E_NS1_11comp_targetILNS1_3genE4ELNS1_11target_archE910ELNS1_3gpuE8ELNS1_3repE0EEENS1_30default_config_static_selectorELNS0_4arch9wavefront6targetE0EEEvS10_,"axG",@progbits,_ZN7rocprim17ROCPRIM_400000_NS6detail17trampoline_kernelINS0_14default_configENS1_21merge_config_selectorINS0_5tupleIJffEEENS0_10empty_typeEEEZNS1_10merge_implIS3_NS0_12zip_iteratorINS5_IJN6thrust23THRUST_200600_302600_NS6detail15normal_iteratorINSC_10device_ptrIKfEEEESI_EEEEESK_NSA_INS5_IJNSE_INSF_IfEEEESM_EEEEEPS7_SP_SP_NSC_11hip_rocprim7__merge17predicate_wrapperIffNSC_7greaterIfEEEEEE10hipError_tPvRmT0_T1_T2_T3_T4_T5_mmT6_P12ihipStream_tbEUlT_E_NS1_11comp_targetILNS1_3genE4ELNS1_11target_archE910ELNS1_3gpuE8ELNS1_3repE0EEENS1_30default_config_static_selectorELNS0_4arch9wavefront6targetE0EEEvS10_,comdat
	.protected	_ZN7rocprim17ROCPRIM_400000_NS6detail17trampoline_kernelINS0_14default_configENS1_21merge_config_selectorINS0_5tupleIJffEEENS0_10empty_typeEEEZNS1_10merge_implIS3_NS0_12zip_iteratorINS5_IJN6thrust23THRUST_200600_302600_NS6detail15normal_iteratorINSC_10device_ptrIKfEEEESI_EEEEESK_NSA_INS5_IJNSE_INSF_IfEEEESM_EEEEEPS7_SP_SP_NSC_11hip_rocprim7__merge17predicate_wrapperIffNSC_7greaterIfEEEEEE10hipError_tPvRmT0_T1_T2_T3_T4_T5_mmT6_P12ihipStream_tbEUlT_E_NS1_11comp_targetILNS1_3genE4ELNS1_11target_archE910ELNS1_3gpuE8ELNS1_3repE0EEENS1_30default_config_static_selectorELNS0_4arch9wavefront6targetE0EEEvS10_ ; -- Begin function _ZN7rocprim17ROCPRIM_400000_NS6detail17trampoline_kernelINS0_14default_configENS1_21merge_config_selectorINS0_5tupleIJffEEENS0_10empty_typeEEEZNS1_10merge_implIS3_NS0_12zip_iteratorINS5_IJN6thrust23THRUST_200600_302600_NS6detail15normal_iteratorINSC_10device_ptrIKfEEEESI_EEEEESK_NSA_INS5_IJNSE_INSF_IfEEEESM_EEEEEPS7_SP_SP_NSC_11hip_rocprim7__merge17predicate_wrapperIffNSC_7greaterIfEEEEEE10hipError_tPvRmT0_T1_T2_T3_T4_T5_mmT6_P12ihipStream_tbEUlT_E_NS1_11comp_targetILNS1_3genE4ELNS1_11target_archE910ELNS1_3gpuE8ELNS1_3repE0EEENS1_30default_config_static_selectorELNS0_4arch9wavefront6targetE0EEEvS10_
	.globl	_ZN7rocprim17ROCPRIM_400000_NS6detail17trampoline_kernelINS0_14default_configENS1_21merge_config_selectorINS0_5tupleIJffEEENS0_10empty_typeEEEZNS1_10merge_implIS3_NS0_12zip_iteratorINS5_IJN6thrust23THRUST_200600_302600_NS6detail15normal_iteratorINSC_10device_ptrIKfEEEESI_EEEEESK_NSA_INS5_IJNSE_INSF_IfEEEESM_EEEEEPS7_SP_SP_NSC_11hip_rocprim7__merge17predicate_wrapperIffNSC_7greaterIfEEEEEE10hipError_tPvRmT0_T1_T2_T3_T4_T5_mmT6_P12ihipStream_tbEUlT_E_NS1_11comp_targetILNS1_3genE4ELNS1_11target_archE910ELNS1_3gpuE8ELNS1_3repE0EEENS1_30default_config_static_selectorELNS0_4arch9wavefront6targetE0EEEvS10_
	.p2align	8
	.type	_ZN7rocprim17ROCPRIM_400000_NS6detail17trampoline_kernelINS0_14default_configENS1_21merge_config_selectorINS0_5tupleIJffEEENS0_10empty_typeEEEZNS1_10merge_implIS3_NS0_12zip_iteratorINS5_IJN6thrust23THRUST_200600_302600_NS6detail15normal_iteratorINSC_10device_ptrIKfEEEESI_EEEEESK_NSA_INS5_IJNSE_INSF_IfEEEESM_EEEEEPS7_SP_SP_NSC_11hip_rocprim7__merge17predicate_wrapperIffNSC_7greaterIfEEEEEE10hipError_tPvRmT0_T1_T2_T3_T4_T5_mmT6_P12ihipStream_tbEUlT_E_NS1_11comp_targetILNS1_3genE4ELNS1_11target_archE910ELNS1_3gpuE8ELNS1_3repE0EEENS1_30default_config_static_selectorELNS0_4arch9wavefront6targetE0EEEvS10_,@function
_ZN7rocprim17ROCPRIM_400000_NS6detail17trampoline_kernelINS0_14default_configENS1_21merge_config_selectorINS0_5tupleIJffEEENS0_10empty_typeEEEZNS1_10merge_implIS3_NS0_12zip_iteratorINS5_IJN6thrust23THRUST_200600_302600_NS6detail15normal_iteratorINSC_10device_ptrIKfEEEESI_EEEEESK_NSA_INS5_IJNSE_INSF_IfEEEESM_EEEEEPS7_SP_SP_NSC_11hip_rocprim7__merge17predicate_wrapperIffNSC_7greaterIfEEEEEE10hipError_tPvRmT0_T1_T2_T3_T4_T5_mmT6_P12ihipStream_tbEUlT_E_NS1_11comp_targetILNS1_3genE4ELNS1_11target_archE910ELNS1_3gpuE8ELNS1_3repE0EEENS1_30default_config_static_selectorELNS0_4arch9wavefront6targetE0EEEvS10_: ; @_ZN7rocprim17ROCPRIM_400000_NS6detail17trampoline_kernelINS0_14default_configENS1_21merge_config_selectorINS0_5tupleIJffEEENS0_10empty_typeEEEZNS1_10merge_implIS3_NS0_12zip_iteratorINS5_IJN6thrust23THRUST_200600_302600_NS6detail15normal_iteratorINSC_10device_ptrIKfEEEESI_EEEEESK_NSA_INS5_IJNSE_INSF_IfEEEESM_EEEEEPS7_SP_SP_NSC_11hip_rocprim7__merge17predicate_wrapperIffNSC_7greaterIfEEEEEE10hipError_tPvRmT0_T1_T2_T3_T4_T5_mmT6_P12ihipStream_tbEUlT_E_NS1_11comp_targetILNS1_3genE4ELNS1_11target_archE910ELNS1_3gpuE8ELNS1_3repE0EEENS1_30default_config_static_selectorELNS0_4arch9wavefront6targetE0EEEvS10_
; %bb.0:
	.section	.rodata,"a",@progbits
	.p2align	6, 0x0
	.amdhsa_kernel _ZN7rocprim17ROCPRIM_400000_NS6detail17trampoline_kernelINS0_14default_configENS1_21merge_config_selectorINS0_5tupleIJffEEENS0_10empty_typeEEEZNS1_10merge_implIS3_NS0_12zip_iteratorINS5_IJN6thrust23THRUST_200600_302600_NS6detail15normal_iteratorINSC_10device_ptrIKfEEEESI_EEEEESK_NSA_INS5_IJNSE_INSF_IfEEEESM_EEEEEPS7_SP_SP_NSC_11hip_rocprim7__merge17predicate_wrapperIffNSC_7greaterIfEEEEEE10hipError_tPvRmT0_T1_T2_T3_T4_T5_mmT6_P12ihipStream_tbEUlT_E_NS1_11comp_targetILNS1_3genE4ELNS1_11target_archE910ELNS1_3gpuE8ELNS1_3repE0EEENS1_30default_config_static_selectorELNS0_4arch9wavefront6targetE0EEEvS10_
		.amdhsa_group_segment_fixed_size 0
		.amdhsa_private_segment_fixed_size 0
		.amdhsa_kernarg_size 64
		.amdhsa_user_sgpr_count 2
		.amdhsa_user_sgpr_dispatch_ptr 0
		.amdhsa_user_sgpr_queue_ptr 0
		.amdhsa_user_sgpr_kernarg_segment_ptr 1
		.amdhsa_user_sgpr_dispatch_id 0
		.amdhsa_user_sgpr_kernarg_preload_length 0
		.amdhsa_user_sgpr_kernarg_preload_offset 0
		.amdhsa_user_sgpr_private_segment_size 0
		.amdhsa_wavefront_size32 1
		.amdhsa_uses_dynamic_stack 0
		.amdhsa_enable_private_segment 0
		.amdhsa_system_sgpr_workgroup_id_x 1
		.amdhsa_system_sgpr_workgroup_id_y 0
		.amdhsa_system_sgpr_workgroup_id_z 0
		.amdhsa_system_sgpr_workgroup_info 0
		.amdhsa_system_vgpr_workitem_id 0
		.amdhsa_next_free_vgpr 1
		.amdhsa_next_free_sgpr 1
		.amdhsa_named_barrier_count 0
		.amdhsa_reserve_vcc 0
		.amdhsa_float_round_mode_32 0
		.amdhsa_float_round_mode_16_64 0
		.amdhsa_float_denorm_mode_32 3
		.amdhsa_float_denorm_mode_16_64 3
		.amdhsa_fp16_overflow 0
		.amdhsa_memory_ordered 1
		.amdhsa_forward_progress 1
		.amdhsa_inst_pref_size 0
		.amdhsa_round_robin_scheduling 0
		.amdhsa_exception_fp_ieee_invalid_op 0
		.amdhsa_exception_fp_denorm_src 0
		.amdhsa_exception_fp_ieee_div_zero 0
		.amdhsa_exception_fp_ieee_overflow 0
		.amdhsa_exception_fp_ieee_underflow 0
		.amdhsa_exception_fp_ieee_inexact 0
		.amdhsa_exception_int_div_zero 0
	.end_amdhsa_kernel
	.section	.text._ZN7rocprim17ROCPRIM_400000_NS6detail17trampoline_kernelINS0_14default_configENS1_21merge_config_selectorINS0_5tupleIJffEEENS0_10empty_typeEEEZNS1_10merge_implIS3_NS0_12zip_iteratorINS5_IJN6thrust23THRUST_200600_302600_NS6detail15normal_iteratorINSC_10device_ptrIKfEEEESI_EEEEESK_NSA_INS5_IJNSE_INSF_IfEEEESM_EEEEEPS7_SP_SP_NSC_11hip_rocprim7__merge17predicate_wrapperIffNSC_7greaterIfEEEEEE10hipError_tPvRmT0_T1_T2_T3_T4_T5_mmT6_P12ihipStream_tbEUlT_E_NS1_11comp_targetILNS1_3genE4ELNS1_11target_archE910ELNS1_3gpuE8ELNS1_3repE0EEENS1_30default_config_static_selectorELNS0_4arch9wavefront6targetE0EEEvS10_,"axG",@progbits,_ZN7rocprim17ROCPRIM_400000_NS6detail17trampoline_kernelINS0_14default_configENS1_21merge_config_selectorINS0_5tupleIJffEEENS0_10empty_typeEEEZNS1_10merge_implIS3_NS0_12zip_iteratorINS5_IJN6thrust23THRUST_200600_302600_NS6detail15normal_iteratorINSC_10device_ptrIKfEEEESI_EEEEESK_NSA_INS5_IJNSE_INSF_IfEEEESM_EEEEEPS7_SP_SP_NSC_11hip_rocprim7__merge17predicate_wrapperIffNSC_7greaterIfEEEEEE10hipError_tPvRmT0_T1_T2_T3_T4_T5_mmT6_P12ihipStream_tbEUlT_E_NS1_11comp_targetILNS1_3genE4ELNS1_11target_archE910ELNS1_3gpuE8ELNS1_3repE0EEENS1_30default_config_static_selectorELNS0_4arch9wavefront6targetE0EEEvS10_,comdat
.Lfunc_end337:
	.size	_ZN7rocprim17ROCPRIM_400000_NS6detail17trampoline_kernelINS0_14default_configENS1_21merge_config_selectorINS0_5tupleIJffEEENS0_10empty_typeEEEZNS1_10merge_implIS3_NS0_12zip_iteratorINS5_IJN6thrust23THRUST_200600_302600_NS6detail15normal_iteratorINSC_10device_ptrIKfEEEESI_EEEEESK_NSA_INS5_IJNSE_INSF_IfEEEESM_EEEEEPS7_SP_SP_NSC_11hip_rocprim7__merge17predicate_wrapperIffNSC_7greaterIfEEEEEE10hipError_tPvRmT0_T1_T2_T3_T4_T5_mmT6_P12ihipStream_tbEUlT_E_NS1_11comp_targetILNS1_3genE4ELNS1_11target_archE910ELNS1_3gpuE8ELNS1_3repE0EEENS1_30default_config_static_selectorELNS0_4arch9wavefront6targetE0EEEvS10_, .Lfunc_end337-_ZN7rocprim17ROCPRIM_400000_NS6detail17trampoline_kernelINS0_14default_configENS1_21merge_config_selectorINS0_5tupleIJffEEENS0_10empty_typeEEEZNS1_10merge_implIS3_NS0_12zip_iteratorINS5_IJN6thrust23THRUST_200600_302600_NS6detail15normal_iteratorINSC_10device_ptrIKfEEEESI_EEEEESK_NSA_INS5_IJNSE_INSF_IfEEEESM_EEEEEPS7_SP_SP_NSC_11hip_rocprim7__merge17predicate_wrapperIffNSC_7greaterIfEEEEEE10hipError_tPvRmT0_T1_T2_T3_T4_T5_mmT6_P12ihipStream_tbEUlT_E_NS1_11comp_targetILNS1_3genE4ELNS1_11target_archE910ELNS1_3gpuE8ELNS1_3repE0EEENS1_30default_config_static_selectorELNS0_4arch9wavefront6targetE0EEEvS10_
                                        ; -- End function
	.set _ZN7rocprim17ROCPRIM_400000_NS6detail17trampoline_kernelINS0_14default_configENS1_21merge_config_selectorINS0_5tupleIJffEEENS0_10empty_typeEEEZNS1_10merge_implIS3_NS0_12zip_iteratorINS5_IJN6thrust23THRUST_200600_302600_NS6detail15normal_iteratorINSC_10device_ptrIKfEEEESI_EEEEESK_NSA_INS5_IJNSE_INSF_IfEEEESM_EEEEEPS7_SP_SP_NSC_11hip_rocprim7__merge17predicate_wrapperIffNSC_7greaterIfEEEEEE10hipError_tPvRmT0_T1_T2_T3_T4_T5_mmT6_P12ihipStream_tbEUlT_E_NS1_11comp_targetILNS1_3genE4ELNS1_11target_archE910ELNS1_3gpuE8ELNS1_3repE0EEENS1_30default_config_static_selectorELNS0_4arch9wavefront6targetE0EEEvS10_.num_vgpr, 0
	.set _ZN7rocprim17ROCPRIM_400000_NS6detail17trampoline_kernelINS0_14default_configENS1_21merge_config_selectorINS0_5tupleIJffEEENS0_10empty_typeEEEZNS1_10merge_implIS3_NS0_12zip_iteratorINS5_IJN6thrust23THRUST_200600_302600_NS6detail15normal_iteratorINSC_10device_ptrIKfEEEESI_EEEEESK_NSA_INS5_IJNSE_INSF_IfEEEESM_EEEEEPS7_SP_SP_NSC_11hip_rocprim7__merge17predicate_wrapperIffNSC_7greaterIfEEEEEE10hipError_tPvRmT0_T1_T2_T3_T4_T5_mmT6_P12ihipStream_tbEUlT_E_NS1_11comp_targetILNS1_3genE4ELNS1_11target_archE910ELNS1_3gpuE8ELNS1_3repE0EEENS1_30default_config_static_selectorELNS0_4arch9wavefront6targetE0EEEvS10_.num_agpr, 0
	.set _ZN7rocprim17ROCPRIM_400000_NS6detail17trampoline_kernelINS0_14default_configENS1_21merge_config_selectorINS0_5tupleIJffEEENS0_10empty_typeEEEZNS1_10merge_implIS3_NS0_12zip_iteratorINS5_IJN6thrust23THRUST_200600_302600_NS6detail15normal_iteratorINSC_10device_ptrIKfEEEESI_EEEEESK_NSA_INS5_IJNSE_INSF_IfEEEESM_EEEEEPS7_SP_SP_NSC_11hip_rocprim7__merge17predicate_wrapperIffNSC_7greaterIfEEEEEE10hipError_tPvRmT0_T1_T2_T3_T4_T5_mmT6_P12ihipStream_tbEUlT_E_NS1_11comp_targetILNS1_3genE4ELNS1_11target_archE910ELNS1_3gpuE8ELNS1_3repE0EEENS1_30default_config_static_selectorELNS0_4arch9wavefront6targetE0EEEvS10_.numbered_sgpr, 0
	.set _ZN7rocprim17ROCPRIM_400000_NS6detail17trampoline_kernelINS0_14default_configENS1_21merge_config_selectorINS0_5tupleIJffEEENS0_10empty_typeEEEZNS1_10merge_implIS3_NS0_12zip_iteratorINS5_IJN6thrust23THRUST_200600_302600_NS6detail15normal_iteratorINSC_10device_ptrIKfEEEESI_EEEEESK_NSA_INS5_IJNSE_INSF_IfEEEESM_EEEEEPS7_SP_SP_NSC_11hip_rocprim7__merge17predicate_wrapperIffNSC_7greaterIfEEEEEE10hipError_tPvRmT0_T1_T2_T3_T4_T5_mmT6_P12ihipStream_tbEUlT_E_NS1_11comp_targetILNS1_3genE4ELNS1_11target_archE910ELNS1_3gpuE8ELNS1_3repE0EEENS1_30default_config_static_selectorELNS0_4arch9wavefront6targetE0EEEvS10_.num_named_barrier, 0
	.set _ZN7rocprim17ROCPRIM_400000_NS6detail17trampoline_kernelINS0_14default_configENS1_21merge_config_selectorINS0_5tupleIJffEEENS0_10empty_typeEEEZNS1_10merge_implIS3_NS0_12zip_iteratorINS5_IJN6thrust23THRUST_200600_302600_NS6detail15normal_iteratorINSC_10device_ptrIKfEEEESI_EEEEESK_NSA_INS5_IJNSE_INSF_IfEEEESM_EEEEEPS7_SP_SP_NSC_11hip_rocprim7__merge17predicate_wrapperIffNSC_7greaterIfEEEEEE10hipError_tPvRmT0_T1_T2_T3_T4_T5_mmT6_P12ihipStream_tbEUlT_E_NS1_11comp_targetILNS1_3genE4ELNS1_11target_archE910ELNS1_3gpuE8ELNS1_3repE0EEENS1_30default_config_static_selectorELNS0_4arch9wavefront6targetE0EEEvS10_.private_seg_size, 0
	.set _ZN7rocprim17ROCPRIM_400000_NS6detail17trampoline_kernelINS0_14default_configENS1_21merge_config_selectorINS0_5tupleIJffEEENS0_10empty_typeEEEZNS1_10merge_implIS3_NS0_12zip_iteratorINS5_IJN6thrust23THRUST_200600_302600_NS6detail15normal_iteratorINSC_10device_ptrIKfEEEESI_EEEEESK_NSA_INS5_IJNSE_INSF_IfEEEESM_EEEEEPS7_SP_SP_NSC_11hip_rocprim7__merge17predicate_wrapperIffNSC_7greaterIfEEEEEE10hipError_tPvRmT0_T1_T2_T3_T4_T5_mmT6_P12ihipStream_tbEUlT_E_NS1_11comp_targetILNS1_3genE4ELNS1_11target_archE910ELNS1_3gpuE8ELNS1_3repE0EEENS1_30default_config_static_selectorELNS0_4arch9wavefront6targetE0EEEvS10_.uses_vcc, 0
	.set _ZN7rocprim17ROCPRIM_400000_NS6detail17trampoline_kernelINS0_14default_configENS1_21merge_config_selectorINS0_5tupleIJffEEENS0_10empty_typeEEEZNS1_10merge_implIS3_NS0_12zip_iteratorINS5_IJN6thrust23THRUST_200600_302600_NS6detail15normal_iteratorINSC_10device_ptrIKfEEEESI_EEEEESK_NSA_INS5_IJNSE_INSF_IfEEEESM_EEEEEPS7_SP_SP_NSC_11hip_rocprim7__merge17predicate_wrapperIffNSC_7greaterIfEEEEEE10hipError_tPvRmT0_T1_T2_T3_T4_T5_mmT6_P12ihipStream_tbEUlT_E_NS1_11comp_targetILNS1_3genE4ELNS1_11target_archE910ELNS1_3gpuE8ELNS1_3repE0EEENS1_30default_config_static_selectorELNS0_4arch9wavefront6targetE0EEEvS10_.uses_flat_scratch, 0
	.set _ZN7rocprim17ROCPRIM_400000_NS6detail17trampoline_kernelINS0_14default_configENS1_21merge_config_selectorINS0_5tupleIJffEEENS0_10empty_typeEEEZNS1_10merge_implIS3_NS0_12zip_iteratorINS5_IJN6thrust23THRUST_200600_302600_NS6detail15normal_iteratorINSC_10device_ptrIKfEEEESI_EEEEESK_NSA_INS5_IJNSE_INSF_IfEEEESM_EEEEEPS7_SP_SP_NSC_11hip_rocprim7__merge17predicate_wrapperIffNSC_7greaterIfEEEEEE10hipError_tPvRmT0_T1_T2_T3_T4_T5_mmT6_P12ihipStream_tbEUlT_E_NS1_11comp_targetILNS1_3genE4ELNS1_11target_archE910ELNS1_3gpuE8ELNS1_3repE0EEENS1_30default_config_static_selectorELNS0_4arch9wavefront6targetE0EEEvS10_.has_dyn_sized_stack, 0
	.set _ZN7rocprim17ROCPRIM_400000_NS6detail17trampoline_kernelINS0_14default_configENS1_21merge_config_selectorINS0_5tupleIJffEEENS0_10empty_typeEEEZNS1_10merge_implIS3_NS0_12zip_iteratorINS5_IJN6thrust23THRUST_200600_302600_NS6detail15normal_iteratorINSC_10device_ptrIKfEEEESI_EEEEESK_NSA_INS5_IJNSE_INSF_IfEEEESM_EEEEEPS7_SP_SP_NSC_11hip_rocprim7__merge17predicate_wrapperIffNSC_7greaterIfEEEEEE10hipError_tPvRmT0_T1_T2_T3_T4_T5_mmT6_P12ihipStream_tbEUlT_E_NS1_11comp_targetILNS1_3genE4ELNS1_11target_archE910ELNS1_3gpuE8ELNS1_3repE0EEENS1_30default_config_static_selectorELNS0_4arch9wavefront6targetE0EEEvS10_.has_recursion, 0
	.set _ZN7rocprim17ROCPRIM_400000_NS6detail17trampoline_kernelINS0_14default_configENS1_21merge_config_selectorINS0_5tupleIJffEEENS0_10empty_typeEEEZNS1_10merge_implIS3_NS0_12zip_iteratorINS5_IJN6thrust23THRUST_200600_302600_NS6detail15normal_iteratorINSC_10device_ptrIKfEEEESI_EEEEESK_NSA_INS5_IJNSE_INSF_IfEEEESM_EEEEEPS7_SP_SP_NSC_11hip_rocprim7__merge17predicate_wrapperIffNSC_7greaterIfEEEEEE10hipError_tPvRmT0_T1_T2_T3_T4_T5_mmT6_P12ihipStream_tbEUlT_E_NS1_11comp_targetILNS1_3genE4ELNS1_11target_archE910ELNS1_3gpuE8ELNS1_3repE0EEENS1_30default_config_static_selectorELNS0_4arch9wavefront6targetE0EEEvS10_.has_indirect_call, 0
	.section	.AMDGPU.csdata,"",@progbits
; Kernel info:
; codeLenInByte = 0
; TotalNumSgprs: 0
; NumVgprs: 0
; ScratchSize: 0
; MemoryBound: 0
; FloatMode: 240
; IeeeMode: 1
; LDSByteSize: 0 bytes/workgroup (compile time only)
; SGPRBlocks: 0
; VGPRBlocks: 0
; NumSGPRsForWavesPerEU: 1
; NumVGPRsForWavesPerEU: 1
; NamedBarCnt: 0
; Occupancy: 16
; WaveLimiterHint : 0
; COMPUTE_PGM_RSRC2:SCRATCH_EN: 0
; COMPUTE_PGM_RSRC2:USER_SGPR: 2
; COMPUTE_PGM_RSRC2:TRAP_HANDLER: 0
; COMPUTE_PGM_RSRC2:TGID_X_EN: 1
; COMPUTE_PGM_RSRC2:TGID_Y_EN: 0
; COMPUTE_PGM_RSRC2:TGID_Z_EN: 0
; COMPUTE_PGM_RSRC2:TIDIG_COMP_CNT: 0
	.section	.text._ZN7rocprim17ROCPRIM_400000_NS6detail17trampoline_kernelINS0_14default_configENS1_21merge_config_selectorINS0_5tupleIJffEEENS0_10empty_typeEEEZNS1_10merge_implIS3_NS0_12zip_iteratorINS5_IJN6thrust23THRUST_200600_302600_NS6detail15normal_iteratorINSC_10device_ptrIKfEEEESI_EEEEESK_NSA_INS5_IJNSE_INSF_IfEEEESM_EEEEEPS7_SP_SP_NSC_11hip_rocprim7__merge17predicate_wrapperIffNSC_7greaterIfEEEEEE10hipError_tPvRmT0_T1_T2_T3_T4_T5_mmT6_P12ihipStream_tbEUlT_E_NS1_11comp_targetILNS1_3genE3ELNS1_11target_archE908ELNS1_3gpuE7ELNS1_3repE0EEENS1_30default_config_static_selectorELNS0_4arch9wavefront6targetE0EEEvS10_,"axG",@progbits,_ZN7rocprim17ROCPRIM_400000_NS6detail17trampoline_kernelINS0_14default_configENS1_21merge_config_selectorINS0_5tupleIJffEEENS0_10empty_typeEEEZNS1_10merge_implIS3_NS0_12zip_iteratorINS5_IJN6thrust23THRUST_200600_302600_NS6detail15normal_iteratorINSC_10device_ptrIKfEEEESI_EEEEESK_NSA_INS5_IJNSE_INSF_IfEEEESM_EEEEEPS7_SP_SP_NSC_11hip_rocprim7__merge17predicate_wrapperIffNSC_7greaterIfEEEEEE10hipError_tPvRmT0_T1_T2_T3_T4_T5_mmT6_P12ihipStream_tbEUlT_E_NS1_11comp_targetILNS1_3genE3ELNS1_11target_archE908ELNS1_3gpuE7ELNS1_3repE0EEENS1_30default_config_static_selectorELNS0_4arch9wavefront6targetE0EEEvS10_,comdat
	.protected	_ZN7rocprim17ROCPRIM_400000_NS6detail17trampoline_kernelINS0_14default_configENS1_21merge_config_selectorINS0_5tupleIJffEEENS0_10empty_typeEEEZNS1_10merge_implIS3_NS0_12zip_iteratorINS5_IJN6thrust23THRUST_200600_302600_NS6detail15normal_iteratorINSC_10device_ptrIKfEEEESI_EEEEESK_NSA_INS5_IJNSE_INSF_IfEEEESM_EEEEEPS7_SP_SP_NSC_11hip_rocprim7__merge17predicate_wrapperIffNSC_7greaterIfEEEEEE10hipError_tPvRmT0_T1_T2_T3_T4_T5_mmT6_P12ihipStream_tbEUlT_E_NS1_11comp_targetILNS1_3genE3ELNS1_11target_archE908ELNS1_3gpuE7ELNS1_3repE0EEENS1_30default_config_static_selectorELNS0_4arch9wavefront6targetE0EEEvS10_ ; -- Begin function _ZN7rocprim17ROCPRIM_400000_NS6detail17trampoline_kernelINS0_14default_configENS1_21merge_config_selectorINS0_5tupleIJffEEENS0_10empty_typeEEEZNS1_10merge_implIS3_NS0_12zip_iteratorINS5_IJN6thrust23THRUST_200600_302600_NS6detail15normal_iteratorINSC_10device_ptrIKfEEEESI_EEEEESK_NSA_INS5_IJNSE_INSF_IfEEEESM_EEEEEPS7_SP_SP_NSC_11hip_rocprim7__merge17predicate_wrapperIffNSC_7greaterIfEEEEEE10hipError_tPvRmT0_T1_T2_T3_T4_T5_mmT6_P12ihipStream_tbEUlT_E_NS1_11comp_targetILNS1_3genE3ELNS1_11target_archE908ELNS1_3gpuE7ELNS1_3repE0EEENS1_30default_config_static_selectorELNS0_4arch9wavefront6targetE0EEEvS10_
	.globl	_ZN7rocprim17ROCPRIM_400000_NS6detail17trampoline_kernelINS0_14default_configENS1_21merge_config_selectorINS0_5tupleIJffEEENS0_10empty_typeEEEZNS1_10merge_implIS3_NS0_12zip_iteratorINS5_IJN6thrust23THRUST_200600_302600_NS6detail15normal_iteratorINSC_10device_ptrIKfEEEESI_EEEEESK_NSA_INS5_IJNSE_INSF_IfEEEESM_EEEEEPS7_SP_SP_NSC_11hip_rocprim7__merge17predicate_wrapperIffNSC_7greaterIfEEEEEE10hipError_tPvRmT0_T1_T2_T3_T4_T5_mmT6_P12ihipStream_tbEUlT_E_NS1_11comp_targetILNS1_3genE3ELNS1_11target_archE908ELNS1_3gpuE7ELNS1_3repE0EEENS1_30default_config_static_selectorELNS0_4arch9wavefront6targetE0EEEvS10_
	.p2align	8
	.type	_ZN7rocprim17ROCPRIM_400000_NS6detail17trampoline_kernelINS0_14default_configENS1_21merge_config_selectorINS0_5tupleIJffEEENS0_10empty_typeEEEZNS1_10merge_implIS3_NS0_12zip_iteratorINS5_IJN6thrust23THRUST_200600_302600_NS6detail15normal_iteratorINSC_10device_ptrIKfEEEESI_EEEEESK_NSA_INS5_IJNSE_INSF_IfEEEESM_EEEEEPS7_SP_SP_NSC_11hip_rocprim7__merge17predicate_wrapperIffNSC_7greaterIfEEEEEE10hipError_tPvRmT0_T1_T2_T3_T4_T5_mmT6_P12ihipStream_tbEUlT_E_NS1_11comp_targetILNS1_3genE3ELNS1_11target_archE908ELNS1_3gpuE7ELNS1_3repE0EEENS1_30default_config_static_selectorELNS0_4arch9wavefront6targetE0EEEvS10_,@function
_ZN7rocprim17ROCPRIM_400000_NS6detail17trampoline_kernelINS0_14default_configENS1_21merge_config_selectorINS0_5tupleIJffEEENS0_10empty_typeEEEZNS1_10merge_implIS3_NS0_12zip_iteratorINS5_IJN6thrust23THRUST_200600_302600_NS6detail15normal_iteratorINSC_10device_ptrIKfEEEESI_EEEEESK_NSA_INS5_IJNSE_INSF_IfEEEESM_EEEEEPS7_SP_SP_NSC_11hip_rocprim7__merge17predicate_wrapperIffNSC_7greaterIfEEEEEE10hipError_tPvRmT0_T1_T2_T3_T4_T5_mmT6_P12ihipStream_tbEUlT_E_NS1_11comp_targetILNS1_3genE3ELNS1_11target_archE908ELNS1_3gpuE7ELNS1_3repE0EEENS1_30default_config_static_selectorELNS0_4arch9wavefront6targetE0EEEvS10_: ; @_ZN7rocprim17ROCPRIM_400000_NS6detail17trampoline_kernelINS0_14default_configENS1_21merge_config_selectorINS0_5tupleIJffEEENS0_10empty_typeEEEZNS1_10merge_implIS3_NS0_12zip_iteratorINS5_IJN6thrust23THRUST_200600_302600_NS6detail15normal_iteratorINSC_10device_ptrIKfEEEESI_EEEEESK_NSA_INS5_IJNSE_INSF_IfEEEESM_EEEEEPS7_SP_SP_NSC_11hip_rocprim7__merge17predicate_wrapperIffNSC_7greaterIfEEEEEE10hipError_tPvRmT0_T1_T2_T3_T4_T5_mmT6_P12ihipStream_tbEUlT_E_NS1_11comp_targetILNS1_3genE3ELNS1_11target_archE908ELNS1_3gpuE7ELNS1_3repE0EEENS1_30default_config_static_selectorELNS0_4arch9wavefront6targetE0EEEvS10_
; %bb.0:
	.section	.rodata,"a",@progbits
	.p2align	6, 0x0
	.amdhsa_kernel _ZN7rocprim17ROCPRIM_400000_NS6detail17trampoline_kernelINS0_14default_configENS1_21merge_config_selectorINS0_5tupleIJffEEENS0_10empty_typeEEEZNS1_10merge_implIS3_NS0_12zip_iteratorINS5_IJN6thrust23THRUST_200600_302600_NS6detail15normal_iteratorINSC_10device_ptrIKfEEEESI_EEEEESK_NSA_INS5_IJNSE_INSF_IfEEEESM_EEEEEPS7_SP_SP_NSC_11hip_rocprim7__merge17predicate_wrapperIffNSC_7greaterIfEEEEEE10hipError_tPvRmT0_T1_T2_T3_T4_T5_mmT6_P12ihipStream_tbEUlT_E_NS1_11comp_targetILNS1_3genE3ELNS1_11target_archE908ELNS1_3gpuE7ELNS1_3repE0EEENS1_30default_config_static_selectorELNS0_4arch9wavefront6targetE0EEEvS10_
		.amdhsa_group_segment_fixed_size 0
		.amdhsa_private_segment_fixed_size 0
		.amdhsa_kernarg_size 64
		.amdhsa_user_sgpr_count 2
		.amdhsa_user_sgpr_dispatch_ptr 0
		.amdhsa_user_sgpr_queue_ptr 0
		.amdhsa_user_sgpr_kernarg_segment_ptr 1
		.amdhsa_user_sgpr_dispatch_id 0
		.amdhsa_user_sgpr_kernarg_preload_length 0
		.amdhsa_user_sgpr_kernarg_preload_offset 0
		.amdhsa_user_sgpr_private_segment_size 0
		.amdhsa_wavefront_size32 1
		.amdhsa_uses_dynamic_stack 0
		.amdhsa_enable_private_segment 0
		.amdhsa_system_sgpr_workgroup_id_x 1
		.amdhsa_system_sgpr_workgroup_id_y 0
		.amdhsa_system_sgpr_workgroup_id_z 0
		.amdhsa_system_sgpr_workgroup_info 0
		.amdhsa_system_vgpr_workitem_id 0
		.amdhsa_next_free_vgpr 1
		.amdhsa_next_free_sgpr 1
		.amdhsa_named_barrier_count 0
		.amdhsa_reserve_vcc 0
		.amdhsa_float_round_mode_32 0
		.amdhsa_float_round_mode_16_64 0
		.amdhsa_float_denorm_mode_32 3
		.amdhsa_float_denorm_mode_16_64 3
		.amdhsa_fp16_overflow 0
		.amdhsa_memory_ordered 1
		.amdhsa_forward_progress 1
		.amdhsa_inst_pref_size 0
		.amdhsa_round_robin_scheduling 0
		.amdhsa_exception_fp_ieee_invalid_op 0
		.amdhsa_exception_fp_denorm_src 0
		.amdhsa_exception_fp_ieee_div_zero 0
		.amdhsa_exception_fp_ieee_overflow 0
		.amdhsa_exception_fp_ieee_underflow 0
		.amdhsa_exception_fp_ieee_inexact 0
		.amdhsa_exception_int_div_zero 0
	.end_amdhsa_kernel
	.section	.text._ZN7rocprim17ROCPRIM_400000_NS6detail17trampoline_kernelINS0_14default_configENS1_21merge_config_selectorINS0_5tupleIJffEEENS0_10empty_typeEEEZNS1_10merge_implIS3_NS0_12zip_iteratorINS5_IJN6thrust23THRUST_200600_302600_NS6detail15normal_iteratorINSC_10device_ptrIKfEEEESI_EEEEESK_NSA_INS5_IJNSE_INSF_IfEEEESM_EEEEEPS7_SP_SP_NSC_11hip_rocprim7__merge17predicate_wrapperIffNSC_7greaterIfEEEEEE10hipError_tPvRmT0_T1_T2_T3_T4_T5_mmT6_P12ihipStream_tbEUlT_E_NS1_11comp_targetILNS1_3genE3ELNS1_11target_archE908ELNS1_3gpuE7ELNS1_3repE0EEENS1_30default_config_static_selectorELNS0_4arch9wavefront6targetE0EEEvS10_,"axG",@progbits,_ZN7rocprim17ROCPRIM_400000_NS6detail17trampoline_kernelINS0_14default_configENS1_21merge_config_selectorINS0_5tupleIJffEEENS0_10empty_typeEEEZNS1_10merge_implIS3_NS0_12zip_iteratorINS5_IJN6thrust23THRUST_200600_302600_NS6detail15normal_iteratorINSC_10device_ptrIKfEEEESI_EEEEESK_NSA_INS5_IJNSE_INSF_IfEEEESM_EEEEEPS7_SP_SP_NSC_11hip_rocprim7__merge17predicate_wrapperIffNSC_7greaterIfEEEEEE10hipError_tPvRmT0_T1_T2_T3_T4_T5_mmT6_P12ihipStream_tbEUlT_E_NS1_11comp_targetILNS1_3genE3ELNS1_11target_archE908ELNS1_3gpuE7ELNS1_3repE0EEENS1_30default_config_static_selectorELNS0_4arch9wavefront6targetE0EEEvS10_,comdat
.Lfunc_end338:
	.size	_ZN7rocprim17ROCPRIM_400000_NS6detail17trampoline_kernelINS0_14default_configENS1_21merge_config_selectorINS0_5tupleIJffEEENS0_10empty_typeEEEZNS1_10merge_implIS3_NS0_12zip_iteratorINS5_IJN6thrust23THRUST_200600_302600_NS6detail15normal_iteratorINSC_10device_ptrIKfEEEESI_EEEEESK_NSA_INS5_IJNSE_INSF_IfEEEESM_EEEEEPS7_SP_SP_NSC_11hip_rocprim7__merge17predicate_wrapperIffNSC_7greaterIfEEEEEE10hipError_tPvRmT0_T1_T2_T3_T4_T5_mmT6_P12ihipStream_tbEUlT_E_NS1_11comp_targetILNS1_3genE3ELNS1_11target_archE908ELNS1_3gpuE7ELNS1_3repE0EEENS1_30default_config_static_selectorELNS0_4arch9wavefront6targetE0EEEvS10_, .Lfunc_end338-_ZN7rocprim17ROCPRIM_400000_NS6detail17trampoline_kernelINS0_14default_configENS1_21merge_config_selectorINS0_5tupleIJffEEENS0_10empty_typeEEEZNS1_10merge_implIS3_NS0_12zip_iteratorINS5_IJN6thrust23THRUST_200600_302600_NS6detail15normal_iteratorINSC_10device_ptrIKfEEEESI_EEEEESK_NSA_INS5_IJNSE_INSF_IfEEEESM_EEEEEPS7_SP_SP_NSC_11hip_rocprim7__merge17predicate_wrapperIffNSC_7greaterIfEEEEEE10hipError_tPvRmT0_T1_T2_T3_T4_T5_mmT6_P12ihipStream_tbEUlT_E_NS1_11comp_targetILNS1_3genE3ELNS1_11target_archE908ELNS1_3gpuE7ELNS1_3repE0EEENS1_30default_config_static_selectorELNS0_4arch9wavefront6targetE0EEEvS10_
                                        ; -- End function
	.set _ZN7rocprim17ROCPRIM_400000_NS6detail17trampoline_kernelINS0_14default_configENS1_21merge_config_selectorINS0_5tupleIJffEEENS0_10empty_typeEEEZNS1_10merge_implIS3_NS0_12zip_iteratorINS5_IJN6thrust23THRUST_200600_302600_NS6detail15normal_iteratorINSC_10device_ptrIKfEEEESI_EEEEESK_NSA_INS5_IJNSE_INSF_IfEEEESM_EEEEEPS7_SP_SP_NSC_11hip_rocprim7__merge17predicate_wrapperIffNSC_7greaterIfEEEEEE10hipError_tPvRmT0_T1_T2_T3_T4_T5_mmT6_P12ihipStream_tbEUlT_E_NS1_11comp_targetILNS1_3genE3ELNS1_11target_archE908ELNS1_3gpuE7ELNS1_3repE0EEENS1_30default_config_static_selectorELNS0_4arch9wavefront6targetE0EEEvS10_.num_vgpr, 0
	.set _ZN7rocprim17ROCPRIM_400000_NS6detail17trampoline_kernelINS0_14default_configENS1_21merge_config_selectorINS0_5tupleIJffEEENS0_10empty_typeEEEZNS1_10merge_implIS3_NS0_12zip_iteratorINS5_IJN6thrust23THRUST_200600_302600_NS6detail15normal_iteratorINSC_10device_ptrIKfEEEESI_EEEEESK_NSA_INS5_IJNSE_INSF_IfEEEESM_EEEEEPS7_SP_SP_NSC_11hip_rocprim7__merge17predicate_wrapperIffNSC_7greaterIfEEEEEE10hipError_tPvRmT0_T1_T2_T3_T4_T5_mmT6_P12ihipStream_tbEUlT_E_NS1_11comp_targetILNS1_3genE3ELNS1_11target_archE908ELNS1_3gpuE7ELNS1_3repE0EEENS1_30default_config_static_selectorELNS0_4arch9wavefront6targetE0EEEvS10_.num_agpr, 0
	.set _ZN7rocprim17ROCPRIM_400000_NS6detail17trampoline_kernelINS0_14default_configENS1_21merge_config_selectorINS0_5tupleIJffEEENS0_10empty_typeEEEZNS1_10merge_implIS3_NS0_12zip_iteratorINS5_IJN6thrust23THRUST_200600_302600_NS6detail15normal_iteratorINSC_10device_ptrIKfEEEESI_EEEEESK_NSA_INS5_IJNSE_INSF_IfEEEESM_EEEEEPS7_SP_SP_NSC_11hip_rocprim7__merge17predicate_wrapperIffNSC_7greaterIfEEEEEE10hipError_tPvRmT0_T1_T2_T3_T4_T5_mmT6_P12ihipStream_tbEUlT_E_NS1_11comp_targetILNS1_3genE3ELNS1_11target_archE908ELNS1_3gpuE7ELNS1_3repE0EEENS1_30default_config_static_selectorELNS0_4arch9wavefront6targetE0EEEvS10_.numbered_sgpr, 0
	.set _ZN7rocprim17ROCPRIM_400000_NS6detail17trampoline_kernelINS0_14default_configENS1_21merge_config_selectorINS0_5tupleIJffEEENS0_10empty_typeEEEZNS1_10merge_implIS3_NS0_12zip_iteratorINS5_IJN6thrust23THRUST_200600_302600_NS6detail15normal_iteratorINSC_10device_ptrIKfEEEESI_EEEEESK_NSA_INS5_IJNSE_INSF_IfEEEESM_EEEEEPS7_SP_SP_NSC_11hip_rocprim7__merge17predicate_wrapperIffNSC_7greaterIfEEEEEE10hipError_tPvRmT0_T1_T2_T3_T4_T5_mmT6_P12ihipStream_tbEUlT_E_NS1_11comp_targetILNS1_3genE3ELNS1_11target_archE908ELNS1_3gpuE7ELNS1_3repE0EEENS1_30default_config_static_selectorELNS0_4arch9wavefront6targetE0EEEvS10_.num_named_barrier, 0
	.set _ZN7rocprim17ROCPRIM_400000_NS6detail17trampoline_kernelINS0_14default_configENS1_21merge_config_selectorINS0_5tupleIJffEEENS0_10empty_typeEEEZNS1_10merge_implIS3_NS0_12zip_iteratorINS5_IJN6thrust23THRUST_200600_302600_NS6detail15normal_iteratorINSC_10device_ptrIKfEEEESI_EEEEESK_NSA_INS5_IJNSE_INSF_IfEEEESM_EEEEEPS7_SP_SP_NSC_11hip_rocprim7__merge17predicate_wrapperIffNSC_7greaterIfEEEEEE10hipError_tPvRmT0_T1_T2_T3_T4_T5_mmT6_P12ihipStream_tbEUlT_E_NS1_11comp_targetILNS1_3genE3ELNS1_11target_archE908ELNS1_3gpuE7ELNS1_3repE0EEENS1_30default_config_static_selectorELNS0_4arch9wavefront6targetE0EEEvS10_.private_seg_size, 0
	.set _ZN7rocprim17ROCPRIM_400000_NS6detail17trampoline_kernelINS0_14default_configENS1_21merge_config_selectorINS0_5tupleIJffEEENS0_10empty_typeEEEZNS1_10merge_implIS3_NS0_12zip_iteratorINS5_IJN6thrust23THRUST_200600_302600_NS6detail15normal_iteratorINSC_10device_ptrIKfEEEESI_EEEEESK_NSA_INS5_IJNSE_INSF_IfEEEESM_EEEEEPS7_SP_SP_NSC_11hip_rocprim7__merge17predicate_wrapperIffNSC_7greaterIfEEEEEE10hipError_tPvRmT0_T1_T2_T3_T4_T5_mmT6_P12ihipStream_tbEUlT_E_NS1_11comp_targetILNS1_3genE3ELNS1_11target_archE908ELNS1_3gpuE7ELNS1_3repE0EEENS1_30default_config_static_selectorELNS0_4arch9wavefront6targetE0EEEvS10_.uses_vcc, 0
	.set _ZN7rocprim17ROCPRIM_400000_NS6detail17trampoline_kernelINS0_14default_configENS1_21merge_config_selectorINS0_5tupleIJffEEENS0_10empty_typeEEEZNS1_10merge_implIS3_NS0_12zip_iteratorINS5_IJN6thrust23THRUST_200600_302600_NS6detail15normal_iteratorINSC_10device_ptrIKfEEEESI_EEEEESK_NSA_INS5_IJNSE_INSF_IfEEEESM_EEEEEPS7_SP_SP_NSC_11hip_rocprim7__merge17predicate_wrapperIffNSC_7greaterIfEEEEEE10hipError_tPvRmT0_T1_T2_T3_T4_T5_mmT6_P12ihipStream_tbEUlT_E_NS1_11comp_targetILNS1_3genE3ELNS1_11target_archE908ELNS1_3gpuE7ELNS1_3repE0EEENS1_30default_config_static_selectorELNS0_4arch9wavefront6targetE0EEEvS10_.uses_flat_scratch, 0
	.set _ZN7rocprim17ROCPRIM_400000_NS6detail17trampoline_kernelINS0_14default_configENS1_21merge_config_selectorINS0_5tupleIJffEEENS0_10empty_typeEEEZNS1_10merge_implIS3_NS0_12zip_iteratorINS5_IJN6thrust23THRUST_200600_302600_NS6detail15normal_iteratorINSC_10device_ptrIKfEEEESI_EEEEESK_NSA_INS5_IJNSE_INSF_IfEEEESM_EEEEEPS7_SP_SP_NSC_11hip_rocprim7__merge17predicate_wrapperIffNSC_7greaterIfEEEEEE10hipError_tPvRmT0_T1_T2_T3_T4_T5_mmT6_P12ihipStream_tbEUlT_E_NS1_11comp_targetILNS1_3genE3ELNS1_11target_archE908ELNS1_3gpuE7ELNS1_3repE0EEENS1_30default_config_static_selectorELNS0_4arch9wavefront6targetE0EEEvS10_.has_dyn_sized_stack, 0
	.set _ZN7rocprim17ROCPRIM_400000_NS6detail17trampoline_kernelINS0_14default_configENS1_21merge_config_selectorINS0_5tupleIJffEEENS0_10empty_typeEEEZNS1_10merge_implIS3_NS0_12zip_iteratorINS5_IJN6thrust23THRUST_200600_302600_NS6detail15normal_iteratorINSC_10device_ptrIKfEEEESI_EEEEESK_NSA_INS5_IJNSE_INSF_IfEEEESM_EEEEEPS7_SP_SP_NSC_11hip_rocprim7__merge17predicate_wrapperIffNSC_7greaterIfEEEEEE10hipError_tPvRmT0_T1_T2_T3_T4_T5_mmT6_P12ihipStream_tbEUlT_E_NS1_11comp_targetILNS1_3genE3ELNS1_11target_archE908ELNS1_3gpuE7ELNS1_3repE0EEENS1_30default_config_static_selectorELNS0_4arch9wavefront6targetE0EEEvS10_.has_recursion, 0
	.set _ZN7rocprim17ROCPRIM_400000_NS6detail17trampoline_kernelINS0_14default_configENS1_21merge_config_selectorINS0_5tupleIJffEEENS0_10empty_typeEEEZNS1_10merge_implIS3_NS0_12zip_iteratorINS5_IJN6thrust23THRUST_200600_302600_NS6detail15normal_iteratorINSC_10device_ptrIKfEEEESI_EEEEESK_NSA_INS5_IJNSE_INSF_IfEEEESM_EEEEEPS7_SP_SP_NSC_11hip_rocprim7__merge17predicate_wrapperIffNSC_7greaterIfEEEEEE10hipError_tPvRmT0_T1_T2_T3_T4_T5_mmT6_P12ihipStream_tbEUlT_E_NS1_11comp_targetILNS1_3genE3ELNS1_11target_archE908ELNS1_3gpuE7ELNS1_3repE0EEENS1_30default_config_static_selectorELNS0_4arch9wavefront6targetE0EEEvS10_.has_indirect_call, 0
	.section	.AMDGPU.csdata,"",@progbits
; Kernel info:
; codeLenInByte = 0
; TotalNumSgprs: 0
; NumVgprs: 0
; ScratchSize: 0
; MemoryBound: 0
; FloatMode: 240
; IeeeMode: 1
; LDSByteSize: 0 bytes/workgroup (compile time only)
; SGPRBlocks: 0
; VGPRBlocks: 0
; NumSGPRsForWavesPerEU: 1
; NumVGPRsForWavesPerEU: 1
; NamedBarCnt: 0
; Occupancy: 16
; WaveLimiterHint : 0
; COMPUTE_PGM_RSRC2:SCRATCH_EN: 0
; COMPUTE_PGM_RSRC2:USER_SGPR: 2
; COMPUTE_PGM_RSRC2:TRAP_HANDLER: 0
; COMPUTE_PGM_RSRC2:TGID_X_EN: 1
; COMPUTE_PGM_RSRC2:TGID_Y_EN: 0
; COMPUTE_PGM_RSRC2:TGID_Z_EN: 0
; COMPUTE_PGM_RSRC2:TIDIG_COMP_CNT: 0
	.section	.text._ZN7rocprim17ROCPRIM_400000_NS6detail17trampoline_kernelINS0_14default_configENS1_21merge_config_selectorINS0_5tupleIJffEEENS0_10empty_typeEEEZNS1_10merge_implIS3_NS0_12zip_iteratorINS5_IJN6thrust23THRUST_200600_302600_NS6detail15normal_iteratorINSC_10device_ptrIKfEEEESI_EEEEESK_NSA_INS5_IJNSE_INSF_IfEEEESM_EEEEEPS7_SP_SP_NSC_11hip_rocprim7__merge17predicate_wrapperIffNSC_7greaterIfEEEEEE10hipError_tPvRmT0_T1_T2_T3_T4_T5_mmT6_P12ihipStream_tbEUlT_E_NS1_11comp_targetILNS1_3genE2ELNS1_11target_archE906ELNS1_3gpuE6ELNS1_3repE0EEENS1_30default_config_static_selectorELNS0_4arch9wavefront6targetE0EEEvS10_,"axG",@progbits,_ZN7rocprim17ROCPRIM_400000_NS6detail17trampoline_kernelINS0_14default_configENS1_21merge_config_selectorINS0_5tupleIJffEEENS0_10empty_typeEEEZNS1_10merge_implIS3_NS0_12zip_iteratorINS5_IJN6thrust23THRUST_200600_302600_NS6detail15normal_iteratorINSC_10device_ptrIKfEEEESI_EEEEESK_NSA_INS5_IJNSE_INSF_IfEEEESM_EEEEEPS7_SP_SP_NSC_11hip_rocprim7__merge17predicate_wrapperIffNSC_7greaterIfEEEEEE10hipError_tPvRmT0_T1_T2_T3_T4_T5_mmT6_P12ihipStream_tbEUlT_E_NS1_11comp_targetILNS1_3genE2ELNS1_11target_archE906ELNS1_3gpuE6ELNS1_3repE0EEENS1_30default_config_static_selectorELNS0_4arch9wavefront6targetE0EEEvS10_,comdat
	.protected	_ZN7rocprim17ROCPRIM_400000_NS6detail17trampoline_kernelINS0_14default_configENS1_21merge_config_selectorINS0_5tupleIJffEEENS0_10empty_typeEEEZNS1_10merge_implIS3_NS0_12zip_iteratorINS5_IJN6thrust23THRUST_200600_302600_NS6detail15normal_iteratorINSC_10device_ptrIKfEEEESI_EEEEESK_NSA_INS5_IJNSE_INSF_IfEEEESM_EEEEEPS7_SP_SP_NSC_11hip_rocprim7__merge17predicate_wrapperIffNSC_7greaterIfEEEEEE10hipError_tPvRmT0_T1_T2_T3_T4_T5_mmT6_P12ihipStream_tbEUlT_E_NS1_11comp_targetILNS1_3genE2ELNS1_11target_archE906ELNS1_3gpuE6ELNS1_3repE0EEENS1_30default_config_static_selectorELNS0_4arch9wavefront6targetE0EEEvS10_ ; -- Begin function _ZN7rocprim17ROCPRIM_400000_NS6detail17trampoline_kernelINS0_14default_configENS1_21merge_config_selectorINS0_5tupleIJffEEENS0_10empty_typeEEEZNS1_10merge_implIS3_NS0_12zip_iteratorINS5_IJN6thrust23THRUST_200600_302600_NS6detail15normal_iteratorINSC_10device_ptrIKfEEEESI_EEEEESK_NSA_INS5_IJNSE_INSF_IfEEEESM_EEEEEPS7_SP_SP_NSC_11hip_rocprim7__merge17predicate_wrapperIffNSC_7greaterIfEEEEEE10hipError_tPvRmT0_T1_T2_T3_T4_T5_mmT6_P12ihipStream_tbEUlT_E_NS1_11comp_targetILNS1_3genE2ELNS1_11target_archE906ELNS1_3gpuE6ELNS1_3repE0EEENS1_30default_config_static_selectorELNS0_4arch9wavefront6targetE0EEEvS10_
	.globl	_ZN7rocprim17ROCPRIM_400000_NS6detail17trampoline_kernelINS0_14default_configENS1_21merge_config_selectorINS0_5tupleIJffEEENS0_10empty_typeEEEZNS1_10merge_implIS3_NS0_12zip_iteratorINS5_IJN6thrust23THRUST_200600_302600_NS6detail15normal_iteratorINSC_10device_ptrIKfEEEESI_EEEEESK_NSA_INS5_IJNSE_INSF_IfEEEESM_EEEEEPS7_SP_SP_NSC_11hip_rocprim7__merge17predicate_wrapperIffNSC_7greaterIfEEEEEE10hipError_tPvRmT0_T1_T2_T3_T4_T5_mmT6_P12ihipStream_tbEUlT_E_NS1_11comp_targetILNS1_3genE2ELNS1_11target_archE906ELNS1_3gpuE6ELNS1_3repE0EEENS1_30default_config_static_selectorELNS0_4arch9wavefront6targetE0EEEvS10_
	.p2align	8
	.type	_ZN7rocprim17ROCPRIM_400000_NS6detail17trampoline_kernelINS0_14default_configENS1_21merge_config_selectorINS0_5tupleIJffEEENS0_10empty_typeEEEZNS1_10merge_implIS3_NS0_12zip_iteratorINS5_IJN6thrust23THRUST_200600_302600_NS6detail15normal_iteratorINSC_10device_ptrIKfEEEESI_EEEEESK_NSA_INS5_IJNSE_INSF_IfEEEESM_EEEEEPS7_SP_SP_NSC_11hip_rocprim7__merge17predicate_wrapperIffNSC_7greaterIfEEEEEE10hipError_tPvRmT0_T1_T2_T3_T4_T5_mmT6_P12ihipStream_tbEUlT_E_NS1_11comp_targetILNS1_3genE2ELNS1_11target_archE906ELNS1_3gpuE6ELNS1_3repE0EEENS1_30default_config_static_selectorELNS0_4arch9wavefront6targetE0EEEvS10_,@function
_ZN7rocprim17ROCPRIM_400000_NS6detail17trampoline_kernelINS0_14default_configENS1_21merge_config_selectorINS0_5tupleIJffEEENS0_10empty_typeEEEZNS1_10merge_implIS3_NS0_12zip_iteratorINS5_IJN6thrust23THRUST_200600_302600_NS6detail15normal_iteratorINSC_10device_ptrIKfEEEESI_EEEEESK_NSA_INS5_IJNSE_INSF_IfEEEESM_EEEEEPS7_SP_SP_NSC_11hip_rocprim7__merge17predicate_wrapperIffNSC_7greaterIfEEEEEE10hipError_tPvRmT0_T1_T2_T3_T4_T5_mmT6_P12ihipStream_tbEUlT_E_NS1_11comp_targetILNS1_3genE2ELNS1_11target_archE906ELNS1_3gpuE6ELNS1_3repE0EEENS1_30default_config_static_selectorELNS0_4arch9wavefront6targetE0EEEvS10_: ; @_ZN7rocprim17ROCPRIM_400000_NS6detail17trampoline_kernelINS0_14default_configENS1_21merge_config_selectorINS0_5tupleIJffEEENS0_10empty_typeEEEZNS1_10merge_implIS3_NS0_12zip_iteratorINS5_IJN6thrust23THRUST_200600_302600_NS6detail15normal_iteratorINSC_10device_ptrIKfEEEESI_EEEEESK_NSA_INS5_IJNSE_INSF_IfEEEESM_EEEEEPS7_SP_SP_NSC_11hip_rocprim7__merge17predicate_wrapperIffNSC_7greaterIfEEEEEE10hipError_tPvRmT0_T1_T2_T3_T4_T5_mmT6_P12ihipStream_tbEUlT_E_NS1_11comp_targetILNS1_3genE2ELNS1_11target_archE906ELNS1_3gpuE6ELNS1_3repE0EEENS1_30default_config_static_selectorELNS0_4arch9wavefront6targetE0EEEvS10_
; %bb.0:
	.section	.rodata,"a",@progbits
	.p2align	6, 0x0
	.amdhsa_kernel _ZN7rocprim17ROCPRIM_400000_NS6detail17trampoline_kernelINS0_14default_configENS1_21merge_config_selectorINS0_5tupleIJffEEENS0_10empty_typeEEEZNS1_10merge_implIS3_NS0_12zip_iteratorINS5_IJN6thrust23THRUST_200600_302600_NS6detail15normal_iteratorINSC_10device_ptrIKfEEEESI_EEEEESK_NSA_INS5_IJNSE_INSF_IfEEEESM_EEEEEPS7_SP_SP_NSC_11hip_rocprim7__merge17predicate_wrapperIffNSC_7greaterIfEEEEEE10hipError_tPvRmT0_T1_T2_T3_T4_T5_mmT6_P12ihipStream_tbEUlT_E_NS1_11comp_targetILNS1_3genE2ELNS1_11target_archE906ELNS1_3gpuE6ELNS1_3repE0EEENS1_30default_config_static_selectorELNS0_4arch9wavefront6targetE0EEEvS10_
		.amdhsa_group_segment_fixed_size 0
		.amdhsa_private_segment_fixed_size 0
		.amdhsa_kernarg_size 64
		.amdhsa_user_sgpr_count 2
		.amdhsa_user_sgpr_dispatch_ptr 0
		.amdhsa_user_sgpr_queue_ptr 0
		.amdhsa_user_sgpr_kernarg_segment_ptr 1
		.amdhsa_user_sgpr_dispatch_id 0
		.amdhsa_user_sgpr_kernarg_preload_length 0
		.amdhsa_user_sgpr_kernarg_preload_offset 0
		.amdhsa_user_sgpr_private_segment_size 0
		.amdhsa_wavefront_size32 1
		.amdhsa_uses_dynamic_stack 0
		.amdhsa_enable_private_segment 0
		.amdhsa_system_sgpr_workgroup_id_x 1
		.amdhsa_system_sgpr_workgroup_id_y 0
		.amdhsa_system_sgpr_workgroup_id_z 0
		.amdhsa_system_sgpr_workgroup_info 0
		.amdhsa_system_vgpr_workitem_id 0
		.amdhsa_next_free_vgpr 1
		.amdhsa_next_free_sgpr 1
		.amdhsa_named_barrier_count 0
		.amdhsa_reserve_vcc 0
		.amdhsa_float_round_mode_32 0
		.amdhsa_float_round_mode_16_64 0
		.amdhsa_float_denorm_mode_32 3
		.amdhsa_float_denorm_mode_16_64 3
		.amdhsa_fp16_overflow 0
		.amdhsa_memory_ordered 1
		.amdhsa_forward_progress 1
		.amdhsa_inst_pref_size 0
		.amdhsa_round_robin_scheduling 0
		.amdhsa_exception_fp_ieee_invalid_op 0
		.amdhsa_exception_fp_denorm_src 0
		.amdhsa_exception_fp_ieee_div_zero 0
		.amdhsa_exception_fp_ieee_overflow 0
		.amdhsa_exception_fp_ieee_underflow 0
		.amdhsa_exception_fp_ieee_inexact 0
		.amdhsa_exception_int_div_zero 0
	.end_amdhsa_kernel
	.section	.text._ZN7rocprim17ROCPRIM_400000_NS6detail17trampoline_kernelINS0_14default_configENS1_21merge_config_selectorINS0_5tupleIJffEEENS0_10empty_typeEEEZNS1_10merge_implIS3_NS0_12zip_iteratorINS5_IJN6thrust23THRUST_200600_302600_NS6detail15normal_iteratorINSC_10device_ptrIKfEEEESI_EEEEESK_NSA_INS5_IJNSE_INSF_IfEEEESM_EEEEEPS7_SP_SP_NSC_11hip_rocprim7__merge17predicate_wrapperIffNSC_7greaterIfEEEEEE10hipError_tPvRmT0_T1_T2_T3_T4_T5_mmT6_P12ihipStream_tbEUlT_E_NS1_11comp_targetILNS1_3genE2ELNS1_11target_archE906ELNS1_3gpuE6ELNS1_3repE0EEENS1_30default_config_static_selectorELNS0_4arch9wavefront6targetE0EEEvS10_,"axG",@progbits,_ZN7rocprim17ROCPRIM_400000_NS6detail17trampoline_kernelINS0_14default_configENS1_21merge_config_selectorINS0_5tupleIJffEEENS0_10empty_typeEEEZNS1_10merge_implIS3_NS0_12zip_iteratorINS5_IJN6thrust23THRUST_200600_302600_NS6detail15normal_iteratorINSC_10device_ptrIKfEEEESI_EEEEESK_NSA_INS5_IJNSE_INSF_IfEEEESM_EEEEEPS7_SP_SP_NSC_11hip_rocprim7__merge17predicate_wrapperIffNSC_7greaterIfEEEEEE10hipError_tPvRmT0_T1_T2_T3_T4_T5_mmT6_P12ihipStream_tbEUlT_E_NS1_11comp_targetILNS1_3genE2ELNS1_11target_archE906ELNS1_3gpuE6ELNS1_3repE0EEENS1_30default_config_static_selectorELNS0_4arch9wavefront6targetE0EEEvS10_,comdat
.Lfunc_end339:
	.size	_ZN7rocprim17ROCPRIM_400000_NS6detail17trampoline_kernelINS0_14default_configENS1_21merge_config_selectorINS0_5tupleIJffEEENS0_10empty_typeEEEZNS1_10merge_implIS3_NS0_12zip_iteratorINS5_IJN6thrust23THRUST_200600_302600_NS6detail15normal_iteratorINSC_10device_ptrIKfEEEESI_EEEEESK_NSA_INS5_IJNSE_INSF_IfEEEESM_EEEEEPS7_SP_SP_NSC_11hip_rocprim7__merge17predicate_wrapperIffNSC_7greaterIfEEEEEE10hipError_tPvRmT0_T1_T2_T3_T4_T5_mmT6_P12ihipStream_tbEUlT_E_NS1_11comp_targetILNS1_3genE2ELNS1_11target_archE906ELNS1_3gpuE6ELNS1_3repE0EEENS1_30default_config_static_selectorELNS0_4arch9wavefront6targetE0EEEvS10_, .Lfunc_end339-_ZN7rocprim17ROCPRIM_400000_NS6detail17trampoline_kernelINS0_14default_configENS1_21merge_config_selectorINS0_5tupleIJffEEENS0_10empty_typeEEEZNS1_10merge_implIS3_NS0_12zip_iteratorINS5_IJN6thrust23THRUST_200600_302600_NS6detail15normal_iteratorINSC_10device_ptrIKfEEEESI_EEEEESK_NSA_INS5_IJNSE_INSF_IfEEEESM_EEEEEPS7_SP_SP_NSC_11hip_rocprim7__merge17predicate_wrapperIffNSC_7greaterIfEEEEEE10hipError_tPvRmT0_T1_T2_T3_T4_T5_mmT6_P12ihipStream_tbEUlT_E_NS1_11comp_targetILNS1_3genE2ELNS1_11target_archE906ELNS1_3gpuE6ELNS1_3repE0EEENS1_30default_config_static_selectorELNS0_4arch9wavefront6targetE0EEEvS10_
                                        ; -- End function
	.set _ZN7rocprim17ROCPRIM_400000_NS6detail17trampoline_kernelINS0_14default_configENS1_21merge_config_selectorINS0_5tupleIJffEEENS0_10empty_typeEEEZNS1_10merge_implIS3_NS0_12zip_iteratorINS5_IJN6thrust23THRUST_200600_302600_NS6detail15normal_iteratorINSC_10device_ptrIKfEEEESI_EEEEESK_NSA_INS5_IJNSE_INSF_IfEEEESM_EEEEEPS7_SP_SP_NSC_11hip_rocprim7__merge17predicate_wrapperIffNSC_7greaterIfEEEEEE10hipError_tPvRmT0_T1_T2_T3_T4_T5_mmT6_P12ihipStream_tbEUlT_E_NS1_11comp_targetILNS1_3genE2ELNS1_11target_archE906ELNS1_3gpuE6ELNS1_3repE0EEENS1_30default_config_static_selectorELNS0_4arch9wavefront6targetE0EEEvS10_.num_vgpr, 0
	.set _ZN7rocprim17ROCPRIM_400000_NS6detail17trampoline_kernelINS0_14default_configENS1_21merge_config_selectorINS0_5tupleIJffEEENS0_10empty_typeEEEZNS1_10merge_implIS3_NS0_12zip_iteratorINS5_IJN6thrust23THRUST_200600_302600_NS6detail15normal_iteratorINSC_10device_ptrIKfEEEESI_EEEEESK_NSA_INS5_IJNSE_INSF_IfEEEESM_EEEEEPS7_SP_SP_NSC_11hip_rocprim7__merge17predicate_wrapperIffNSC_7greaterIfEEEEEE10hipError_tPvRmT0_T1_T2_T3_T4_T5_mmT6_P12ihipStream_tbEUlT_E_NS1_11comp_targetILNS1_3genE2ELNS1_11target_archE906ELNS1_3gpuE6ELNS1_3repE0EEENS1_30default_config_static_selectorELNS0_4arch9wavefront6targetE0EEEvS10_.num_agpr, 0
	.set _ZN7rocprim17ROCPRIM_400000_NS6detail17trampoline_kernelINS0_14default_configENS1_21merge_config_selectorINS0_5tupleIJffEEENS0_10empty_typeEEEZNS1_10merge_implIS3_NS0_12zip_iteratorINS5_IJN6thrust23THRUST_200600_302600_NS6detail15normal_iteratorINSC_10device_ptrIKfEEEESI_EEEEESK_NSA_INS5_IJNSE_INSF_IfEEEESM_EEEEEPS7_SP_SP_NSC_11hip_rocprim7__merge17predicate_wrapperIffNSC_7greaterIfEEEEEE10hipError_tPvRmT0_T1_T2_T3_T4_T5_mmT6_P12ihipStream_tbEUlT_E_NS1_11comp_targetILNS1_3genE2ELNS1_11target_archE906ELNS1_3gpuE6ELNS1_3repE0EEENS1_30default_config_static_selectorELNS0_4arch9wavefront6targetE0EEEvS10_.numbered_sgpr, 0
	.set _ZN7rocprim17ROCPRIM_400000_NS6detail17trampoline_kernelINS0_14default_configENS1_21merge_config_selectorINS0_5tupleIJffEEENS0_10empty_typeEEEZNS1_10merge_implIS3_NS0_12zip_iteratorINS5_IJN6thrust23THRUST_200600_302600_NS6detail15normal_iteratorINSC_10device_ptrIKfEEEESI_EEEEESK_NSA_INS5_IJNSE_INSF_IfEEEESM_EEEEEPS7_SP_SP_NSC_11hip_rocprim7__merge17predicate_wrapperIffNSC_7greaterIfEEEEEE10hipError_tPvRmT0_T1_T2_T3_T4_T5_mmT6_P12ihipStream_tbEUlT_E_NS1_11comp_targetILNS1_3genE2ELNS1_11target_archE906ELNS1_3gpuE6ELNS1_3repE0EEENS1_30default_config_static_selectorELNS0_4arch9wavefront6targetE0EEEvS10_.num_named_barrier, 0
	.set _ZN7rocprim17ROCPRIM_400000_NS6detail17trampoline_kernelINS0_14default_configENS1_21merge_config_selectorINS0_5tupleIJffEEENS0_10empty_typeEEEZNS1_10merge_implIS3_NS0_12zip_iteratorINS5_IJN6thrust23THRUST_200600_302600_NS6detail15normal_iteratorINSC_10device_ptrIKfEEEESI_EEEEESK_NSA_INS5_IJNSE_INSF_IfEEEESM_EEEEEPS7_SP_SP_NSC_11hip_rocprim7__merge17predicate_wrapperIffNSC_7greaterIfEEEEEE10hipError_tPvRmT0_T1_T2_T3_T4_T5_mmT6_P12ihipStream_tbEUlT_E_NS1_11comp_targetILNS1_3genE2ELNS1_11target_archE906ELNS1_3gpuE6ELNS1_3repE0EEENS1_30default_config_static_selectorELNS0_4arch9wavefront6targetE0EEEvS10_.private_seg_size, 0
	.set _ZN7rocprim17ROCPRIM_400000_NS6detail17trampoline_kernelINS0_14default_configENS1_21merge_config_selectorINS0_5tupleIJffEEENS0_10empty_typeEEEZNS1_10merge_implIS3_NS0_12zip_iteratorINS5_IJN6thrust23THRUST_200600_302600_NS6detail15normal_iteratorINSC_10device_ptrIKfEEEESI_EEEEESK_NSA_INS5_IJNSE_INSF_IfEEEESM_EEEEEPS7_SP_SP_NSC_11hip_rocprim7__merge17predicate_wrapperIffNSC_7greaterIfEEEEEE10hipError_tPvRmT0_T1_T2_T3_T4_T5_mmT6_P12ihipStream_tbEUlT_E_NS1_11comp_targetILNS1_3genE2ELNS1_11target_archE906ELNS1_3gpuE6ELNS1_3repE0EEENS1_30default_config_static_selectorELNS0_4arch9wavefront6targetE0EEEvS10_.uses_vcc, 0
	.set _ZN7rocprim17ROCPRIM_400000_NS6detail17trampoline_kernelINS0_14default_configENS1_21merge_config_selectorINS0_5tupleIJffEEENS0_10empty_typeEEEZNS1_10merge_implIS3_NS0_12zip_iteratorINS5_IJN6thrust23THRUST_200600_302600_NS6detail15normal_iteratorINSC_10device_ptrIKfEEEESI_EEEEESK_NSA_INS5_IJNSE_INSF_IfEEEESM_EEEEEPS7_SP_SP_NSC_11hip_rocprim7__merge17predicate_wrapperIffNSC_7greaterIfEEEEEE10hipError_tPvRmT0_T1_T2_T3_T4_T5_mmT6_P12ihipStream_tbEUlT_E_NS1_11comp_targetILNS1_3genE2ELNS1_11target_archE906ELNS1_3gpuE6ELNS1_3repE0EEENS1_30default_config_static_selectorELNS0_4arch9wavefront6targetE0EEEvS10_.uses_flat_scratch, 0
	.set _ZN7rocprim17ROCPRIM_400000_NS6detail17trampoline_kernelINS0_14default_configENS1_21merge_config_selectorINS0_5tupleIJffEEENS0_10empty_typeEEEZNS1_10merge_implIS3_NS0_12zip_iteratorINS5_IJN6thrust23THRUST_200600_302600_NS6detail15normal_iteratorINSC_10device_ptrIKfEEEESI_EEEEESK_NSA_INS5_IJNSE_INSF_IfEEEESM_EEEEEPS7_SP_SP_NSC_11hip_rocprim7__merge17predicate_wrapperIffNSC_7greaterIfEEEEEE10hipError_tPvRmT0_T1_T2_T3_T4_T5_mmT6_P12ihipStream_tbEUlT_E_NS1_11comp_targetILNS1_3genE2ELNS1_11target_archE906ELNS1_3gpuE6ELNS1_3repE0EEENS1_30default_config_static_selectorELNS0_4arch9wavefront6targetE0EEEvS10_.has_dyn_sized_stack, 0
	.set _ZN7rocprim17ROCPRIM_400000_NS6detail17trampoline_kernelINS0_14default_configENS1_21merge_config_selectorINS0_5tupleIJffEEENS0_10empty_typeEEEZNS1_10merge_implIS3_NS0_12zip_iteratorINS5_IJN6thrust23THRUST_200600_302600_NS6detail15normal_iteratorINSC_10device_ptrIKfEEEESI_EEEEESK_NSA_INS5_IJNSE_INSF_IfEEEESM_EEEEEPS7_SP_SP_NSC_11hip_rocprim7__merge17predicate_wrapperIffNSC_7greaterIfEEEEEE10hipError_tPvRmT0_T1_T2_T3_T4_T5_mmT6_P12ihipStream_tbEUlT_E_NS1_11comp_targetILNS1_3genE2ELNS1_11target_archE906ELNS1_3gpuE6ELNS1_3repE0EEENS1_30default_config_static_selectorELNS0_4arch9wavefront6targetE0EEEvS10_.has_recursion, 0
	.set _ZN7rocprim17ROCPRIM_400000_NS6detail17trampoline_kernelINS0_14default_configENS1_21merge_config_selectorINS0_5tupleIJffEEENS0_10empty_typeEEEZNS1_10merge_implIS3_NS0_12zip_iteratorINS5_IJN6thrust23THRUST_200600_302600_NS6detail15normal_iteratorINSC_10device_ptrIKfEEEESI_EEEEESK_NSA_INS5_IJNSE_INSF_IfEEEESM_EEEEEPS7_SP_SP_NSC_11hip_rocprim7__merge17predicate_wrapperIffNSC_7greaterIfEEEEEE10hipError_tPvRmT0_T1_T2_T3_T4_T5_mmT6_P12ihipStream_tbEUlT_E_NS1_11comp_targetILNS1_3genE2ELNS1_11target_archE906ELNS1_3gpuE6ELNS1_3repE0EEENS1_30default_config_static_selectorELNS0_4arch9wavefront6targetE0EEEvS10_.has_indirect_call, 0
	.section	.AMDGPU.csdata,"",@progbits
; Kernel info:
; codeLenInByte = 0
; TotalNumSgprs: 0
; NumVgprs: 0
; ScratchSize: 0
; MemoryBound: 0
; FloatMode: 240
; IeeeMode: 1
; LDSByteSize: 0 bytes/workgroup (compile time only)
; SGPRBlocks: 0
; VGPRBlocks: 0
; NumSGPRsForWavesPerEU: 1
; NumVGPRsForWavesPerEU: 1
; NamedBarCnt: 0
; Occupancy: 16
; WaveLimiterHint : 0
; COMPUTE_PGM_RSRC2:SCRATCH_EN: 0
; COMPUTE_PGM_RSRC2:USER_SGPR: 2
; COMPUTE_PGM_RSRC2:TRAP_HANDLER: 0
; COMPUTE_PGM_RSRC2:TGID_X_EN: 1
; COMPUTE_PGM_RSRC2:TGID_Y_EN: 0
; COMPUTE_PGM_RSRC2:TGID_Z_EN: 0
; COMPUTE_PGM_RSRC2:TIDIG_COMP_CNT: 0
	.section	.text._ZN7rocprim17ROCPRIM_400000_NS6detail17trampoline_kernelINS0_14default_configENS1_21merge_config_selectorINS0_5tupleIJffEEENS0_10empty_typeEEEZNS1_10merge_implIS3_NS0_12zip_iteratorINS5_IJN6thrust23THRUST_200600_302600_NS6detail15normal_iteratorINSC_10device_ptrIKfEEEESI_EEEEESK_NSA_INS5_IJNSE_INSF_IfEEEESM_EEEEEPS7_SP_SP_NSC_11hip_rocprim7__merge17predicate_wrapperIffNSC_7greaterIfEEEEEE10hipError_tPvRmT0_T1_T2_T3_T4_T5_mmT6_P12ihipStream_tbEUlT_E_NS1_11comp_targetILNS1_3genE10ELNS1_11target_archE1201ELNS1_3gpuE5ELNS1_3repE0EEENS1_30default_config_static_selectorELNS0_4arch9wavefront6targetE0EEEvS10_,"axG",@progbits,_ZN7rocprim17ROCPRIM_400000_NS6detail17trampoline_kernelINS0_14default_configENS1_21merge_config_selectorINS0_5tupleIJffEEENS0_10empty_typeEEEZNS1_10merge_implIS3_NS0_12zip_iteratorINS5_IJN6thrust23THRUST_200600_302600_NS6detail15normal_iteratorINSC_10device_ptrIKfEEEESI_EEEEESK_NSA_INS5_IJNSE_INSF_IfEEEESM_EEEEEPS7_SP_SP_NSC_11hip_rocprim7__merge17predicate_wrapperIffNSC_7greaterIfEEEEEE10hipError_tPvRmT0_T1_T2_T3_T4_T5_mmT6_P12ihipStream_tbEUlT_E_NS1_11comp_targetILNS1_3genE10ELNS1_11target_archE1201ELNS1_3gpuE5ELNS1_3repE0EEENS1_30default_config_static_selectorELNS0_4arch9wavefront6targetE0EEEvS10_,comdat
	.protected	_ZN7rocprim17ROCPRIM_400000_NS6detail17trampoline_kernelINS0_14default_configENS1_21merge_config_selectorINS0_5tupleIJffEEENS0_10empty_typeEEEZNS1_10merge_implIS3_NS0_12zip_iteratorINS5_IJN6thrust23THRUST_200600_302600_NS6detail15normal_iteratorINSC_10device_ptrIKfEEEESI_EEEEESK_NSA_INS5_IJNSE_INSF_IfEEEESM_EEEEEPS7_SP_SP_NSC_11hip_rocprim7__merge17predicate_wrapperIffNSC_7greaterIfEEEEEE10hipError_tPvRmT0_T1_T2_T3_T4_T5_mmT6_P12ihipStream_tbEUlT_E_NS1_11comp_targetILNS1_3genE10ELNS1_11target_archE1201ELNS1_3gpuE5ELNS1_3repE0EEENS1_30default_config_static_selectorELNS0_4arch9wavefront6targetE0EEEvS10_ ; -- Begin function _ZN7rocprim17ROCPRIM_400000_NS6detail17trampoline_kernelINS0_14default_configENS1_21merge_config_selectorINS0_5tupleIJffEEENS0_10empty_typeEEEZNS1_10merge_implIS3_NS0_12zip_iteratorINS5_IJN6thrust23THRUST_200600_302600_NS6detail15normal_iteratorINSC_10device_ptrIKfEEEESI_EEEEESK_NSA_INS5_IJNSE_INSF_IfEEEESM_EEEEEPS7_SP_SP_NSC_11hip_rocprim7__merge17predicate_wrapperIffNSC_7greaterIfEEEEEE10hipError_tPvRmT0_T1_T2_T3_T4_T5_mmT6_P12ihipStream_tbEUlT_E_NS1_11comp_targetILNS1_3genE10ELNS1_11target_archE1201ELNS1_3gpuE5ELNS1_3repE0EEENS1_30default_config_static_selectorELNS0_4arch9wavefront6targetE0EEEvS10_
	.globl	_ZN7rocprim17ROCPRIM_400000_NS6detail17trampoline_kernelINS0_14default_configENS1_21merge_config_selectorINS0_5tupleIJffEEENS0_10empty_typeEEEZNS1_10merge_implIS3_NS0_12zip_iteratorINS5_IJN6thrust23THRUST_200600_302600_NS6detail15normal_iteratorINSC_10device_ptrIKfEEEESI_EEEEESK_NSA_INS5_IJNSE_INSF_IfEEEESM_EEEEEPS7_SP_SP_NSC_11hip_rocprim7__merge17predicate_wrapperIffNSC_7greaterIfEEEEEE10hipError_tPvRmT0_T1_T2_T3_T4_T5_mmT6_P12ihipStream_tbEUlT_E_NS1_11comp_targetILNS1_3genE10ELNS1_11target_archE1201ELNS1_3gpuE5ELNS1_3repE0EEENS1_30default_config_static_selectorELNS0_4arch9wavefront6targetE0EEEvS10_
	.p2align	8
	.type	_ZN7rocprim17ROCPRIM_400000_NS6detail17trampoline_kernelINS0_14default_configENS1_21merge_config_selectorINS0_5tupleIJffEEENS0_10empty_typeEEEZNS1_10merge_implIS3_NS0_12zip_iteratorINS5_IJN6thrust23THRUST_200600_302600_NS6detail15normal_iteratorINSC_10device_ptrIKfEEEESI_EEEEESK_NSA_INS5_IJNSE_INSF_IfEEEESM_EEEEEPS7_SP_SP_NSC_11hip_rocprim7__merge17predicate_wrapperIffNSC_7greaterIfEEEEEE10hipError_tPvRmT0_T1_T2_T3_T4_T5_mmT6_P12ihipStream_tbEUlT_E_NS1_11comp_targetILNS1_3genE10ELNS1_11target_archE1201ELNS1_3gpuE5ELNS1_3repE0EEENS1_30default_config_static_selectorELNS0_4arch9wavefront6targetE0EEEvS10_,@function
_ZN7rocprim17ROCPRIM_400000_NS6detail17trampoline_kernelINS0_14default_configENS1_21merge_config_selectorINS0_5tupleIJffEEENS0_10empty_typeEEEZNS1_10merge_implIS3_NS0_12zip_iteratorINS5_IJN6thrust23THRUST_200600_302600_NS6detail15normal_iteratorINSC_10device_ptrIKfEEEESI_EEEEESK_NSA_INS5_IJNSE_INSF_IfEEEESM_EEEEEPS7_SP_SP_NSC_11hip_rocprim7__merge17predicate_wrapperIffNSC_7greaterIfEEEEEE10hipError_tPvRmT0_T1_T2_T3_T4_T5_mmT6_P12ihipStream_tbEUlT_E_NS1_11comp_targetILNS1_3genE10ELNS1_11target_archE1201ELNS1_3gpuE5ELNS1_3repE0EEENS1_30default_config_static_selectorELNS0_4arch9wavefront6targetE0EEEvS10_: ; @_ZN7rocprim17ROCPRIM_400000_NS6detail17trampoline_kernelINS0_14default_configENS1_21merge_config_selectorINS0_5tupleIJffEEENS0_10empty_typeEEEZNS1_10merge_implIS3_NS0_12zip_iteratorINS5_IJN6thrust23THRUST_200600_302600_NS6detail15normal_iteratorINSC_10device_ptrIKfEEEESI_EEEEESK_NSA_INS5_IJNSE_INSF_IfEEEESM_EEEEEPS7_SP_SP_NSC_11hip_rocprim7__merge17predicate_wrapperIffNSC_7greaterIfEEEEEE10hipError_tPvRmT0_T1_T2_T3_T4_T5_mmT6_P12ihipStream_tbEUlT_E_NS1_11comp_targetILNS1_3genE10ELNS1_11target_archE1201ELNS1_3gpuE5ELNS1_3repE0EEENS1_30default_config_static_selectorELNS0_4arch9wavefront6targetE0EEEvS10_
; %bb.0:
	.section	.rodata,"a",@progbits
	.p2align	6, 0x0
	.amdhsa_kernel _ZN7rocprim17ROCPRIM_400000_NS6detail17trampoline_kernelINS0_14default_configENS1_21merge_config_selectorINS0_5tupleIJffEEENS0_10empty_typeEEEZNS1_10merge_implIS3_NS0_12zip_iteratorINS5_IJN6thrust23THRUST_200600_302600_NS6detail15normal_iteratorINSC_10device_ptrIKfEEEESI_EEEEESK_NSA_INS5_IJNSE_INSF_IfEEEESM_EEEEEPS7_SP_SP_NSC_11hip_rocprim7__merge17predicate_wrapperIffNSC_7greaterIfEEEEEE10hipError_tPvRmT0_T1_T2_T3_T4_T5_mmT6_P12ihipStream_tbEUlT_E_NS1_11comp_targetILNS1_3genE10ELNS1_11target_archE1201ELNS1_3gpuE5ELNS1_3repE0EEENS1_30default_config_static_selectorELNS0_4arch9wavefront6targetE0EEEvS10_
		.amdhsa_group_segment_fixed_size 0
		.amdhsa_private_segment_fixed_size 0
		.amdhsa_kernarg_size 64
		.amdhsa_user_sgpr_count 2
		.amdhsa_user_sgpr_dispatch_ptr 0
		.amdhsa_user_sgpr_queue_ptr 0
		.amdhsa_user_sgpr_kernarg_segment_ptr 1
		.amdhsa_user_sgpr_dispatch_id 0
		.amdhsa_user_sgpr_kernarg_preload_length 0
		.amdhsa_user_sgpr_kernarg_preload_offset 0
		.amdhsa_user_sgpr_private_segment_size 0
		.amdhsa_wavefront_size32 1
		.amdhsa_uses_dynamic_stack 0
		.amdhsa_enable_private_segment 0
		.amdhsa_system_sgpr_workgroup_id_x 1
		.amdhsa_system_sgpr_workgroup_id_y 0
		.amdhsa_system_sgpr_workgroup_id_z 0
		.amdhsa_system_sgpr_workgroup_info 0
		.amdhsa_system_vgpr_workitem_id 0
		.amdhsa_next_free_vgpr 1
		.amdhsa_next_free_sgpr 1
		.amdhsa_named_barrier_count 0
		.amdhsa_reserve_vcc 0
		.amdhsa_float_round_mode_32 0
		.amdhsa_float_round_mode_16_64 0
		.amdhsa_float_denorm_mode_32 3
		.amdhsa_float_denorm_mode_16_64 3
		.amdhsa_fp16_overflow 0
		.amdhsa_memory_ordered 1
		.amdhsa_forward_progress 1
		.amdhsa_inst_pref_size 0
		.amdhsa_round_robin_scheduling 0
		.amdhsa_exception_fp_ieee_invalid_op 0
		.amdhsa_exception_fp_denorm_src 0
		.amdhsa_exception_fp_ieee_div_zero 0
		.amdhsa_exception_fp_ieee_overflow 0
		.amdhsa_exception_fp_ieee_underflow 0
		.amdhsa_exception_fp_ieee_inexact 0
		.amdhsa_exception_int_div_zero 0
	.end_amdhsa_kernel
	.section	.text._ZN7rocprim17ROCPRIM_400000_NS6detail17trampoline_kernelINS0_14default_configENS1_21merge_config_selectorINS0_5tupleIJffEEENS0_10empty_typeEEEZNS1_10merge_implIS3_NS0_12zip_iteratorINS5_IJN6thrust23THRUST_200600_302600_NS6detail15normal_iteratorINSC_10device_ptrIKfEEEESI_EEEEESK_NSA_INS5_IJNSE_INSF_IfEEEESM_EEEEEPS7_SP_SP_NSC_11hip_rocprim7__merge17predicate_wrapperIffNSC_7greaterIfEEEEEE10hipError_tPvRmT0_T1_T2_T3_T4_T5_mmT6_P12ihipStream_tbEUlT_E_NS1_11comp_targetILNS1_3genE10ELNS1_11target_archE1201ELNS1_3gpuE5ELNS1_3repE0EEENS1_30default_config_static_selectorELNS0_4arch9wavefront6targetE0EEEvS10_,"axG",@progbits,_ZN7rocprim17ROCPRIM_400000_NS6detail17trampoline_kernelINS0_14default_configENS1_21merge_config_selectorINS0_5tupleIJffEEENS0_10empty_typeEEEZNS1_10merge_implIS3_NS0_12zip_iteratorINS5_IJN6thrust23THRUST_200600_302600_NS6detail15normal_iteratorINSC_10device_ptrIKfEEEESI_EEEEESK_NSA_INS5_IJNSE_INSF_IfEEEESM_EEEEEPS7_SP_SP_NSC_11hip_rocprim7__merge17predicate_wrapperIffNSC_7greaterIfEEEEEE10hipError_tPvRmT0_T1_T2_T3_T4_T5_mmT6_P12ihipStream_tbEUlT_E_NS1_11comp_targetILNS1_3genE10ELNS1_11target_archE1201ELNS1_3gpuE5ELNS1_3repE0EEENS1_30default_config_static_selectorELNS0_4arch9wavefront6targetE0EEEvS10_,comdat
.Lfunc_end340:
	.size	_ZN7rocprim17ROCPRIM_400000_NS6detail17trampoline_kernelINS0_14default_configENS1_21merge_config_selectorINS0_5tupleIJffEEENS0_10empty_typeEEEZNS1_10merge_implIS3_NS0_12zip_iteratorINS5_IJN6thrust23THRUST_200600_302600_NS6detail15normal_iteratorINSC_10device_ptrIKfEEEESI_EEEEESK_NSA_INS5_IJNSE_INSF_IfEEEESM_EEEEEPS7_SP_SP_NSC_11hip_rocprim7__merge17predicate_wrapperIffNSC_7greaterIfEEEEEE10hipError_tPvRmT0_T1_T2_T3_T4_T5_mmT6_P12ihipStream_tbEUlT_E_NS1_11comp_targetILNS1_3genE10ELNS1_11target_archE1201ELNS1_3gpuE5ELNS1_3repE0EEENS1_30default_config_static_selectorELNS0_4arch9wavefront6targetE0EEEvS10_, .Lfunc_end340-_ZN7rocprim17ROCPRIM_400000_NS6detail17trampoline_kernelINS0_14default_configENS1_21merge_config_selectorINS0_5tupleIJffEEENS0_10empty_typeEEEZNS1_10merge_implIS3_NS0_12zip_iteratorINS5_IJN6thrust23THRUST_200600_302600_NS6detail15normal_iteratorINSC_10device_ptrIKfEEEESI_EEEEESK_NSA_INS5_IJNSE_INSF_IfEEEESM_EEEEEPS7_SP_SP_NSC_11hip_rocprim7__merge17predicate_wrapperIffNSC_7greaterIfEEEEEE10hipError_tPvRmT0_T1_T2_T3_T4_T5_mmT6_P12ihipStream_tbEUlT_E_NS1_11comp_targetILNS1_3genE10ELNS1_11target_archE1201ELNS1_3gpuE5ELNS1_3repE0EEENS1_30default_config_static_selectorELNS0_4arch9wavefront6targetE0EEEvS10_
                                        ; -- End function
	.set _ZN7rocprim17ROCPRIM_400000_NS6detail17trampoline_kernelINS0_14default_configENS1_21merge_config_selectorINS0_5tupleIJffEEENS0_10empty_typeEEEZNS1_10merge_implIS3_NS0_12zip_iteratorINS5_IJN6thrust23THRUST_200600_302600_NS6detail15normal_iteratorINSC_10device_ptrIKfEEEESI_EEEEESK_NSA_INS5_IJNSE_INSF_IfEEEESM_EEEEEPS7_SP_SP_NSC_11hip_rocprim7__merge17predicate_wrapperIffNSC_7greaterIfEEEEEE10hipError_tPvRmT0_T1_T2_T3_T4_T5_mmT6_P12ihipStream_tbEUlT_E_NS1_11comp_targetILNS1_3genE10ELNS1_11target_archE1201ELNS1_3gpuE5ELNS1_3repE0EEENS1_30default_config_static_selectorELNS0_4arch9wavefront6targetE0EEEvS10_.num_vgpr, 0
	.set _ZN7rocprim17ROCPRIM_400000_NS6detail17trampoline_kernelINS0_14default_configENS1_21merge_config_selectorINS0_5tupleIJffEEENS0_10empty_typeEEEZNS1_10merge_implIS3_NS0_12zip_iteratorINS5_IJN6thrust23THRUST_200600_302600_NS6detail15normal_iteratorINSC_10device_ptrIKfEEEESI_EEEEESK_NSA_INS5_IJNSE_INSF_IfEEEESM_EEEEEPS7_SP_SP_NSC_11hip_rocprim7__merge17predicate_wrapperIffNSC_7greaterIfEEEEEE10hipError_tPvRmT0_T1_T2_T3_T4_T5_mmT6_P12ihipStream_tbEUlT_E_NS1_11comp_targetILNS1_3genE10ELNS1_11target_archE1201ELNS1_3gpuE5ELNS1_3repE0EEENS1_30default_config_static_selectorELNS0_4arch9wavefront6targetE0EEEvS10_.num_agpr, 0
	.set _ZN7rocprim17ROCPRIM_400000_NS6detail17trampoline_kernelINS0_14default_configENS1_21merge_config_selectorINS0_5tupleIJffEEENS0_10empty_typeEEEZNS1_10merge_implIS3_NS0_12zip_iteratorINS5_IJN6thrust23THRUST_200600_302600_NS6detail15normal_iteratorINSC_10device_ptrIKfEEEESI_EEEEESK_NSA_INS5_IJNSE_INSF_IfEEEESM_EEEEEPS7_SP_SP_NSC_11hip_rocprim7__merge17predicate_wrapperIffNSC_7greaterIfEEEEEE10hipError_tPvRmT0_T1_T2_T3_T4_T5_mmT6_P12ihipStream_tbEUlT_E_NS1_11comp_targetILNS1_3genE10ELNS1_11target_archE1201ELNS1_3gpuE5ELNS1_3repE0EEENS1_30default_config_static_selectorELNS0_4arch9wavefront6targetE0EEEvS10_.numbered_sgpr, 0
	.set _ZN7rocprim17ROCPRIM_400000_NS6detail17trampoline_kernelINS0_14default_configENS1_21merge_config_selectorINS0_5tupleIJffEEENS0_10empty_typeEEEZNS1_10merge_implIS3_NS0_12zip_iteratorINS5_IJN6thrust23THRUST_200600_302600_NS6detail15normal_iteratorINSC_10device_ptrIKfEEEESI_EEEEESK_NSA_INS5_IJNSE_INSF_IfEEEESM_EEEEEPS7_SP_SP_NSC_11hip_rocprim7__merge17predicate_wrapperIffNSC_7greaterIfEEEEEE10hipError_tPvRmT0_T1_T2_T3_T4_T5_mmT6_P12ihipStream_tbEUlT_E_NS1_11comp_targetILNS1_3genE10ELNS1_11target_archE1201ELNS1_3gpuE5ELNS1_3repE0EEENS1_30default_config_static_selectorELNS0_4arch9wavefront6targetE0EEEvS10_.num_named_barrier, 0
	.set _ZN7rocprim17ROCPRIM_400000_NS6detail17trampoline_kernelINS0_14default_configENS1_21merge_config_selectorINS0_5tupleIJffEEENS0_10empty_typeEEEZNS1_10merge_implIS3_NS0_12zip_iteratorINS5_IJN6thrust23THRUST_200600_302600_NS6detail15normal_iteratorINSC_10device_ptrIKfEEEESI_EEEEESK_NSA_INS5_IJNSE_INSF_IfEEEESM_EEEEEPS7_SP_SP_NSC_11hip_rocprim7__merge17predicate_wrapperIffNSC_7greaterIfEEEEEE10hipError_tPvRmT0_T1_T2_T3_T4_T5_mmT6_P12ihipStream_tbEUlT_E_NS1_11comp_targetILNS1_3genE10ELNS1_11target_archE1201ELNS1_3gpuE5ELNS1_3repE0EEENS1_30default_config_static_selectorELNS0_4arch9wavefront6targetE0EEEvS10_.private_seg_size, 0
	.set _ZN7rocprim17ROCPRIM_400000_NS6detail17trampoline_kernelINS0_14default_configENS1_21merge_config_selectorINS0_5tupleIJffEEENS0_10empty_typeEEEZNS1_10merge_implIS3_NS0_12zip_iteratorINS5_IJN6thrust23THRUST_200600_302600_NS6detail15normal_iteratorINSC_10device_ptrIKfEEEESI_EEEEESK_NSA_INS5_IJNSE_INSF_IfEEEESM_EEEEEPS7_SP_SP_NSC_11hip_rocprim7__merge17predicate_wrapperIffNSC_7greaterIfEEEEEE10hipError_tPvRmT0_T1_T2_T3_T4_T5_mmT6_P12ihipStream_tbEUlT_E_NS1_11comp_targetILNS1_3genE10ELNS1_11target_archE1201ELNS1_3gpuE5ELNS1_3repE0EEENS1_30default_config_static_selectorELNS0_4arch9wavefront6targetE0EEEvS10_.uses_vcc, 0
	.set _ZN7rocprim17ROCPRIM_400000_NS6detail17trampoline_kernelINS0_14default_configENS1_21merge_config_selectorINS0_5tupleIJffEEENS0_10empty_typeEEEZNS1_10merge_implIS3_NS0_12zip_iteratorINS5_IJN6thrust23THRUST_200600_302600_NS6detail15normal_iteratorINSC_10device_ptrIKfEEEESI_EEEEESK_NSA_INS5_IJNSE_INSF_IfEEEESM_EEEEEPS7_SP_SP_NSC_11hip_rocprim7__merge17predicate_wrapperIffNSC_7greaterIfEEEEEE10hipError_tPvRmT0_T1_T2_T3_T4_T5_mmT6_P12ihipStream_tbEUlT_E_NS1_11comp_targetILNS1_3genE10ELNS1_11target_archE1201ELNS1_3gpuE5ELNS1_3repE0EEENS1_30default_config_static_selectorELNS0_4arch9wavefront6targetE0EEEvS10_.uses_flat_scratch, 0
	.set _ZN7rocprim17ROCPRIM_400000_NS6detail17trampoline_kernelINS0_14default_configENS1_21merge_config_selectorINS0_5tupleIJffEEENS0_10empty_typeEEEZNS1_10merge_implIS3_NS0_12zip_iteratorINS5_IJN6thrust23THRUST_200600_302600_NS6detail15normal_iteratorINSC_10device_ptrIKfEEEESI_EEEEESK_NSA_INS5_IJNSE_INSF_IfEEEESM_EEEEEPS7_SP_SP_NSC_11hip_rocprim7__merge17predicate_wrapperIffNSC_7greaterIfEEEEEE10hipError_tPvRmT0_T1_T2_T3_T4_T5_mmT6_P12ihipStream_tbEUlT_E_NS1_11comp_targetILNS1_3genE10ELNS1_11target_archE1201ELNS1_3gpuE5ELNS1_3repE0EEENS1_30default_config_static_selectorELNS0_4arch9wavefront6targetE0EEEvS10_.has_dyn_sized_stack, 0
	.set _ZN7rocprim17ROCPRIM_400000_NS6detail17trampoline_kernelINS0_14default_configENS1_21merge_config_selectorINS0_5tupleIJffEEENS0_10empty_typeEEEZNS1_10merge_implIS3_NS0_12zip_iteratorINS5_IJN6thrust23THRUST_200600_302600_NS6detail15normal_iteratorINSC_10device_ptrIKfEEEESI_EEEEESK_NSA_INS5_IJNSE_INSF_IfEEEESM_EEEEEPS7_SP_SP_NSC_11hip_rocprim7__merge17predicate_wrapperIffNSC_7greaterIfEEEEEE10hipError_tPvRmT0_T1_T2_T3_T4_T5_mmT6_P12ihipStream_tbEUlT_E_NS1_11comp_targetILNS1_3genE10ELNS1_11target_archE1201ELNS1_3gpuE5ELNS1_3repE0EEENS1_30default_config_static_selectorELNS0_4arch9wavefront6targetE0EEEvS10_.has_recursion, 0
	.set _ZN7rocprim17ROCPRIM_400000_NS6detail17trampoline_kernelINS0_14default_configENS1_21merge_config_selectorINS0_5tupleIJffEEENS0_10empty_typeEEEZNS1_10merge_implIS3_NS0_12zip_iteratorINS5_IJN6thrust23THRUST_200600_302600_NS6detail15normal_iteratorINSC_10device_ptrIKfEEEESI_EEEEESK_NSA_INS5_IJNSE_INSF_IfEEEESM_EEEEEPS7_SP_SP_NSC_11hip_rocprim7__merge17predicate_wrapperIffNSC_7greaterIfEEEEEE10hipError_tPvRmT0_T1_T2_T3_T4_T5_mmT6_P12ihipStream_tbEUlT_E_NS1_11comp_targetILNS1_3genE10ELNS1_11target_archE1201ELNS1_3gpuE5ELNS1_3repE0EEENS1_30default_config_static_selectorELNS0_4arch9wavefront6targetE0EEEvS10_.has_indirect_call, 0
	.section	.AMDGPU.csdata,"",@progbits
; Kernel info:
; codeLenInByte = 0
; TotalNumSgprs: 0
; NumVgprs: 0
; ScratchSize: 0
; MemoryBound: 0
; FloatMode: 240
; IeeeMode: 1
; LDSByteSize: 0 bytes/workgroup (compile time only)
; SGPRBlocks: 0
; VGPRBlocks: 0
; NumSGPRsForWavesPerEU: 1
; NumVGPRsForWavesPerEU: 1
; NamedBarCnt: 0
; Occupancy: 16
; WaveLimiterHint : 0
; COMPUTE_PGM_RSRC2:SCRATCH_EN: 0
; COMPUTE_PGM_RSRC2:USER_SGPR: 2
; COMPUTE_PGM_RSRC2:TRAP_HANDLER: 0
; COMPUTE_PGM_RSRC2:TGID_X_EN: 1
; COMPUTE_PGM_RSRC2:TGID_Y_EN: 0
; COMPUTE_PGM_RSRC2:TGID_Z_EN: 0
; COMPUTE_PGM_RSRC2:TIDIG_COMP_CNT: 0
	.section	.text._ZN7rocprim17ROCPRIM_400000_NS6detail17trampoline_kernelINS0_14default_configENS1_21merge_config_selectorINS0_5tupleIJffEEENS0_10empty_typeEEEZNS1_10merge_implIS3_NS0_12zip_iteratorINS5_IJN6thrust23THRUST_200600_302600_NS6detail15normal_iteratorINSC_10device_ptrIKfEEEESI_EEEEESK_NSA_INS5_IJNSE_INSF_IfEEEESM_EEEEEPS7_SP_SP_NSC_11hip_rocprim7__merge17predicate_wrapperIffNSC_7greaterIfEEEEEE10hipError_tPvRmT0_T1_T2_T3_T4_T5_mmT6_P12ihipStream_tbEUlT_E_NS1_11comp_targetILNS1_3genE10ELNS1_11target_archE1200ELNS1_3gpuE4ELNS1_3repE0EEENS1_30default_config_static_selectorELNS0_4arch9wavefront6targetE0EEEvS10_,"axG",@progbits,_ZN7rocprim17ROCPRIM_400000_NS6detail17trampoline_kernelINS0_14default_configENS1_21merge_config_selectorINS0_5tupleIJffEEENS0_10empty_typeEEEZNS1_10merge_implIS3_NS0_12zip_iteratorINS5_IJN6thrust23THRUST_200600_302600_NS6detail15normal_iteratorINSC_10device_ptrIKfEEEESI_EEEEESK_NSA_INS5_IJNSE_INSF_IfEEEESM_EEEEEPS7_SP_SP_NSC_11hip_rocprim7__merge17predicate_wrapperIffNSC_7greaterIfEEEEEE10hipError_tPvRmT0_T1_T2_T3_T4_T5_mmT6_P12ihipStream_tbEUlT_E_NS1_11comp_targetILNS1_3genE10ELNS1_11target_archE1200ELNS1_3gpuE4ELNS1_3repE0EEENS1_30default_config_static_selectorELNS0_4arch9wavefront6targetE0EEEvS10_,comdat
	.protected	_ZN7rocprim17ROCPRIM_400000_NS6detail17trampoline_kernelINS0_14default_configENS1_21merge_config_selectorINS0_5tupleIJffEEENS0_10empty_typeEEEZNS1_10merge_implIS3_NS0_12zip_iteratorINS5_IJN6thrust23THRUST_200600_302600_NS6detail15normal_iteratorINSC_10device_ptrIKfEEEESI_EEEEESK_NSA_INS5_IJNSE_INSF_IfEEEESM_EEEEEPS7_SP_SP_NSC_11hip_rocprim7__merge17predicate_wrapperIffNSC_7greaterIfEEEEEE10hipError_tPvRmT0_T1_T2_T3_T4_T5_mmT6_P12ihipStream_tbEUlT_E_NS1_11comp_targetILNS1_3genE10ELNS1_11target_archE1200ELNS1_3gpuE4ELNS1_3repE0EEENS1_30default_config_static_selectorELNS0_4arch9wavefront6targetE0EEEvS10_ ; -- Begin function _ZN7rocprim17ROCPRIM_400000_NS6detail17trampoline_kernelINS0_14default_configENS1_21merge_config_selectorINS0_5tupleIJffEEENS0_10empty_typeEEEZNS1_10merge_implIS3_NS0_12zip_iteratorINS5_IJN6thrust23THRUST_200600_302600_NS6detail15normal_iteratorINSC_10device_ptrIKfEEEESI_EEEEESK_NSA_INS5_IJNSE_INSF_IfEEEESM_EEEEEPS7_SP_SP_NSC_11hip_rocprim7__merge17predicate_wrapperIffNSC_7greaterIfEEEEEE10hipError_tPvRmT0_T1_T2_T3_T4_T5_mmT6_P12ihipStream_tbEUlT_E_NS1_11comp_targetILNS1_3genE10ELNS1_11target_archE1200ELNS1_3gpuE4ELNS1_3repE0EEENS1_30default_config_static_selectorELNS0_4arch9wavefront6targetE0EEEvS10_
	.globl	_ZN7rocprim17ROCPRIM_400000_NS6detail17trampoline_kernelINS0_14default_configENS1_21merge_config_selectorINS0_5tupleIJffEEENS0_10empty_typeEEEZNS1_10merge_implIS3_NS0_12zip_iteratorINS5_IJN6thrust23THRUST_200600_302600_NS6detail15normal_iteratorINSC_10device_ptrIKfEEEESI_EEEEESK_NSA_INS5_IJNSE_INSF_IfEEEESM_EEEEEPS7_SP_SP_NSC_11hip_rocprim7__merge17predicate_wrapperIffNSC_7greaterIfEEEEEE10hipError_tPvRmT0_T1_T2_T3_T4_T5_mmT6_P12ihipStream_tbEUlT_E_NS1_11comp_targetILNS1_3genE10ELNS1_11target_archE1200ELNS1_3gpuE4ELNS1_3repE0EEENS1_30default_config_static_selectorELNS0_4arch9wavefront6targetE0EEEvS10_
	.p2align	8
	.type	_ZN7rocprim17ROCPRIM_400000_NS6detail17trampoline_kernelINS0_14default_configENS1_21merge_config_selectorINS0_5tupleIJffEEENS0_10empty_typeEEEZNS1_10merge_implIS3_NS0_12zip_iteratorINS5_IJN6thrust23THRUST_200600_302600_NS6detail15normal_iteratorINSC_10device_ptrIKfEEEESI_EEEEESK_NSA_INS5_IJNSE_INSF_IfEEEESM_EEEEEPS7_SP_SP_NSC_11hip_rocprim7__merge17predicate_wrapperIffNSC_7greaterIfEEEEEE10hipError_tPvRmT0_T1_T2_T3_T4_T5_mmT6_P12ihipStream_tbEUlT_E_NS1_11comp_targetILNS1_3genE10ELNS1_11target_archE1200ELNS1_3gpuE4ELNS1_3repE0EEENS1_30default_config_static_selectorELNS0_4arch9wavefront6targetE0EEEvS10_,@function
_ZN7rocprim17ROCPRIM_400000_NS6detail17trampoline_kernelINS0_14default_configENS1_21merge_config_selectorINS0_5tupleIJffEEENS0_10empty_typeEEEZNS1_10merge_implIS3_NS0_12zip_iteratorINS5_IJN6thrust23THRUST_200600_302600_NS6detail15normal_iteratorINSC_10device_ptrIKfEEEESI_EEEEESK_NSA_INS5_IJNSE_INSF_IfEEEESM_EEEEEPS7_SP_SP_NSC_11hip_rocprim7__merge17predicate_wrapperIffNSC_7greaterIfEEEEEE10hipError_tPvRmT0_T1_T2_T3_T4_T5_mmT6_P12ihipStream_tbEUlT_E_NS1_11comp_targetILNS1_3genE10ELNS1_11target_archE1200ELNS1_3gpuE4ELNS1_3repE0EEENS1_30default_config_static_selectorELNS0_4arch9wavefront6targetE0EEEvS10_: ; @_ZN7rocprim17ROCPRIM_400000_NS6detail17trampoline_kernelINS0_14default_configENS1_21merge_config_selectorINS0_5tupleIJffEEENS0_10empty_typeEEEZNS1_10merge_implIS3_NS0_12zip_iteratorINS5_IJN6thrust23THRUST_200600_302600_NS6detail15normal_iteratorINSC_10device_ptrIKfEEEESI_EEEEESK_NSA_INS5_IJNSE_INSF_IfEEEESM_EEEEEPS7_SP_SP_NSC_11hip_rocprim7__merge17predicate_wrapperIffNSC_7greaterIfEEEEEE10hipError_tPvRmT0_T1_T2_T3_T4_T5_mmT6_P12ihipStream_tbEUlT_E_NS1_11comp_targetILNS1_3genE10ELNS1_11target_archE1200ELNS1_3gpuE4ELNS1_3repE0EEENS1_30default_config_static_selectorELNS0_4arch9wavefront6targetE0EEEvS10_
; %bb.0:
	.section	.rodata,"a",@progbits
	.p2align	6, 0x0
	.amdhsa_kernel _ZN7rocprim17ROCPRIM_400000_NS6detail17trampoline_kernelINS0_14default_configENS1_21merge_config_selectorINS0_5tupleIJffEEENS0_10empty_typeEEEZNS1_10merge_implIS3_NS0_12zip_iteratorINS5_IJN6thrust23THRUST_200600_302600_NS6detail15normal_iteratorINSC_10device_ptrIKfEEEESI_EEEEESK_NSA_INS5_IJNSE_INSF_IfEEEESM_EEEEEPS7_SP_SP_NSC_11hip_rocprim7__merge17predicate_wrapperIffNSC_7greaterIfEEEEEE10hipError_tPvRmT0_T1_T2_T3_T4_T5_mmT6_P12ihipStream_tbEUlT_E_NS1_11comp_targetILNS1_3genE10ELNS1_11target_archE1200ELNS1_3gpuE4ELNS1_3repE0EEENS1_30default_config_static_selectorELNS0_4arch9wavefront6targetE0EEEvS10_
		.amdhsa_group_segment_fixed_size 0
		.amdhsa_private_segment_fixed_size 0
		.amdhsa_kernarg_size 64
		.amdhsa_user_sgpr_count 2
		.amdhsa_user_sgpr_dispatch_ptr 0
		.amdhsa_user_sgpr_queue_ptr 0
		.amdhsa_user_sgpr_kernarg_segment_ptr 1
		.amdhsa_user_sgpr_dispatch_id 0
		.amdhsa_user_sgpr_kernarg_preload_length 0
		.amdhsa_user_sgpr_kernarg_preload_offset 0
		.amdhsa_user_sgpr_private_segment_size 0
		.amdhsa_wavefront_size32 1
		.amdhsa_uses_dynamic_stack 0
		.amdhsa_enable_private_segment 0
		.amdhsa_system_sgpr_workgroup_id_x 1
		.amdhsa_system_sgpr_workgroup_id_y 0
		.amdhsa_system_sgpr_workgroup_id_z 0
		.amdhsa_system_sgpr_workgroup_info 0
		.amdhsa_system_vgpr_workitem_id 0
		.amdhsa_next_free_vgpr 1
		.amdhsa_next_free_sgpr 1
		.amdhsa_named_barrier_count 0
		.amdhsa_reserve_vcc 0
		.amdhsa_float_round_mode_32 0
		.amdhsa_float_round_mode_16_64 0
		.amdhsa_float_denorm_mode_32 3
		.amdhsa_float_denorm_mode_16_64 3
		.amdhsa_fp16_overflow 0
		.amdhsa_memory_ordered 1
		.amdhsa_forward_progress 1
		.amdhsa_inst_pref_size 0
		.amdhsa_round_robin_scheduling 0
		.amdhsa_exception_fp_ieee_invalid_op 0
		.amdhsa_exception_fp_denorm_src 0
		.amdhsa_exception_fp_ieee_div_zero 0
		.amdhsa_exception_fp_ieee_overflow 0
		.amdhsa_exception_fp_ieee_underflow 0
		.amdhsa_exception_fp_ieee_inexact 0
		.amdhsa_exception_int_div_zero 0
	.end_amdhsa_kernel
	.section	.text._ZN7rocprim17ROCPRIM_400000_NS6detail17trampoline_kernelINS0_14default_configENS1_21merge_config_selectorINS0_5tupleIJffEEENS0_10empty_typeEEEZNS1_10merge_implIS3_NS0_12zip_iteratorINS5_IJN6thrust23THRUST_200600_302600_NS6detail15normal_iteratorINSC_10device_ptrIKfEEEESI_EEEEESK_NSA_INS5_IJNSE_INSF_IfEEEESM_EEEEEPS7_SP_SP_NSC_11hip_rocprim7__merge17predicate_wrapperIffNSC_7greaterIfEEEEEE10hipError_tPvRmT0_T1_T2_T3_T4_T5_mmT6_P12ihipStream_tbEUlT_E_NS1_11comp_targetILNS1_3genE10ELNS1_11target_archE1200ELNS1_3gpuE4ELNS1_3repE0EEENS1_30default_config_static_selectorELNS0_4arch9wavefront6targetE0EEEvS10_,"axG",@progbits,_ZN7rocprim17ROCPRIM_400000_NS6detail17trampoline_kernelINS0_14default_configENS1_21merge_config_selectorINS0_5tupleIJffEEENS0_10empty_typeEEEZNS1_10merge_implIS3_NS0_12zip_iteratorINS5_IJN6thrust23THRUST_200600_302600_NS6detail15normal_iteratorINSC_10device_ptrIKfEEEESI_EEEEESK_NSA_INS5_IJNSE_INSF_IfEEEESM_EEEEEPS7_SP_SP_NSC_11hip_rocprim7__merge17predicate_wrapperIffNSC_7greaterIfEEEEEE10hipError_tPvRmT0_T1_T2_T3_T4_T5_mmT6_P12ihipStream_tbEUlT_E_NS1_11comp_targetILNS1_3genE10ELNS1_11target_archE1200ELNS1_3gpuE4ELNS1_3repE0EEENS1_30default_config_static_selectorELNS0_4arch9wavefront6targetE0EEEvS10_,comdat
.Lfunc_end341:
	.size	_ZN7rocprim17ROCPRIM_400000_NS6detail17trampoline_kernelINS0_14default_configENS1_21merge_config_selectorINS0_5tupleIJffEEENS0_10empty_typeEEEZNS1_10merge_implIS3_NS0_12zip_iteratorINS5_IJN6thrust23THRUST_200600_302600_NS6detail15normal_iteratorINSC_10device_ptrIKfEEEESI_EEEEESK_NSA_INS5_IJNSE_INSF_IfEEEESM_EEEEEPS7_SP_SP_NSC_11hip_rocprim7__merge17predicate_wrapperIffNSC_7greaterIfEEEEEE10hipError_tPvRmT0_T1_T2_T3_T4_T5_mmT6_P12ihipStream_tbEUlT_E_NS1_11comp_targetILNS1_3genE10ELNS1_11target_archE1200ELNS1_3gpuE4ELNS1_3repE0EEENS1_30default_config_static_selectorELNS0_4arch9wavefront6targetE0EEEvS10_, .Lfunc_end341-_ZN7rocprim17ROCPRIM_400000_NS6detail17trampoline_kernelINS0_14default_configENS1_21merge_config_selectorINS0_5tupleIJffEEENS0_10empty_typeEEEZNS1_10merge_implIS3_NS0_12zip_iteratorINS5_IJN6thrust23THRUST_200600_302600_NS6detail15normal_iteratorINSC_10device_ptrIKfEEEESI_EEEEESK_NSA_INS5_IJNSE_INSF_IfEEEESM_EEEEEPS7_SP_SP_NSC_11hip_rocprim7__merge17predicate_wrapperIffNSC_7greaterIfEEEEEE10hipError_tPvRmT0_T1_T2_T3_T4_T5_mmT6_P12ihipStream_tbEUlT_E_NS1_11comp_targetILNS1_3genE10ELNS1_11target_archE1200ELNS1_3gpuE4ELNS1_3repE0EEENS1_30default_config_static_selectorELNS0_4arch9wavefront6targetE0EEEvS10_
                                        ; -- End function
	.set _ZN7rocprim17ROCPRIM_400000_NS6detail17trampoline_kernelINS0_14default_configENS1_21merge_config_selectorINS0_5tupleIJffEEENS0_10empty_typeEEEZNS1_10merge_implIS3_NS0_12zip_iteratorINS5_IJN6thrust23THRUST_200600_302600_NS6detail15normal_iteratorINSC_10device_ptrIKfEEEESI_EEEEESK_NSA_INS5_IJNSE_INSF_IfEEEESM_EEEEEPS7_SP_SP_NSC_11hip_rocprim7__merge17predicate_wrapperIffNSC_7greaterIfEEEEEE10hipError_tPvRmT0_T1_T2_T3_T4_T5_mmT6_P12ihipStream_tbEUlT_E_NS1_11comp_targetILNS1_3genE10ELNS1_11target_archE1200ELNS1_3gpuE4ELNS1_3repE0EEENS1_30default_config_static_selectorELNS0_4arch9wavefront6targetE0EEEvS10_.num_vgpr, 0
	.set _ZN7rocprim17ROCPRIM_400000_NS6detail17trampoline_kernelINS0_14default_configENS1_21merge_config_selectorINS0_5tupleIJffEEENS0_10empty_typeEEEZNS1_10merge_implIS3_NS0_12zip_iteratorINS5_IJN6thrust23THRUST_200600_302600_NS6detail15normal_iteratorINSC_10device_ptrIKfEEEESI_EEEEESK_NSA_INS5_IJNSE_INSF_IfEEEESM_EEEEEPS7_SP_SP_NSC_11hip_rocprim7__merge17predicate_wrapperIffNSC_7greaterIfEEEEEE10hipError_tPvRmT0_T1_T2_T3_T4_T5_mmT6_P12ihipStream_tbEUlT_E_NS1_11comp_targetILNS1_3genE10ELNS1_11target_archE1200ELNS1_3gpuE4ELNS1_3repE0EEENS1_30default_config_static_selectorELNS0_4arch9wavefront6targetE0EEEvS10_.num_agpr, 0
	.set _ZN7rocprim17ROCPRIM_400000_NS6detail17trampoline_kernelINS0_14default_configENS1_21merge_config_selectorINS0_5tupleIJffEEENS0_10empty_typeEEEZNS1_10merge_implIS3_NS0_12zip_iteratorINS5_IJN6thrust23THRUST_200600_302600_NS6detail15normal_iteratorINSC_10device_ptrIKfEEEESI_EEEEESK_NSA_INS5_IJNSE_INSF_IfEEEESM_EEEEEPS7_SP_SP_NSC_11hip_rocprim7__merge17predicate_wrapperIffNSC_7greaterIfEEEEEE10hipError_tPvRmT0_T1_T2_T3_T4_T5_mmT6_P12ihipStream_tbEUlT_E_NS1_11comp_targetILNS1_3genE10ELNS1_11target_archE1200ELNS1_3gpuE4ELNS1_3repE0EEENS1_30default_config_static_selectorELNS0_4arch9wavefront6targetE0EEEvS10_.numbered_sgpr, 0
	.set _ZN7rocprim17ROCPRIM_400000_NS6detail17trampoline_kernelINS0_14default_configENS1_21merge_config_selectorINS0_5tupleIJffEEENS0_10empty_typeEEEZNS1_10merge_implIS3_NS0_12zip_iteratorINS5_IJN6thrust23THRUST_200600_302600_NS6detail15normal_iteratorINSC_10device_ptrIKfEEEESI_EEEEESK_NSA_INS5_IJNSE_INSF_IfEEEESM_EEEEEPS7_SP_SP_NSC_11hip_rocprim7__merge17predicate_wrapperIffNSC_7greaterIfEEEEEE10hipError_tPvRmT0_T1_T2_T3_T4_T5_mmT6_P12ihipStream_tbEUlT_E_NS1_11comp_targetILNS1_3genE10ELNS1_11target_archE1200ELNS1_3gpuE4ELNS1_3repE0EEENS1_30default_config_static_selectorELNS0_4arch9wavefront6targetE0EEEvS10_.num_named_barrier, 0
	.set _ZN7rocprim17ROCPRIM_400000_NS6detail17trampoline_kernelINS0_14default_configENS1_21merge_config_selectorINS0_5tupleIJffEEENS0_10empty_typeEEEZNS1_10merge_implIS3_NS0_12zip_iteratorINS5_IJN6thrust23THRUST_200600_302600_NS6detail15normal_iteratorINSC_10device_ptrIKfEEEESI_EEEEESK_NSA_INS5_IJNSE_INSF_IfEEEESM_EEEEEPS7_SP_SP_NSC_11hip_rocprim7__merge17predicate_wrapperIffNSC_7greaterIfEEEEEE10hipError_tPvRmT0_T1_T2_T3_T4_T5_mmT6_P12ihipStream_tbEUlT_E_NS1_11comp_targetILNS1_3genE10ELNS1_11target_archE1200ELNS1_3gpuE4ELNS1_3repE0EEENS1_30default_config_static_selectorELNS0_4arch9wavefront6targetE0EEEvS10_.private_seg_size, 0
	.set _ZN7rocprim17ROCPRIM_400000_NS6detail17trampoline_kernelINS0_14default_configENS1_21merge_config_selectorINS0_5tupleIJffEEENS0_10empty_typeEEEZNS1_10merge_implIS3_NS0_12zip_iteratorINS5_IJN6thrust23THRUST_200600_302600_NS6detail15normal_iteratorINSC_10device_ptrIKfEEEESI_EEEEESK_NSA_INS5_IJNSE_INSF_IfEEEESM_EEEEEPS7_SP_SP_NSC_11hip_rocprim7__merge17predicate_wrapperIffNSC_7greaterIfEEEEEE10hipError_tPvRmT0_T1_T2_T3_T4_T5_mmT6_P12ihipStream_tbEUlT_E_NS1_11comp_targetILNS1_3genE10ELNS1_11target_archE1200ELNS1_3gpuE4ELNS1_3repE0EEENS1_30default_config_static_selectorELNS0_4arch9wavefront6targetE0EEEvS10_.uses_vcc, 0
	.set _ZN7rocprim17ROCPRIM_400000_NS6detail17trampoline_kernelINS0_14default_configENS1_21merge_config_selectorINS0_5tupleIJffEEENS0_10empty_typeEEEZNS1_10merge_implIS3_NS0_12zip_iteratorINS5_IJN6thrust23THRUST_200600_302600_NS6detail15normal_iteratorINSC_10device_ptrIKfEEEESI_EEEEESK_NSA_INS5_IJNSE_INSF_IfEEEESM_EEEEEPS7_SP_SP_NSC_11hip_rocprim7__merge17predicate_wrapperIffNSC_7greaterIfEEEEEE10hipError_tPvRmT0_T1_T2_T3_T4_T5_mmT6_P12ihipStream_tbEUlT_E_NS1_11comp_targetILNS1_3genE10ELNS1_11target_archE1200ELNS1_3gpuE4ELNS1_3repE0EEENS1_30default_config_static_selectorELNS0_4arch9wavefront6targetE0EEEvS10_.uses_flat_scratch, 0
	.set _ZN7rocprim17ROCPRIM_400000_NS6detail17trampoline_kernelINS0_14default_configENS1_21merge_config_selectorINS0_5tupleIJffEEENS0_10empty_typeEEEZNS1_10merge_implIS3_NS0_12zip_iteratorINS5_IJN6thrust23THRUST_200600_302600_NS6detail15normal_iteratorINSC_10device_ptrIKfEEEESI_EEEEESK_NSA_INS5_IJNSE_INSF_IfEEEESM_EEEEEPS7_SP_SP_NSC_11hip_rocprim7__merge17predicate_wrapperIffNSC_7greaterIfEEEEEE10hipError_tPvRmT0_T1_T2_T3_T4_T5_mmT6_P12ihipStream_tbEUlT_E_NS1_11comp_targetILNS1_3genE10ELNS1_11target_archE1200ELNS1_3gpuE4ELNS1_3repE0EEENS1_30default_config_static_selectorELNS0_4arch9wavefront6targetE0EEEvS10_.has_dyn_sized_stack, 0
	.set _ZN7rocprim17ROCPRIM_400000_NS6detail17trampoline_kernelINS0_14default_configENS1_21merge_config_selectorINS0_5tupleIJffEEENS0_10empty_typeEEEZNS1_10merge_implIS3_NS0_12zip_iteratorINS5_IJN6thrust23THRUST_200600_302600_NS6detail15normal_iteratorINSC_10device_ptrIKfEEEESI_EEEEESK_NSA_INS5_IJNSE_INSF_IfEEEESM_EEEEEPS7_SP_SP_NSC_11hip_rocprim7__merge17predicate_wrapperIffNSC_7greaterIfEEEEEE10hipError_tPvRmT0_T1_T2_T3_T4_T5_mmT6_P12ihipStream_tbEUlT_E_NS1_11comp_targetILNS1_3genE10ELNS1_11target_archE1200ELNS1_3gpuE4ELNS1_3repE0EEENS1_30default_config_static_selectorELNS0_4arch9wavefront6targetE0EEEvS10_.has_recursion, 0
	.set _ZN7rocprim17ROCPRIM_400000_NS6detail17trampoline_kernelINS0_14default_configENS1_21merge_config_selectorINS0_5tupleIJffEEENS0_10empty_typeEEEZNS1_10merge_implIS3_NS0_12zip_iteratorINS5_IJN6thrust23THRUST_200600_302600_NS6detail15normal_iteratorINSC_10device_ptrIKfEEEESI_EEEEESK_NSA_INS5_IJNSE_INSF_IfEEEESM_EEEEEPS7_SP_SP_NSC_11hip_rocprim7__merge17predicate_wrapperIffNSC_7greaterIfEEEEEE10hipError_tPvRmT0_T1_T2_T3_T4_T5_mmT6_P12ihipStream_tbEUlT_E_NS1_11comp_targetILNS1_3genE10ELNS1_11target_archE1200ELNS1_3gpuE4ELNS1_3repE0EEENS1_30default_config_static_selectorELNS0_4arch9wavefront6targetE0EEEvS10_.has_indirect_call, 0
	.section	.AMDGPU.csdata,"",@progbits
; Kernel info:
; codeLenInByte = 0
; TotalNumSgprs: 0
; NumVgprs: 0
; ScratchSize: 0
; MemoryBound: 0
; FloatMode: 240
; IeeeMode: 1
; LDSByteSize: 0 bytes/workgroup (compile time only)
; SGPRBlocks: 0
; VGPRBlocks: 0
; NumSGPRsForWavesPerEU: 1
; NumVGPRsForWavesPerEU: 1
; NamedBarCnt: 0
; Occupancy: 16
; WaveLimiterHint : 0
; COMPUTE_PGM_RSRC2:SCRATCH_EN: 0
; COMPUTE_PGM_RSRC2:USER_SGPR: 2
; COMPUTE_PGM_RSRC2:TRAP_HANDLER: 0
; COMPUTE_PGM_RSRC2:TGID_X_EN: 1
; COMPUTE_PGM_RSRC2:TGID_Y_EN: 0
; COMPUTE_PGM_RSRC2:TGID_Z_EN: 0
; COMPUTE_PGM_RSRC2:TIDIG_COMP_CNT: 0
	.section	.text._ZN7rocprim17ROCPRIM_400000_NS6detail17trampoline_kernelINS0_14default_configENS1_21merge_config_selectorINS0_5tupleIJffEEENS0_10empty_typeEEEZNS1_10merge_implIS3_NS0_12zip_iteratorINS5_IJN6thrust23THRUST_200600_302600_NS6detail15normal_iteratorINSC_10device_ptrIKfEEEESI_EEEEESK_NSA_INS5_IJNSE_INSF_IfEEEESM_EEEEEPS7_SP_SP_NSC_11hip_rocprim7__merge17predicate_wrapperIffNSC_7greaterIfEEEEEE10hipError_tPvRmT0_T1_T2_T3_T4_T5_mmT6_P12ihipStream_tbEUlT_E_NS1_11comp_targetILNS1_3genE9ELNS1_11target_archE1100ELNS1_3gpuE3ELNS1_3repE0EEENS1_30default_config_static_selectorELNS0_4arch9wavefront6targetE0EEEvS10_,"axG",@progbits,_ZN7rocprim17ROCPRIM_400000_NS6detail17trampoline_kernelINS0_14default_configENS1_21merge_config_selectorINS0_5tupleIJffEEENS0_10empty_typeEEEZNS1_10merge_implIS3_NS0_12zip_iteratorINS5_IJN6thrust23THRUST_200600_302600_NS6detail15normal_iteratorINSC_10device_ptrIKfEEEESI_EEEEESK_NSA_INS5_IJNSE_INSF_IfEEEESM_EEEEEPS7_SP_SP_NSC_11hip_rocprim7__merge17predicate_wrapperIffNSC_7greaterIfEEEEEE10hipError_tPvRmT0_T1_T2_T3_T4_T5_mmT6_P12ihipStream_tbEUlT_E_NS1_11comp_targetILNS1_3genE9ELNS1_11target_archE1100ELNS1_3gpuE3ELNS1_3repE0EEENS1_30default_config_static_selectorELNS0_4arch9wavefront6targetE0EEEvS10_,comdat
	.protected	_ZN7rocprim17ROCPRIM_400000_NS6detail17trampoline_kernelINS0_14default_configENS1_21merge_config_selectorINS0_5tupleIJffEEENS0_10empty_typeEEEZNS1_10merge_implIS3_NS0_12zip_iteratorINS5_IJN6thrust23THRUST_200600_302600_NS6detail15normal_iteratorINSC_10device_ptrIKfEEEESI_EEEEESK_NSA_INS5_IJNSE_INSF_IfEEEESM_EEEEEPS7_SP_SP_NSC_11hip_rocprim7__merge17predicate_wrapperIffNSC_7greaterIfEEEEEE10hipError_tPvRmT0_T1_T2_T3_T4_T5_mmT6_P12ihipStream_tbEUlT_E_NS1_11comp_targetILNS1_3genE9ELNS1_11target_archE1100ELNS1_3gpuE3ELNS1_3repE0EEENS1_30default_config_static_selectorELNS0_4arch9wavefront6targetE0EEEvS10_ ; -- Begin function _ZN7rocprim17ROCPRIM_400000_NS6detail17trampoline_kernelINS0_14default_configENS1_21merge_config_selectorINS0_5tupleIJffEEENS0_10empty_typeEEEZNS1_10merge_implIS3_NS0_12zip_iteratorINS5_IJN6thrust23THRUST_200600_302600_NS6detail15normal_iteratorINSC_10device_ptrIKfEEEESI_EEEEESK_NSA_INS5_IJNSE_INSF_IfEEEESM_EEEEEPS7_SP_SP_NSC_11hip_rocprim7__merge17predicate_wrapperIffNSC_7greaterIfEEEEEE10hipError_tPvRmT0_T1_T2_T3_T4_T5_mmT6_P12ihipStream_tbEUlT_E_NS1_11comp_targetILNS1_3genE9ELNS1_11target_archE1100ELNS1_3gpuE3ELNS1_3repE0EEENS1_30default_config_static_selectorELNS0_4arch9wavefront6targetE0EEEvS10_
	.globl	_ZN7rocprim17ROCPRIM_400000_NS6detail17trampoline_kernelINS0_14default_configENS1_21merge_config_selectorINS0_5tupleIJffEEENS0_10empty_typeEEEZNS1_10merge_implIS3_NS0_12zip_iteratorINS5_IJN6thrust23THRUST_200600_302600_NS6detail15normal_iteratorINSC_10device_ptrIKfEEEESI_EEEEESK_NSA_INS5_IJNSE_INSF_IfEEEESM_EEEEEPS7_SP_SP_NSC_11hip_rocprim7__merge17predicate_wrapperIffNSC_7greaterIfEEEEEE10hipError_tPvRmT0_T1_T2_T3_T4_T5_mmT6_P12ihipStream_tbEUlT_E_NS1_11comp_targetILNS1_3genE9ELNS1_11target_archE1100ELNS1_3gpuE3ELNS1_3repE0EEENS1_30default_config_static_selectorELNS0_4arch9wavefront6targetE0EEEvS10_
	.p2align	8
	.type	_ZN7rocprim17ROCPRIM_400000_NS6detail17trampoline_kernelINS0_14default_configENS1_21merge_config_selectorINS0_5tupleIJffEEENS0_10empty_typeEEEZNS1_10merge_implIS3_NS0_12zip_iteratorINS5_IJN6thrust23THRUST_200600_302600_NS6detail15normal_iteratorINSC_10device_ptrIKfEEEESI_EEEEESK_NSA_INS5_IJNSE_INSF_IfEEEESM_EEEEEPS7_SP_SP_NSC_11hip_rocprim7__merge17predicate_wrapperIffNSC_7greaterIfEEEEEE10hipError_tPvRmT0_T1_T2_T3_T4_T5_mmT6_P12ihipStream_tbEUlT_E_NS1_11comp_targetILNS1_3genE9ELNS1_11target_archE1100ELNS1_3gpuE3ELNS1_3repE0EEENS1_30default_config_static_selectorELNS0_4arch9wavefront6targetE0EEEvS10_,@function
_ZN7rocprim17ROCPRIM_400000_NS6detail17trampoline_kernelINS0_14default_configENS1_21merge_config_selectorINS0_5tupleIJffEEENS0_10empty_typeEEEZNS1_10merge_implIS3_NS0_12zip_iteratorINS5_IJN6thrust23THRUST_200600_302600_NS6detail15normal_iteratorINSC_10device_ptrIKfEEEESI_EEEEESK_NSA_INS5_IJNSE_INSF_IfEEEESM_EEEEEPS7_SP_SP_NSC_11hip_rocprim7__merge17predicate_wrapperIffNSC_7greaterIfEEEEEE10hipError_tPvRmT0_T1_T2_T3_T4_T5_mmT6_P12ihipStream_tbEUlT_E_NS1_11comp_targetILNS1_3genE9ELNS1_11target_archE1100ELNS1_3gpuE3ELNS1_3repE0EEENS1_30default_config_static_selectorELNS0_4arch9wavefront6targetE0EEEvS10_: ; @_ZN7rocprim17ROCPRIM_400000_NS6detail17trampoline_kernelINS0_14default_configENS1_21merge_config_selectorINS0_5tupleIJffEEENS0_10empty_typeEEEZNS1_10merge_implIS3_NS0_12zip_iteratorINS5_IJN6thrust23THRUST_200600_302600_NS6detail15normal_iteratorINSC_10device_ptrIKfEEEESI_EEEEESK_NSA_INS5_IJNSE_INSF_IfEEEESM_EEEEEPS7_SP_SP_NSC_11hip_rocprim7__merge17predicate_wrapperIffNSC_7greaterIfEEEEEE10hipError_tPvRmT0_T1_T2_T3_T4_T5_mmT6_P12ihipStream_tbEUlT_E_NS1_11comp_targetILNS1_3genE9ELNS1_11target_archE1100ELNS1_3gpuE3ELNS1_3repE0EEENS1_30default_config_static_selectorELNS0_4arch9wavefront6targetE0EEEvS10_
; %bb.0:
	.section	.rodata,"a",@progbits
	.p2align	6, 0x0
	.amdhsa_kernel _ZN7rocprim17ROCPRIM_400000_NS6detail17trampoline_kernelINS0_14default_configENS1_21merge_config_selectorINS0_5tupleIJffEEENS0_10empty_typeEEEZNS1_10merge_implIS3_NS0_12zip_iteratorINS5_IJN6thrust23THRUST_200600_302600_NS6detail15normal_iteratorINSC_10device_ptrIKfEEEESI_EEEEESK_NSA_INS5_IJNSE_INSF_IfEEEESM_EEEEEPS7_SP_SP_NSC_11hip_rocprim7__merge17predicate_wrapperIffNSC_7greaterIfEEEEEE10hipError_tPvRmT0_T1_T2_T3_T4_T5_mmT6_P12ihipStream_tbEUlT_E_NS1_11comp_targetILNS1_3genE9ELNS1_11target_archE1100ELNS1_3gpuE3ELNS1_3repE0EEENS1_30default_config_static_selectorELNS0_4arch9wavefront6targetE0EEEvS10_
		.amdhsa_group_segment_fixed_size 0
		.amdhsa_private_segment_fixed_size 0
		.amdhsa_kernarg_size 64
		.amdhsa_user_sgpr_count 2
		.amdhsa_user_sgpr_dispatch_ptr 0
		.amdhsa_user_sgpr_queue_ptr 0
		.amdhsa_user_sgpr_kernarg_segment_ptr 1
		.amdhsa_user_sgpr_dispatch_id 0
		.amdhsa_user_sgpr_kernarg_preload_length 0
		.amdhsa_user_sgpr_kernarg_preload_offset 0
		.amdhsa_user_sgpr_private_segment_size 0
		.amdhsa_wavefront_size32 1
		.amdhsa_uses_dynamic_stack 0
		.amdhsa_enable_private_segment 0
		.amdhsa_system_sgpr_workgroup_id_x 1
		.amdhsa_system_sgpr_workgroup_id_y 0
		.amdhsa_system_sgpr_workgroup_id_z 0
		.amdhsa_system_sgpr_workgroup_info 0
		.amdhsa_system_vgpr_workitem_id 0
		.amdhsa_next_free_vgpr 1
		.amdhsa_next_free_sgpr 1
		.amdhsa_named_barrier_count 0
		.amdhsa_reserve_vcc 0
		.amdhsa_float_round_mode_32 0
		.amdhsa_float_round_mode_16_64 0
		.amdhsa_float_denorm_mode_32 3
		.amdhsa_float_denorm_mode_16_64 3
		.amdhsa_fp16_overflow 0
		.amdhsa_memory_ordered 1
		.amdhsa_forward_progress 1
		.amdhsa_inst_pref_size 0
		.amdhsa_round_robin_scheduling 0
		.amdhsa_exception_fp_ieee_invalid_op 0
		.amdhsa_exception_fp_denorm_src 0
		.amdhsa_exception_fp_ieee_div_zero 0
		.amdhsa_exception_fp_ieee_overflow 0
		.amdhsa_exception_fp_ieee_underflow 0
		.amdhsa_exception_fp_ieee_inexact 0
		.amdhsa_exception_int_div_zero 0
	.end_amdhsa_kernel
	.section	.text._ZN7rocprim17ROCPRIM_400000_NS6detail17trampoline_kernelINS0_14default_configENS1_21merge_config_selectorINS0_5tupleIJffEEENS0_10empty_typeEEEZNS1_10merge_implIS3_NS0_12zip_iteratorINS5_IJN6thrust23THRUST_200600_302600_NS6detail15normal_iteratorINSC_10device_ptrIKfEEEESI_EEEEESK_NSA_INS5_IJNSE_INSF_IfEEEESM_EEEEEPS7_SP_SP_NSC_11hip_rocprim7__merge17predicate_wrapperIffNSC_7greaterIfEEEEEE10hipError_tPvRmT0_T1_T2_T3_T4_T5_mmT6_P12ihipStream_tbEUlT_E_NS1_11comp_targetILNS1_3genE9ELNS1_11target_archE1100ELNS1_3gpuE3ELNS1_3repE0EEENS1_30default_config_static_selectorELNS0_4arch9wavefront6targetE0EEEvS10_,"axG",@progbits,_ZN7rocprim17ROCPRIM_400000_NS6detail17trampoline_kernelINS0_14default_configENS1_21merge_config_selectorINS0_5tupleIJffEEENS0_10empty_typeEEEZNS1_10merge_implIS3_NS0_12zip_iteratorINS5_IJN6thrust23THRUST_200600_302600_NS6detail15normal_iteratorINSC_10device_ptrIKfEEEESI_EEEEESK_NSA_INS5_IJNSE_INSF_IfEEEESM_EEEEEPS7_SP_SP_NSC_11hip_rocprim7__merge17predicate_wrapperIffNSC_7greaterIfEEEEEE10hipError_tPvRmT0_T1_T2_T3_T4_T5_mmT6_P12ihipStream_tbEUlT_E_NS1_11comp_targetILNS1_3genE9ELNS1_11target_archE1100ELNS1_3gpuE3ELNS1_3repE0EEENS1_30default_config_static_selectorELNS0_4arch9wavefront6targetE0EEEvS10_,comdat
.Lfunc_end342:
	.size	_ZN7rocprim17ROCPRIM_400000_NS6detail17trampoline_kernelINS0_14default_configENS1_21merge_config_selectorINS0_5tupleIJffEEENS0_10empty_typeEEEZNS1_10merge_implIS3_NS0_12zip_iteratorINS5_IJN6thrust23THRUST_200600_302600_NS6detail15normal_iteratorINSC_10device_ptrIKfEEEESI_EEEEESK_NSA_INS5_IJNSE_INSF_IfEEEESM_EEEEEPS7_SP_SP_NSC_11hip_rocprim7__merge17predicate_wrapperIffNSC_7greaterIfEEEEEE10hipError_tPvRmT0_T1_T2_T3_T4_T5_mmT6_P12ihipStream_tbEUlT_E_NS1_11comp_targetILNS1_3genE9ELNS1_11target_archE1100ELNS1_3gpuE3ELNS1_3repE0EEENS1_30default_config_static_selectorELNS0_4arch9wavefront6targetE0EEEvS10_, .Lfunc_end342-_ZN7rocprim17ROCPRIM_400000_NS6detail17trampoline_kernelINS0_14default_configENS1_21merge_config_selectorINS0_5tupleIJffEEENS0_10empty_typeEEEZNS1_10merge_implIS3_NS0_12zip_iteratorINS5_IJN6thrust23THRUST_200600_302600_NS6detail15normal_iteratorINSC_10device_ptrIKfEEEESI_EEEEESK_NSA_INS5_IJNSE_INSF_IfEEEESM_EEEEEPS7_SP_SP_NSC_11hip_rocprim7__merge17predicate_wrapperIffNSC_7greaterIfEEEEEE10hipError_tPvRmT0_T1_T2_T3_T4_T5_mmT6_P12ihipStream_tbEUlT_E_NS1_11comp_targetILNS1_3genE9ELNS1_11target_archE1100ELNS1_3gpuE3ELNS1_3repE0EEENS1_30default_config_static_selectorELNS0_4arch9wavefront6targetE0EEEvS10_
                                        ; -- End function
	.set _ZN7rocprim17ROCPRIM_400000_NS6detail17trampoline_kernelINS0_14default_configENS1_21merge_config_selectorINS0_5tupleIJffEEENS0_10empty_typeEEEZNS1_10merge_implIS3_NS0_12zip_iteratorINS5_IJN6thrust23THRUST_200600_302600_NS6detail15normal_iteratorINSC_10device_ptrIKfEEEESI_EEEEESK_NSA_INS5_IJNSE_INSF_IfEEEESM_EEEEEPS7_SP_SP_NSC_11hip_rocprim7__merge17predicate_wrapperIffNSC_7greaterIfEEEEEE10hipError_tPvRmT0_T1_T2_T3_T4_T5_mmT6_P12ihipStream_tbEUlT_E_NS1_11comp_targetILNS1_3genE9ELNS1_11target_archE1100ELNS1_3gpuE3ELNS1_3repE0EEENS1_30default_config_static_selectorELNS0_4arch9wavefront6targetE0EEEvS10_.num_vgpr, 0
	.set _ZN7rocprim17ROCPRIM_400000_NS6detail17trampoline_kernelINS0_14default_configENS1_21merge_config_selectorINS0_5tupleIJffEEENS0_10empty_typeEEEZNS1_10merge_implIS3_NS0_12zip_iteratorINS5_IJN6thrust23THRUST_200600_302600_NS6detail15normal_iteratorINSC_10device_ptrIKfEEEESI_EEEEESK_NSA_INS5_IJNSE_INSF_IfEEEESM_EEEEEPS7_SP_SP_NSC_11hip_rocprim7__merge17predicate_wrapperIffNSC_7greaterIfEEEEEE10hipError_tPvRmT0_T1_T2_T3_T4_T5_mmT6_P12ihipStream_tbEUlT_E_NS1_11comp_targetILNS1_3genE9ELNS1_11target_archE1100ELNS1_3gpuE3ELNS1_3repE0EEENS1_30default_config_static_selectorELNS0_4arch9wavefront6targetE0EEEvS10_.num_agpr, 0
	.set _ZN7rocprim17ROCPRIM_400000_NS6detail17trampoline_kernelINS0_14default_configENS1_21merge_config_selectorINS0_5tupleIJffEEENS0_10empty_typeEEEZNS1_10merge_implIS3_NS0_12zip_iteratorINS5_IJN6thrust23THRUST_200600_302600_NS6detail15normal_iteratorINSC_10device_ptrIKfEEEESI_EEEEESK_NSA_INS5_IJNSE_INSF_IfEEEESM_EEEEEPS7_SP_SP_NSC_11hip_rocprim7__merge17predicate_wrapperIffNSC_7greaterIfEEEEEE10hipError_tPvRmT0_T1_T2_T3_T4_T5_mmT6_P12ihipStream_tbEUlT_E_NS1_11comp_targetILNS1_3genE9ELNS1_11target_archE1100ELNS1_3gpuE3ELNS1_3repE0EEENS1_30default_config_static_selectorELNS0_4arch9wavefront6targetE0EEEvS10_.numbered_sgpr, 0
	.set _ZN7rocprim17ROCPRIM_400000_NS6detail17trampoline_kernelINS0_14default_configENS1_21merge_config_selectorINS0_5tupleIJffEEENS0_10empty_typeEEEZNS1_10merge_implIS3_NS0_12zip_iteratorINS5_IJN6thrust23THRUST_200600_302600_NS6detail15normal_iteratorINSC_10device_ptrIKfEEEESI_EEEEESK_NSA_INS5_IJNSE_INSF_IfEEEESM_EEEEEPS7_SP_SP_NSC_11hip_rocprim7__merge17predicate_wrapperIffNSC_7greaterIfEEEEEE10hipError_tPvRmT0_T1_T2_T3_T4_T5_mmT6_P12ihipStream_tbEUlT_E_NS1_11comp_targetILNS1_3genE9ELNS1_11target_archE1100ELNS1_3gpuE3ELNS1_3repE0EEENS1_30default_config_static_selectorELNS0_4arch9wavefront6targetE0EEEvS10_.num_named_barrier, 0
	.set _ZN7rocprim17ROCPRIM_400000_NS6detail17trampoline_kernelINS0_14default_configENS1_21merge_config_selectorINS0_5tupleIJffEEENS0_10empty_typeEEEZNS1_10merge_implIS3_NS0_12zip_iteratorINS5_IJN6thrust23THRUST_200600_302600_NS6detail15normal_iteratorINSC_10device_ptrIKfEEEESI_EEEEESK_NSA_INS5_IJNSE_INSF_IfEEEESM_EEEEEPS7_SP_SP_NSC_11hip_rocprim7__merge17predicate_wrapperIffNSC_7greaterIfEEEEEE10hipError_tPvRmT0_T1_T2_T3_T4_T5_mmT6_P12ihipStream_tbEUlT_E_NS1_11comp_targetILNS1_3genE9ELNS1_11target_archE1100ELNS1_3gpuE3ELNS1_3repE0EEENS1_30default_config_static_selectorELNS0_4arch9wavefront6targetE0EEEvS10_.private_seg_size, 0
	.set _ZN7rocprim17ROCPRIM_400000_NS6detail17trampoline_kernelINS0_14default_configENS1_21merge_config_selectorINS0_5tupleIJffEEENS0_10empty_typeEEEZNS1_10merge_implIS3_NS0_12zip_iteratorINS5_IJN6thrust23THRUST_200600_302600_NS6detail15normal_iteratorINSC_10device_ptrIKfEEEESI_EEEEESK_NSA_INS5_IJNSE_INSF_IfEEEESM_EEEEEPS7_SP_SP_NSC_11hip_rocprim7__merge17predicate_wrapperIffNSC_7greaterIfEEEEEE10hipError_tPvRmT0_T1_T2_T3_T4_T5_mmT6_P12ihipStream_tbEUlT_E_NS1_11comp_targetILNS1_3genE9ELNS1_11target_archE1100ELNS1_3gpuE3ELNS1_3repE0EEENS1_30default_config_static_selectorELNS0_4arch9wavefront6targetE0EEEvS10_.uses_vcc, 0
	.set _ZN7rocprim17ROCPRIM_400000_NS6detail17trampoline_kernelINS0_14default_configENS1_21merge_config_selectorINS0_5tupleIJffEEENS0_10empty_typeEEEZNS1_10merge_implIS3_NS0_12zip_iteratorINS5_IJN6thrust23THRUST_200600_302600_NS6detail15normal_iteratorINSC_10device_ptrIKfEEEESI_EEEEESK_NSA_INS5_IJNSE_INSF_IfEEEESM_EEEEEPS7_SP_SP_NSC_11hip_rocprim7__merge17predicate_wrapperIffNSC_7greaterIfEEEEEE10hipError_tPvRmT0_T1_T2_T3_T4_T5_mmT6_P12ihipStream_tbEUlT_E_NS1_11comp_targetILNS1_3genE9ELNS1_11target_archE1100ELNS1_3gpuE3ELNS1_3repE0EEENS1_30default_config_static_selectorELNS0_4arch9wavefront6targetE0EEEvS10_.uses_flat_scratch, 0
	.set _ZN7rocprim17ROCPRIM_400000_NS6detail17trampoline_kernelINS0_14default_configENS1_21merge_config_selectorINS0_5tupleIJffEEENS0_10empty_typeEEEZNS1_10merge_implIS3_NS0_12zip_iteratorINS5_IJN6thrust23THRUST_200600_302600_NS6detail15normal_iteratorINSC_10device_ptrIKfEEEESI_EEEEESK_NSA_INS5_IJNSE_INSF_IfEEEESM_EEEEEPS7_SP_SP_NSC_11hip_rocprim7__merge17predicate_wrapperIffNSC_7greaterIfEEEEEE10hipError_tPvRmT0_T1_T2_T3_T4_T5_mmT6_P12ihipStream_tbEUlT_E_NS1_11comp_targetILNS1_3genE9ELNS1_11target_archE1100ELNS1_3gpuE3ELNS1_3repE0EEENS1_30default_config_static_selectorELNS0_4arch9wavefront6targetE0EEEvS10_.has_dyn_sized_stack, 0
	.set _ZN7rocprim17ROCPRIM_400000_NS6detail17trampoline_kernelINS0_14default_configENS1_21merge_config_selectorINS0_5tupleIJffEEENS0_10empty_typeEEEZNS1_10merge_implIS3_NS0_12zip_iteratorINS5_IJN6thrust23THRUST_200600_302600_NS6detail15normal_iteratorINSC_10device_ptrIKfEEEESI_EEEEESK_NSA_INS5_IJNSE_INSF_IfEEEESM_EEEEEPS7_SP_SP_NSC_11hip_rocprim7__merge17predicate_wrapperIffNSC_7greaterIfEEEEEE10hipError_tPvRmT0_T1_T2_T3_T4_T5_mmT6_P12ihipStream_tbEUlT_E_NS1_11comp_targetILNS1_3genE9ELNS1_11target_archE1100ELNS1_3gpuE3ELNS1_3repE0EEENS1_30default_config_static_selectorELNS0_4arch9wavefront6targetE0EEEvS10_.has_recursion, 0
	.set _ZN7rocprim17ROCPRIM_400000_NS6detail17trampoline_kernelINS0_14default_configENS1_21merge_config_selectorINS0_5tupleIJffEEENS0_10empty_typeEEEZNS1_10merge_implIS3_NS0_12zip_iteratorINS5_IJN6thrust23THRUST_200600_302600_NS6detail15normal_iteratorINSC_10device_ptrIKfEEEESI_EEEEESK_NSA_INS5_IJNSE_INSF_IfEEEESM_EEEEEPS7_SP_SP_NSC_11hip_rocprim7__merge17predicate_wrapperIffNSC_7greaterIfEEEEEE10hipError_tPvRmT0_T1_T2_T3_T4_T5_mmT6_P12ihipStream_tbEUlT_E_NS1_11comp_targetILNS1_3genE9ELNS1_11target_archE1100ELNS1_3gpuE3ELNS1_3repE0EEENS1_30default_config_static_selectorELNS0_4arch9wavefront6targetE0EEEvS10_.has_indirect_call, 0
	.section	.AMDGPU.csdata,"",@progbits
; Kernel info:
; codeLenInByte = 0
; TotalNumSgprs: 0
; NumVgprs: 0
; ScratchSize: 0
; MemoryBound: 0
; FloatMode: 240
; IeeeMode: 1
; LDSByteSize: 0 bytes/workgroup (compile time only)
; SGPRBlocks: 0
; VGPRBlocks: 0
; NumSGPRsForWavesPerEU: 1
; NumVGPRsForWavesPerEU: 1
; NamedBarCnt: 0
; Occupancy: 16
; WaveLimiterHint : 0
; COMPUTE_PGM_RSRC2:SCRATCH_EN: 0
; COMPUTE_PGM_RSRC2:USER_SGPR: 2
; COMPUTE_PGM_RSRC2:TRAP_HANDLER: 0
; COMPUTE_PGM_RSRC2:TGID_X_EN: 1
; COMPUTE_PGM_RSRC2:TGID_Y_EN: 0
; COMPUTE_PGM_RSRC2:TGID_Z_EN: 0
; COMPUTE_PGM_RSRC2:TIDIG_COMP_CNT: 0
	.section	.text._ZN7rocprim17ROCPRIM_400000_NS6detail17trampoline_kernelINS0_14default_configENS1_21merge_config_selectorINS0_5tupleIJffEEENS0_10empty_typeEEEZNS1_10merge_implIS3_NS0_12zip_iteratorINS5_IJN6thrust23THRUST_200600_302600_NS6detail15normal_iteratorINSC_10device_ptrIKfEEEESI_EEEEESK_NSA_INS5_IJNSE_INSF_IfEEEESM_EEEEEPS7_SP_SP_NSC_11hip_rocprim7__merge17predicate_wrapperIffNSC_7greaterIfEEEEEE10hipError_tPvRmT0_T1_T2_T3_T4_T5_mmT6_P12ihipStream_tbEUlT_E_NS1_11comp_targetILNS1_3genE8ELNS1_11target_archE1030ELNS1_3gpuE2ELNS1_3repE0EEENS1_30default_config_static_selectorELNS0_4arch9wavefront6targetE0EEEvS10_,"axG",@progbits,_ZN7rocprim17ROCPRIM_400000_NS6detail17trampoline_kernelINS0_14default_configENS1_21merge_config_selectorINS0_5tupleIJffEEENS0_10empty_typeEEEZNS1_10merge_implIS3_NS0_12zip_iteratorINS5_IJN6thrust23THRUST_200600_302600_NS6detail15normal_iteratorINSC_10device_ptrIKfEEEESI_EEEEESK_NSA_INS5_IJNSE_INSF_IfEEEESM_EEEEEPS7_SP_SP_NSC_11hip_rocprim7__merge17predicate_wrapperIffNSC_7greaterIfEEEEEE10hipError_tPvRmT0_T1_T2_T3_T4_T5_mmT6_P12ihipStream_tbEUlT_E_NS1_11comp_targetILNS1_3genE8ELNS1_11target_archE1030ELNS1_3gpuE2ELNS1_3repE0EEENS1_30default_config_static_selectorELNS0_4arch9wavefront6targetE0EEEvS10_,comdat
	.protected	_ZN7rocprim17ROCPRIM_400000_NS6detail17trampoline_kernelINS0_14default_configENS1_21merge_config_selectorINS0_5tupleIJffEEENS0_10empty_typeEEEZNS1_10merge_implIS3_NS0_12zip_iteratorINS5_IJN6thrust23THRUST_200600_302600_NS6detail15normal_iteratorINSC_10device_ptrIKfEEEESI_EEEEESK_NSA_INS5_IJNSE_INSF_IfEEEESM_EEEEEPS7_SP_SP_NSC_11hip_rocprim7__merge17predicate_wrapperIffNSC_7greaterIfEEEEEE10hipError_tPvRmT0_T1_T2_T3_T4_T5_mmT6_P12ihipStream_tbEUlT_E_NS1_11comp_targetILNS1_3genE8ELNS1_11target_archE1030ELNS1_3gpuE2ELNS1_3repE0EEENS1_30default_config_static_selectorELNS0_4arch9wavefront6targetE0EEEvS10_ ; -- Begin function _ZN7rocprim17ROCPRIM_400000_NS6detail17trampoline_kernelINS0_14default_configENS1_21merge_config_selectorINS0_5tupleIJffEEENS0_10empty_typeEEEZNS1_10merge_implIS3_NS0_12zip_iteratorINS5_IJN6thrust23THRUST_200600_302600_NS6detail15normal_iteratorINSC_10device_ptrIKfEEEESI_EEEEESK_NSA_INS5_IJNSE_INSF_IfEEEESM_EEEEEPS7_SP_SP_NSC_11hip_rocprim7__merge17predicate_wrapperIffNSC_7greaterIfEEEEEE10hipError_tPvRmT0_T1_T2_T3_T4_T5_mmT6_P12ihipStream_tbEUlT_E_NS1_11comp_targetILNS1_3genE8ELNS1_11target_archE1030ELNS1_3gpuE2ELNS1_3repE0EEENS1_30default_config_static_selectorELNS0_4arch9wavefront6targetE0EEEvS10_
	.globl	_ZN7rocprim17ROCPRIM_400000_NS6detail17trampoline_kernelINS0_14default_configENS1_21merge_config_selectorINS0_5tupleIJffEEENS0_10empty_typeEEEZNS1_10merge_implIS3_NS0_12zip_iteratorINS5_IJN6thrust23THRUST_200600_302600_NS6detail15normal_iteratorINSC_10device_ptrIKfEEEESI_EEEEESK_NSA_INS5_IJNSE_INSF_IfEEEESM_EEEEEPS7_SP_SP_NSC_11hip_rocprim7__merge17predicate_wrapperIffNSC_7greaterIfEEEEEE10hipError_tPvRmT0_T1_T2_T3_T4_T5_mmT6_P12ihipStream_tbEUlT_E_NS1_11comp_targetILNS1_3genE8ELNS1_11target_archE1030ELNS1_3gpuE2ELNS1_3repE0EEENS1_30default_config_static_selectorELNS0_4arch9wavefront6targetE0EEEvS10_
	.p2align	8
	.type	_ZN7rocprim17ROCPRIM_400000_NS6detail17trampoline_kernelINS0_14default_configENS1_21merge_config_selectorINS0_5tupleIJffEEENS0_10empty_typeEEEZNS1_10merge_implIS3_NS0_12zip_iteratorINS5_IJN6thrust23THRUST_200600_302600_NS6detail15normal_iteratorINSC_10device_ptrIKfEEEESI_EEEEESK_NSA_INS5_IJNSE_INSF_IfEEEESM_EEEEEPS7_SP_SP_NSC_11hip_rocprim7__merge17predicate_wrapperIffNSC_7greaterIfEEEEEE10hipError_tPvRmT0_T1_T2_T3_T4_T5_mmT6_P12ihipStream_tbEUlT_E_NS1_11comp_targetILNS1_3genE8ELNS1_11target_archE1030ELNS1_3gpuE2ELNS1_3repE0EEENS1_30default_config_static_selectorELNS0_4arch9wavefront6targetE0EEEvS10_,@function
_ZN7rocprim17ROCPRIM_400000_NS6detail17trampoline_kernelINS0_14default_configENS1_21merge_config_selectorINS0_5tupleIJffEEENS0_10empty_typeEEEZNS1_10merge_implIS3_NS0_12zip_iteratorINS5_IJN6thrust23THRUST_200600_302600_NS6detail15normal_iteratorINSC_10device_ptrIKfEEEESI_EEEEESK_NSA_INS5_IJNSE_INSF_IfEEEESM_EEEEEPS7_SP_SP_NSC_11hip_rocprim7__merge17predicate_wrapperIffNSC_7greaterIfEEEEEE10hipError_tPvRmT0_T1_T2_T3_T4_T5_mmT6_P12ihipStream_tbEUlT_E_NS1_11comp_targetILNS1_3genE8ELNS1_11target_archE1030ELNS1_3gpuE2ELNS1_3repE0EEENS1_30default_config_static_selectorELNS0_4arch9wavefront6targetE0EEEvS10_: ; @_ZN7rocprim17ROCPRIM_400000_NS6detail17trampoline_kernelINS0_14default_configENS1_21merge_config_selectorINS0_5tupleIJffEEENS0_10empty_typeEEEZNS1_10merge_implIS3_NS0_12zip_iteratorINS5_IJN6thrust23THRUST_200600_302600_NS6detail15normal_iteratorINSC_10device_ptrIKfEEEESI_EEEEESK_NSA_INS5_IJNSE_INSF_IfEEEESM_EEEEEPS7_SP_SP_NSC_11hip_rocprim7__merge17predicate_wrapperIffNSC_7greaterIfEEEEEE10hipError_tPvRmT0_T1_T2_T3_T4_T5_mmT6_P12ihipStream_tbEUlT_E_NS1_11comp_targetILNS1_3genE8ELNS1_11target_archE1030ELNS1_3gpuE2ELNS1_3repE0EEENS1_30default_config_static_selectorELNS0_4arch9wavefront6targetE0EEEvS10_
; %bb.0:
	.section	.rodata,"a",@progbits
	.p2align	6, 0x0
	.amdhsa_kernel _ZN7rocprim17ROCPRIM_400000_NS6detail17trampoline_kernelINS0_14default_configENS1_21merge_config_selectorINS0_5tupleIJffEEENS0_10empty_typeEEEZNS1_10merge_implIS3_NS0_12zip_iteratorINS5_IJN6thrust23THRUST_200600_302600_NS6detail15normal_iteratorINSC_10device_ptrIKfEEEESI_EEEEESK_NSA_INS5_IJNSE_INSF_IfEEEESM_EEEEEPS7_SP_SP_NSC_11hip_rocprim7__merge17predicate_wrapperIffNSC_7greaterIfEEEEEE10hipError_tPvRmT0_T1_T2_T3_T4_T5_mmT6_P12ihipStream_tbEUlT_E_NS1_11comp_targetILNS1_3genE8ELNS1_11target_archE1030ELNS1_3gpuE2ELNS1_3repE0EEENS1_30default_config_static_selectorELNS0_4arch9wavefront6targetE0EEEvS10_
		.amdhsa_group_segment_fixed_size 0
		.amdhsa_private_segment_fixed_size 0
		.amdhsa_kernarg_size 64
		.amdhsa_user_sgpr_count 2
		.amdhsa_user_sgpr_dispatch_ptr 0
		.amdhsa_user_sgpr_queue_ptr 0
		.amdhsa_user_sgpr_kernarg_segment_ptr 1
		.amdhsa_user_sgpr_dispatch_id 0
		.amdhsa_user_sgpr_kernarg_preload_length 0
		.amdhsa_user_sgpr_kernarg_preload_offset 0
		.amdhsa_user_sgpr_private_segment_size 0
		.amdhsa_wavefront_size32 1
		.amdhsa_uses_dynamic_stack 0
		.amdhsa_enable_private_segment 0
		.amdhsa_system_sgpr_workgroup_id_x 1
		.amdhsa_system_sgpr_workgroup_id_y 0
		.amdhsa_system_sgpr_workgroup_id_z 0
		.amdhsa_system_sgpr_workgroup_info 0
		.amdhsa_system_vgpr_workitem_id 0
		.amdhsa_next_free_vgpr 1
		.amdhsa_next_free_sgpr 1
		.amdhsa_named_barrier_count 0
		.amdhsa_reserve_vcc 0
		.amdhsa_float_round_mode_32 0
		.amdhsa_float_round_mode_16_64 0
		.amdhsa_float_denorm_mode_32 3
		.amdhsa_float_denorm_mode_16_64 3
		.amdhsa_fp16_overflow 0
		.amdhsa_memory_ordered 1
		.amdhsa_forward_progress 1
		.amdhsa_inst_pref_size 0
		.amdhsa_round_robin_scheduling 0
		.amdhsa_exception_fp_ieee_invalid_op 0
		.amdhsa_exception_fp_denorm_src 0
		.amdhsa_exception_fp_ieee_div_zero 0
		.amdhsa_exception_fp_ieee_overflow 0
		.amdhsa_exception_fp_ieee_underflow 0
		.amdhsa_exception_fp_ieee_inexact 0
		.amdhsa_exception_int_div_zero 0
	.end_amdhsa_kernel
	.section	.text._ZN7rocprim17ROCPRIM_400000_NS6detail17trampoline_kernelINS0_14default_configENS1_21merge_config_selectorINS0_5tupleIJffEEENS0_10empty_typeEEEZNS1_10merge_implIS3_NS0_12zip_iteratorINS5_IJN6thrust23THRUST_200600_302600_NS6detail15normal_iteratorINSC_10device_ptrIKfEEEESI_EEEEESK_NSA_INS5_IJNSE_INSF_IfEEEESM_EEEEEPS7_SP_SP_NSC_11hip_rocprim7__merge17predicate_wrapperIffNSC_7greaterIfEEEEEE10hipError_tPvRmT0_T1_T2_T3_T4_T5_mmT6_P12ihipStream_tbEUlT_E_NS1_11comp_targetILNS1_3genE8ELNS1_11target_archE1030ELNS1_3gpuE2ELNS1_3repE0EEENS1_30default_config_static_selectorELNS0_4arch9wavefront6targetE0EEEvS10_,"axG",@progbits,_ZN7rocprim17ROCPRIM_400000_NS6detail17trampoline_kernelINS0_14default_configENS1_21merge_config_selectorINS0_5tupleIJffEEENS0_10empty_typeEEEZNS1_10merge_implIS3_NS0_12zip_iteratorINS5_IJN6thrust23THRUST_200600_302600_NS6detail15normal_iteratorINSC_10device_ptrIKfEEEESI_EEEEESK_NSA_INS5_IJNSE_INSF_IfEEEESM_EEEEEPS7_SP_SP_NSC_11hip_rocprim7__merge17predicate_wrapperIffNSC_7greaterIfEEEEEE10hipError_tPvRmT0_T1_T2_T3_T4_T5_mmT6_P12ihipStream_tbEUlT_E_NS1_11comp_targetILNS1_3genE8ELNS1_11target_archE1030ELNS1_3gpuE2ELNS1_3repE0EEENS1_30default_config_static_selectorELNS0_4arch9wavefront6targetE0EEEvS10_,comdat
.Lfunc_end343:
	.size	_ZN7rocprim17ROCPRIM_400000_NS6detail17trampoline_kernelINS0_14default_configENS1_21merge_config_selectorINS0_5tupleIJffEEENS0_10empty_typeEEEZNS1_10merge_implIS3_NS0_12zip_iteratorINS5_IJN6thrust23THRUST_200600_302600_NS6detail15normal_iteratorINSC_10device_ptrIKfEEEESI_EEEEESK_NSA_INS5_IJNSE_INSF_IfEEEESM_EEEEEPS7_SP_SP_NSC_11hip_rocprim7__merge17predicate_wrapperIffNSC_7greaterIfEEEEEE10hipError_tPvRmT0_T1_T2_T3_T4_T5_mmT6_P12ihipStream_tbEUlT_E_NS1_11comp_targetILNS1_3genE8ELNS1_11target_archE1030ELNS1_3gpuE2ELNS1_3repE0EEENS1_30default_config_static_selectorELNS0_4arch9wavefront6targetE0EEEvS10_, .Lfunc_end343-_ZN7rocprim17ROCPRIM_400000_NS6detail17trampoline_kernelINS0_14default_configENS1_21merge_config_selectorINS0_5tupleIJffEEENS0_10empty_typeEEEZNS1_10merge_implIS3_NS0_12zip_iteratorINS5_IJN6thrust23THRUST_200600_302600_NS6detail15normal_iteratorINSC_10device_ptrIKfEEEESI_EEEEESK_NSA_INS5_IJNSE_INSF_IfEEEESM_EEEEEPS7_SP_SP_NSC_11hip_rocprim7__merge17predicate_wrapperIffNSC_7greaterIfEEEEEE10hipError_tPvRmT0_T1_T2_T3_T4_T5_mmT6_P12ihipStream_tbEUlT_E_NS1_11comp_targetILNS1_3genE8ELNS1_11target_archE1030ELNS1_3gpuE2ELNS1_3repE0EEENS1_30default_config_static_selectorELNS0_4arch9wavefront6targetE0EEEvS10_
                                        ; -- End function
	.set _ZN7rocprim17ROCPRIM_400000_NS6detail17trampoline_kernelINS0_14default_configENS1_21merge_config_selectorINS0_5tupleIJffEEENS0_10empty_typeEEEZNS1_10merge_implIS3_NS0_12zip_iteratorINS5_IJN6thrust23THRUST_200600_302600_NS6detail15normal_iteratorINSC_10device_ptrIKfEEEESI_EEEEESK_NSA_INS5_IJNSE_INSF_IfEEEESM_EEEEEPS7_SP_SP_NSC_11hip_rocprim7__merge17predicate_wrapperIffNSC_7greaterIfEEEEEE10hipError_tPvRmT0_T1_T2_T3_T4_T5_mmT6_P12ihipStream_tbEUlT_E_NS1_11comp_targetILNS1_3genE8ELNS1_11target_archE1030ELNS1_3gpuE2ELNS1_3repE0EEENS1_30default_config_static_selectorELNS0_4arch9wavefront6targetE0EEEvS10_.num_vgpr, 0
	.set _ZN7rocprim17ROCPRIM_400000_NS6detail17trampoline_kernelINS0_14default_configENS1_21merge_config_selectorINS0_5tupleIJffEEENS0_10empty_typeEEEZNS1_10merge_implIS3_NS0_12zip_iteratorINS5_IJN6thrust23THRUST_200600_302600_NS6detail15normal_iteratorINSC_10device_ptrIKfEEEESI_EEEEESK_NSA_INS5_IJNSE_INSF_IfEEEESM_EEEEEPS7_SP_SP_NSC_11hip_rocprim7__merge17predicate_wrapperIffNSC_7greaterIfEEEEEE10hipError_tPvRmT0_T1_T2_T3_T4_T5_mmT6_P12ihipStream_tbEUlT_E_NS1_11comp_targetILNS1_3genE8ELNS1_11target_archE1030ELNS1_3gpuE2ELNS1_3repE0EEENS1_30default_config_static_selectorELNS0_4arch9wavefront6targetE0EEEvS10_.num_agpr, 0
	.set _ZN7rocprim17ROCPRIM_400000_NS6detail17trampoline_kernelINS0_14default_configENS1_21merge_config_selectorINS0_5tupleIJffEEENS0_10empty_typeEEEZNS1_10merge_implIS3_NS0_12zip_iteratorINS5_IJN6thrust23THRUST_200600_302600_NS6detail15normal_iteratorINSC_10device_ptrIKfEEEESI_EEEEESK_NSA_INS5_IJNSE_INSF_IfEEEESM_EEEEEPS7_SP_SP_NSC_11hip_rocprim7__merge17predicate_wrapperIffNSC_7greaterIfEEEEEE10hipError_tPvRmT0_T1_T2_T3_T4_T5_mmT6_P12ihipStream_tbEUlT_E_NS1_11comp_targetILNS1_3genE8ELNS1_11target_archE1030ELNS1_3gpuE2ELNS1_3repE0EEENS1_30default_config_static_selectorELNS0_4arch9wavefront6targetE0EEEvS10_.numbered_sgpr, 0
	.set _ZN7rocprim17ROCPRIM_400000_NS6detail17trampoline_kernelINS0_14default_configENS1_21merge_config_selectorINS0_5tupleIJffEEENS0_10empty_typeEEEZNS1_10merge_implIS3_NS0_12zip_iteratorINS5_IJN6thrust23THRUST_200600_302600_NS6detail15normal_iteratorINSC_10device_ptrIKfEEEESI_EEEEESK_NSA_INS5_IJNSE_INSF_IfEEEESM_EEEEEPS7_SP_SP_NSC_11hip_rocprim7__merge17predicate_wrapperIffNSC_7greaterIfEEEEEE10hipError_tPvRmT0_T1_T2_T3_T4_T5_mmT6_P12ihipStream_tbEUlT_E_NS1_11comp_targetILNS1_3genE8ELNS1_11target_archE1030ELNS1_3gpuE2ELNS1_3repE0EEENS1_30default_config_static_selectorELNS0_4arch9wavefront6targetE0EEEvS10_.num_named_barrier, 0
	.set _ZN7rocprim17ROCPRIM_400000_NS6detail17trampoline_kernelINS0_14default_configENS1_21merge_config_selectorINS0_5tupleIJffEEENS0_10empty_typeEEEZNS1_10merge_implIS3_NS0_12zip_iteratorINS5_IJN6thrust23THRUST_200600_302600_NS6detail15normal_iteratorINSC_10device_ptrIKfEEEESI_EEEEESK_NSA_INS5_IJNSE_INSF_IfEEEESM_EEEEEPS7_SP_SP_NSC_11hip_rocprim7__merge17predicate_wrapperIffNSC_7greaterIfEEEEEE10hipError_tPvRmT0_T1_T2_T3_T4_T5_mmT6_P12ihipStream_tbEUlT_E_NS1_11comp_targetILNS1_3genE8ELNS1_11target_archE1030ELNS1_3gpuE2ELNS1_3repE0EEENS1_30default_config_static_selectorELNS0_4arch9wavefront6targetE0EEEvS10_.private_seg_size, 0
	.set _ZN7rocprim17ROCPRIM_400000_NS6detail17trampoline_kernelINS0_14default_configENS1_21merge_config_selectorINS0_5tupleIJffEEENS0_10empty_typeEEEZNS1_10merge_implIS3_NS0_12zip_iteratorINS5_IJN6thrust23THRUST_200600_302600_NS6detail15normal_iteratorINSC_10device_ptrIKfEEEESI_EEEEESK_NSA_INS5_IJNSE_INSF_IfEEEESM_EEEEEPS7_SP_SP_NSC_11hip_rocprim7__merge17predicate_wrapperIffNSC_7greaterIfEEEEEE10hipError_tPvRmT0_T1_T2_T3_T4_T5_mmT6_P12ihipStream_tbEUlT_E_NS1_11comp_targetILNS1_3genE8ELNS1_11target_archE1030ELNS1_3gpuE2ELNS1_3repE0EEENS1_30default_config_static_selectorELNS0_4arch9wavefront6targetE0EEEvS10_.uses_vcc, 0
	.set _ZN7rocprim17ROCPRIM_400000_NS6detail17trampoline_kernelINS0_14default_configENS1_21merge_config_selectorINS0_5tupleIJffEEENS0_10empty_typeEEEZNS1_10merge_implIS3_NS0_12zip_iteratorINS5_IJN6thrust23THRUST_200600_302600_NS6detail15normal_iteratorINSC_10device_ptrIKfEEEESI_EEEEESK_NSA_INS5_IJNSE_INSF_IfEEEESM_EEEEEPS7_SP_SP_NSC_11hip_rocprim7__merge17predicate_wrapperIffNSC_7greaterIfEEEEEE10hipError_tPvRmT0_T1_T2_T3_T4_T5_mmT6_P12ihipStream_tbEUlT_E_NS1_11comp_targetILNS1_3genE8ELNS1_11target_archE1030ELNS1_3gpuE2ELNS1_3repE0EEENS1_30default_config_static_selectorELNS0_4arch9wavefront6targetE0EEEvS10_.uses_flat_scratch, 0
	.set _ZN7rocprim17ROCPRIM_400000_NS6detail17trampoline_kernelINS0_14default_configENS1_21merge_config_selectorINS0_5tupleIJffEEENS0_10empty_typeEEEZNS1_10merge_implIS3_NS0_12zip_iteratorINS5_IJN6thrust23THRUST_200600_302600_NS6detail15normal_iteratorINSC_10device_ptrIKfEEEESI_EEEEESK_NSA_INS5_IJNSE_INSF_IfEEEESM_EEEEEPS7_SP_SP_NSC_11hip_rocprim7__merge17predicate_wrapperIffNSC_7greaterIfEEEEEE10hipError_tPvRmT0_T1_T2_T3_T4_T5_mmT6_P12ihipStream_tbEUlT_E_NS1_11comp_targetILNS1_3genE8ELNS1_11target_archE1030ELNS1_3gpuE2ELNS1_3repE0EEENS1_30default_config_static_selectorELNS0_4arch9wavefront6targetE0EEEvS10_.has_dyn_sized_stack, 0
	.set _ZN7rocprim17ROCPRIM_400000_NS6detail17trampoline_kernelINS0_14default_configENS1_21merge_config_selectorINS0_5tupleIJffEEENS0_10empty_typeEEEZNS1_10merge_implIS3_NS0_12zip_iteratorINS5_IJN6thrust23THRUST_200600_302600_NS6detail15normal_iteratorINSC_10device_ptrIKfEEEESI_EEEEESK_NSA_INS5_IJNSE_INSF_IfEEEESM_EEEEEPS7_SP_SP_NSC_11hip_rocprim7__merge17predicate_wrapperIffNSC_7greaterIfEEEEEE10hipError_tPvRmT0_T1_T2_T3_T4_T5_mmT6_P12ihipStream_tbEUlT_E_NS1_11comp_targetILNS1_3genE8ELNS1_11target_archE1030ELNS1_3gpuE2ELNS1_3repE0EEENS1_30default_config_static_selectorELNS0_4arch9wavefront6targetE0EEEvS10_.has_recursion, 0
	.set _ZN7rocprim17ROCPRIM_400000_NS6detail17trampoline_kernelINS0_14default_configENS1_21merge_config_selectorINS0_5tupleIJffEEENS0_10empty_typeEEEZNS1_10merge_implIS3_NS0_12zip_iteratorINS5_IJN6thrust23THRUST_200600_302600_NS6detail15normal_iteratorINSC_10device_ptrIKfEEEESI_EEEEESK_NSA_INS5_IJNSE_INSF_IfEEEESM_EEEEEPS7_SP_SP_NSC_11hip_rocprim7__merge17predicate_wrapperIffNSC_7greaterIfEEEEEE10hipError_tPvRmT0_T1_T2_T3_T4_T5_mmT6_P12ihipStream_tbEUlT_E_NS1_11comp_targetILNS1_3genE8ELNS1_11target_archE1030ELNS1_3gpuE2ELNS1_3repE0EEENS1_30default_config_static_selectorELNS0_4arch9wavefront6targetE0EEEvS10_.has_indirect_call, 0
	.section	.AMDGPU.csdata,"",@progbits
; Kernel info:
; codeLenInByte = 0
; TotalNumSgprs: 0
; NumVgprs: 0
; ScratchSize: 0
; MemoryBound: 0
; FloatMode: 240
; IeeeMode: 1
; LDSByteSize: 0 bytes/workgroup (compile time only)
; SGPRBlocks: 0
; VGPRBlocks: 0
; NumSGPRsForWavesPerEU: 1
; NumVGPRsForWavesPerEU: 1
; NamedBarCnt: 0
; Occupancy: 16
; WaveLimiterHint : 0
; COMPUTE_PGM_RSRC2:SCRATCH_EN: 0
; COMPUTE_PGM_RSRC2:USER_SGPR: 2
; COMPUTE_PGM_RSRC2:TRAP_HANDLER: 0
; COMPUTE_PGM_RSRC2:TGID_X_EN: 1
; COMPUTE_PGM_RSRC2:TGID_Y_EN: 0
; COMPUTE_PGM_RSRC2:TGID_Z_EN: 0
; COMPUTE_PGM_RSRC2:TIDIG_COMP_CNT: 0
	.section	.text._ZN7rocprim17ROCPRIM_400000_NS6detail17trampoline_kernelINS0_14default_configENS1_21merge_config_selectorINS0_5tupleIJffEEENS0_10empty_typeEEEZNS1_10merge_implIS3_NS0_12zip_iteratorINS5_IJN6thrust23THRUST_200600_302600_NS6detail15normal_iteratorINSC_10device_ptrIKfEEEESI_EEEEESK_NSA_INS5_IJNSE_INSF_IfEEEESM_EEEEEPS7_SP_SP_NSC_11hip_rocprim7__merge17predicate_wrapperIffNSC_7greaterIfEEEEEE10hipError_tPvRmT0_T1_T2_T3_T4_T5_mmT6_P12ihipStream_tbEUlT_E0_NS1_11comp_targetILNS1_3genE0ELNS1_11target_archE4294967295ELNS1_3gpuE0ELNS1_3repE0EEENS1_30default_config_static_selectorELNS0_4arch9wavefront6targetE0EEEvS10_,"axG",@progbits,_ZN7rocprim17ROCPRIM_400000_NS6detail17trampoline_kernelINS0_14default_configENS1_21merge_config_selectorINS0_5tupleIJffEEENS0_10empty_typeEEEZNS1_10merge_implIS3_NS0_12zip_iteratorINS5_IJN6thrust23THRUST_200600_302600_NS6detail15normal_iteratorINSC_10device_ptrIKfEEEESI_EEEEESK_NSA_INS5_IJNSE_INSF_IfEEEESM_EEEEEPS7_SP_SP_NSC_11hip_rocprim7__merge17predicate_wrapperIffNSC_7greaterIfEEEEEE10hipError_tPvRmT0_T1_T2_T3_T4_T5_mmT6_P12ihipStream_tbEUlT_E0_NS1_11comp_targetILNS1_3genE0ELNS1_11target_archE4294967295ELNS1_3gpuE0ELNS1_3repE0EEENS1_30default_config_static_selectorELNS0_4arch9wavefront6targetE0EEEvS10_,comdat
	.protected	_ZN7rocprim17ROCPRIM_400000_NS6detail17trampoline_kernelINS0_14default_configENS1_21merge_config_selectorINS0_5tupleIJffEEENS0_10empty_typeEEEZNS1_10merge_implIS3_NS0_12zip_iteratorINS5_IJN6thrust23THRUST_200600_302600_NS6detail15normal_iteratorINSC_10device_ptrIKfEEEESI_EEEEESK_NSA_INS5_IJNSE_INSF_IfEEEESM_EEEEEPS7_SP_SP_NSC_11hip_rocprim7__merge17predicate_wrapperIffNSC_7greaterIfEEEEEE10hipError_tPvRmT0_T1_T2_T3_T4_T5_mmT6_P12ihipStream_tbEUlT_E0_NS1_11comp_targetILNS1_3genE0ELNS1_11target_archE4294967295ELNS1_3gpuE0ELNS1_3repE0EEENS1_30default_config_static_selectorELNS0_4arch9wavefront6targetE0EEEvS10_ ; -- Begin function _ZN7rocprim17ROCPRIM_400000_NS6detail17trampoline_kernelINS0_14default_configENS1_21merge_config_selectorINS0_5tupleIJffEEENS0_10empty_typeEEEZNS1_10merge_implIS3_NS0_12zip_iteratorINS5_IJN6thrust23THRUST_200600_302600_NS6detail15normal_iteratorINSC_10device_ptrIKfEEEESI_EEEEESK_NSA_INS5_IJNSE_INSF_IfEEEESM_EEEEEPS7_SP_SP_NSC_11hip_rocprim7__merge17predicate_wrapperIffNSC_7greaterIfEEEEEE10hipError_tPvRmT0_T1_T2_T3_T4_T5_mmT6_P12ihipStream_tbEUlT_E0_NS1_11comp_targetILNS1_3genE0ELNS1_11target_archE4294967295ELNS1_3gpuE0ELNS1_3repE0EEENS1_30default_config_static_selectorELNS0_4arch9wavefront6targetE0EEEvS10_
	.globl	_ZN7rocprim17ROCPRIM_400000_NS6detail17trampoline_kernelINS0_14default_configENS1_21merge_config_selectorINS0_5tupleIJffEEENS0_10empty_typeEEEZNS1_10merge_implIS3_NS0_12zip_iteratorINS5_IJN6thrust23THRUST_200600_302600_NS6detail15normal_iteratorINSC_10device_ptrIKfEEEESI_EEEEESK_NSA_INS5_IJNSE_INSF_IfEEEESM_EEEEEPS7_SP_SP_NSC_11hip_rocprim7__merge17predicate_wrapperIffNSC_7greaterIfEEEEEE10hipError_tPvRmT0_T1_T2_T3_T4_T5_mmT6_P12ihipStream_tbEUlT_E0_NS1_11comp_targetILNS1_3genE0ELNS1_11target_archE4294967295ELNS1_3gpuE0ELNS1_3repE0EEENS1_30default_config_static_selectorELNS0_4arch9wavefront6targetE0EEEvS10_
	.p2align	8
	.type	_ZN7rocprim17ROCPRIM_400000_NS6detail17trampoline_kernelINS0_14default_configENS1_21merge_config_selectorINS0_5tupleIJffEEENS0_10empty_typeEEEZNS1_10merge_implIS3_NS0_12zip_iteratorINS5_IJN6thrust23THRUST_200600_302600_NS6detail15normal_iteratorINSC_10device_ptrIKfEEEESI_EEEEESK_NSA_INS5_IJNSE_INSF_IfEEEESM_EEEEEPS7_SP_SP_NSC_11hip_rocprim7__merge17predicate_wrapperIffNSC_7greaterIfEEEEEE10hipError_tPvRmT0_T1_T2_T3_T4_T5_mmT6_P12ihipStream_tbEUlT_E0_NS1_11comp_targetILNS1_3genE0ELNS1_11target_archE4294967295ELNS1_3gpuE0ELNS1_3repE0EEENS1_30default_config_static_selectorELNS0_4arch9wavefront6targetE0EEEvS10_,@function
_ZN7rocprim17ROCPRIM_400000_NS6detail17trampoline_kernelINS0_14default_configENS1_21merge_config_selectorINS0_5tupleIJffEEENS0_10empty_typeEEEZNS1_10merge_implIS3_NS0_12zip_iteratorINS5_IJN6thrust23THRUST_200600_302600_NS6detail15normal_iteratorINSC_10device_ptrIKfEEEESI_EEEEESK_NSA_INS5_IJNSE_INSF_IfEEEESM_EEEEEPS7_SP_SP_NSC_11hip_rocprim7__merge17predicate_wrapperIffNSC_7greaterIfEEEEEE10hipError_tPvRmT0_T1_T2_T3_T4_T5_mmT6_P12ihipStream_tbEUlT_E0_NS1_11comp_targetILNS1_3genE0ELNS1_11target_archE4294967295ELNS1_3gpuE0ELNS1_3repE0EEENS1_30default_config_static_selectorELNS0_4arch9wavefront6targetE0EEEvS10_: ; @_ZN7rocprim17ROCPRIM_400000_NS6detail17trampoline_kernelINS0_14default_configENS1_21merge_config_selectorINS0_5tupleIJffEEENS0_10empty_typeEEEZNS1_10merge_implIS3_NS0_12zip_iteratorINS5_IJN6thrust23THRUST_200600_302600_NS6detail15normal_iteratorINSC_10device_ptrIKfEEEESI_EEEEESK_NSA_INS5_IJNSE_INSF_IfEEEESM_EEEEEPS7_SP_SP_NSC_11hip_rocprim7__merge17predicate_wrapperIffNSC_7greaterIfEEEEEE10hipError_tPvRmT0_T1_T2_T3_T4_T5_mmT6_P12ihipStream_tbEUlT_E0_NS1_11comp_targetILNS1_3genE0ELNS1_11target_archE4294967295ELNS1_3gpuE0ELNS1_3repE0EEENS1_30default_config_static_selectorELNS0_4arch9wavefront6targetE0EEEvS10_
; %bb.0:
	s_clause 0x1
	s_load_b128 s[12:15], s[0:1], 0x58
	s_load_b256 s[4:11], s[0:1], 0x8
	s_bfe_u32 s2, ttmp6, 0x4000c
	s_and_b32 s3, ttmp6, 15
	s_add_co_i32 s2, s2, 1
	s_wait_kmcnt 0x0
	s_getreg_b32 s13, hwreg(HW_REG_IB_STS2, 6, 4)
	s_mul_i32 s2, ttmp9, s2
	s_mov_b32 s19, 0
	s_add_co_i32 s3, s3, s2
	s_cmp_eq_u32 s13, 0
	v_mov_b32_e32 v1, 0
	s_cselect_b32 s2, ttmp9, s3
	s_add_co_i32 s24, s14, s12
	s_add_co_i32 s12, s2, 1
	;; [unrolled: 1-line block ×3, first 2 shown]
	s_delay_alu instid0(SALU_CYCLE_1) | instskip(NEXT) | instid1(SALU_CYCLE_1)
	s_lshr_b32 s3, s3, 8
	s_mul_hi_u32 s3, s3, 0x24924925
	s_delay_alu instid0(SALU_CYCLE_1)
	s_min_u32 s16, s2, s3
	s_min_u32 s3, s12, s3
	s_clause 0x1
	s_load_b32 s18, s[4:5], s16 offset:0x0 scale_offset
	s_load_b32 s17, s[4:5], s3 offset:0x0 scale_offset
	s_load_b128 s[12:15], s[0:1], 0x28
	s_wait_xcnt 0x0
	s_mul_i32 s16, s2, 0x700
	s_mov_b32 s3, s19
	s_add_co_i32 s2, s16, 0x700
	s_delay_alu instid0(SALU_CYCLE_1)
	s_min_u32 s25, s24, s2
	s_wait_kmcnt 0x0
	s_sub_co_i32 s2, s16, s18
	s_lshl_b64 s[22:23], s[18:19], 2
	s_lshl_b64 s[20:21], s[2:3], 2
	s_add_co_i32 s2, s2, s17
	s_sub_co_i32 s18, s17, s18
	s_sub_co_i32 s2, s25, s2
	s_add_nc_u64 s[4:5], s[10:11], s[20:21]
	s_add_nc_u64 s[10:11], s[12:13], s[20:21]
	;; [unrolled: 1-line block ×3, first 2 shown]
	s_mov_b32 s3, exec_lo
	v_cmpx_le_u32_e64 s18, v0
	s_xor_b32 s3, exec_lo, s3
	s_cbranch_execz .LBB344_4
; %bb.1:
	s_mov_b32 s12, exec_lo
	v_cmpx_gt_u64_e64 s[20:21], v[0:1]
	s_cbranch_execz .LBB344_3
; %bb.2:
	v_subrev_nc_u32_e32 v4, s18, v0
	s_clause 0x1
	global_load_b32 v2, v4, s[4:5] scale_offset
	global_load_b32 v3, v4, s[10:11] scale_offset
	s_wait_xcnt 0x0
	v_lshlrev_b32_e32 v4, 3, v0
	s_wait_loadcnt 0x0
	ds_store_b64 v4, v[2:3]
.LBB344_3:
	s_or_b32 exec_lo, exec_lo, s12
.LBB344_4:
	s_or_saveexec_b32 s3, s3
	v_lshlrev_b32_e32 v2, 3, v0
	s_add_nc_u64 s[6:7], s[6:7], s[22:23]
	s_add_nc_u64 s[12:13], s[8:9], s[22:23]
	s_xor_b32 exec_lo, exec_lo, s3
	s_cbranch_execz .LBB344_6
; %bb.5:
	s_clause 0x1
	global_load_b32 v4, v0, s[6:7] scale_offset
	global_load_b32 v5, v0, s[12:13] scale_offset
	s_wait_loadcnt 0x0
	ds_store_b64 v2, v[4:5]
.LBB344_6:
	s_or_b32 exec_lo, exec_lo, s3
	v_or_b32_e32 v14, 0x100, v0
	v_mov_b32_e32 v15, 0
	s_mov_b32 s3, exec_lo
	s_delay_alu instid0(VALU_DEP_2)
	v_cmpx_le_u32_e64 s18, v14
	s_xor_b32 s3, exec_lo, s3
	s_cbranch_execz .LBB344_10
; %bb.7:
	s_mov_b32 s8, exec_lo
	v_cmpx_gt_u64_e64 s[20:21], v[14:15]
	s_cbranch_execz .LBB344_9
; %bb.8:
	v_sub_nc_u64_e64 v[4:5], v[0:1], s[18:19]
	s_delay_alu instid0(VALU_DEP_1) | instskip(NEXT) | instid1(VALU_DEP_1)
	v_lshlrev_b64_e32 v[4:5], 2, v[4:5]
	v_add_nc_u64_e32 v[6:7], s[4:5], v[4:5]
	v_add_nc_u64_e32 v[4:5], s[10:11], v[4:5]
	global_load_b32 v8, v[6:7], off offset:1024
	global_load_b32 v9, v[4:5], off offset:1024
	s_wait_loadcnt 0x0
	ds_store_b64 v2, v[8:9] offset:2048
.LBB344_9:
	s_or_b32 exec_lo, exec_lo, s8
.LBB344_10:
	s_and_not1_saveexec_b32 s3, s3
	s_cbranch_execz .LBB344_12
; %bb.11:
	s_clause 0x1
	global_load_b32 v4, v0, s[6:7] offset:1024 scale_offset
	global_load_b32 v5, v0, s[12:13] offset:1024 scale_offset
	s_wait_loadcnt 0x0
	ds_store_b64 v2, v[4:5] offset:2048
.LBB344_12:
	s_or_b32 exec_lo, exec_lo, s3
	v_or_b32_e32 v16, 0x200, v0
	v_mov_b32_e32 v17, 0
	s_mov_b32 s3, exec_lo
	s_delay_alu instid0(VALU_DEP_2)
	v_cmpx_le_u32_e64 s18, v16
	s_xor_b32 s3, exec_lo, s3
	s_cbranch_execz .LBB344_16
; %bb.13:
	s_mov_b32 s8, exec_lo
	v_cmpx_gt_u64_e64 s[20:21], v[16:17]
	s_cbranch_execz .LBB344_15
; %bb.14:
	v_sub_nc_u64_e64 v[4:5], v[0:1], s[18:19]
	s_delay_alu instid0(VALU_DEP_1) | instskip(NEXT) | instid1(VALU_DEP_1)
	v_lshlrev_b64_e32 v[4:5], 2, v[4:5]
	v_add_nc_u64_e32 v[6:7], s[4:5], v[4:5]
	v_add_nc_u64_e32 v[4:5], s[10:11], v[4:5]
	global_load_b32 v8, v[6:7], off offset:2048
	global_load_b32 v9, v[4:5], off offset:2048
	s_wait_loadcnt 0x0
	ds_store_b64 v2, v[8:9] offset:4096
.LBB344_15:
	s_or_b32 exec_lo, exec_lo, s8
.LBB344_16:
	s_and_not1_saveexec_b32 s3, s3
	s_cbranch_execz .LBB344_18
; %bb.17:
	s_clause 0x1
	global_load_b32 v4, v0, s[6:7] offset:2048 scale_offset
	global_load_b32 v5, v0, s[12:13] offset:2048 scale_offset
	s_wait_loadcnt 0x0
	ds_store_b64 v2, v[4:5] offset:4096
.LBB344_18:
	;; [unrolled: 34-line block ×5, first 2 shown]
	s_or_b32 exec_lo, exec_lo, s3
	v_or_b32_e32 v24, 0x600, v0
	v_mov_b32_e32 v25, 0
	s_mov_b32 s3, exec_lo
	s_delay_alu instid0(VALU_DEP_2)
	v_cmpx_le_u32_e64 s18, v24
	s_xor_b32 s3, exec_lo, s3
	s_cbranch_execz .LBB344_40
; %bb.37:
	s_mov_b32 s8, exec_lo
	v_cmpx_gt_u64_e64 s[20:21], v[24:25]
	s_cbranch_execz .LBB344_39
; %bb.38:
	v_sub_nc_u64_e64 v[4:5], v[0:1], s[18:19]
	s_delay_alu instid0(VALU_DEP_1) | instskip(NEXT) | instid1(VALU_DEP_1)
	v_lshlrev_b64_e32 v[4:5], 2, v[4:5]
	v_add_nc_u64_e32 v[6:7], s[4:5], v[4:5]
	v_add_nc_u64_e32 v[4:5], s[10:11], v[4:5]
	global_load_b32 v8, v[6:7], off offset:6144
	global_load_b32 v9, v[4:5], off offset:6144
	s_wait_loadcnt 0x0
	ds_store_b64 v2, v[8:9] offset:12288
.LBB344_39:
	s_or_b32 exec_lo, exec_lo, s8
                                        ; implicit-def: $vgpr2
.LBB344_40:
	s_or_saveexec_b32 s3, s3
	s_load_b64 s[8:9], s[0:1], 0x38
	s_xor_b32 exec_lo, exec_lo, s3
	s_cbranch_execz .LBB344_42
; %bb.41:
	s_clause 0x1
	global_load_b32 v4, v0, s[6:7] offset:6144 scale_offset
	global_load_b32 v5, v0, s[12:13] offset:6144 scale_offset
	s_wait_loadcnt 0x0
	ds_store_b64 v2, v[4:5] offset:12288
.LBB344_42:
	s_or_b32 exec_lo, exec_lo, s3
	v_mul_u32_u24_e32 v2, 7, v0
	s_wait_xcnt 0x0
	s_mov_b32 s0, exec_lo
	s_wait_dscnt 0x0
	s_barrier_signal -1
	s_barrier_wait -1
	v_sub_nc_u32_e64 v15, v2, s2 clamp
	v_min_u32_e32 v3, s18, v2
	v_lshlrev_b32_e32 v1, 3, v2
	s_delay_alu instid0(VALU_DEP_2)
	v_cmpx_lt_u32_e64 v15, v3
	s_cbranch_execz .LBB344_46
; %bb.43:
	s_delay_alu instid0(VALU_DEP_2)
	v_lshl_add_u32 v4, s18, 3, v1
	s_mov_b32 s1, 0
.LBB344_44:                             ; =>This Inner Loop Header: Depth=1
	v_add_nc_u32_e32 v5, v3, v15
	s_delay_alu instid0(VALU_DEP_1) | instskip(NEXT) | instid1(VALU_DEP_1)
	v_lshrrev_b32_e32 v5, 1, v5
	v_not_b32_e32 v6, v5
	v_dual_lshlrev_b32 v7, 3, v5 :: v_dual_add_nc_u32 v8, 1, v5
	s_delay_alu instid0(VALU_DEP_2)
	v_lshl_add_u32 v6, v6, 3, v4
	ds_load_b32 v7, v7
	ds_load_b32 v6, v6
	s_wait_dscnt 0x0
	v_cmp_gt_f32_e32 vcc_lo, v6, v7
	v_dual_cndmask_b32 v3, v3, v5, vcc_lo :: v_dual_cndmask_b32 v15, v8, v15, vcc_lo
	s_delay_alu instid0(VALU_DEP_1) | instskip(SKIP_1) | instid1(SALU_CYCLE_1)
	v_cmp_ge_u32_e32 vcc_lo, v15, v3
	s_or_b32 s1, vcc_lo, s1
	s_and_not1_b32 exec_lo, exec_lo, s1
	s_cbranch_execnz .LBB344_44
; %bb.45:
	s_or_b32 exec_lo, exec_lo, s1
.LBB344_46:
	s_delay_alu instid0(SALU_CYCLE_1) | instskip(SKIP_4) | instid1(VALU_DEP_3)
	s_or_b32 exec_lo, exec_lo, s0
	v_dual_mov_b32 v27, 0 :: v_dual_add_nc_u32 v2, s18, v2
	v_mov_b32_e32 v26, 0
	s_add_co_i32 s10, s2, s18
	v_cmp_ge_u32_e32 vcc_lo, s18, v15
	v_dual_sub_nc_u32 v17, v2, v15 :: v_dual_mov_b32 v13, 0
	v_dual_mov_b32 v12, 0 :: v_dual_mov_b32 v5, 0
	v_mov_b32_e32 v4, 0
	s_delay_alu instid0(VALU_DEP_3)
	v_cmp_ge_u32_e64 s0, s10, v17
	v_dual_mov_b32 v11, 0 :: v_dual_mov_b32 v10, 0
	v_dual_mov_b32 v7, 0 :: v_dual_mov_b32 v6, 0
	;; [unrolled: 1-line block ×4, first 2 shown]
	s_or_b32 s0, vcc_lo, s0
	s_delay_alu instid0(SALU_CYCLE_1)
	s_and_saveexec_b32 s7, s0
	s_cbranch_execz .LBB344_52
; %bb.47:
	v_cmp_gt_u32_e32 vcc_lo, s18, v15
	v_dual_mov_b32 v2, 0 :: v_dual_mov_b32 v4, 0
	v_mov_b32_e32 v5, 0
	s_and_saveexec_b32 s0, vcc_lo
; %bb.48:
	v_lshlrev_b32_e32 v3, 3, v15
	ds_load_b64 v[4:5], v3
; %bb.49:
	s_or_b32 exec_lo, exec_lo, s0
	v_cmp_le_u32_e64 s0, s10, v17
	v_mov_b32_e32 v3, 0
	s_mov_b32 s2, exec_lo
	v_cmpx_gt_u32_e64 s10, v17
; %bb.50:
	v_lshlrev_b32_e32 v2, 3, v17
	ds_load_b64 v[2:3], v2
; %bb.51:
	s_or_b32 exec_lo, exec_lo, s2
	s_wait_dscnt 0x0
	v_cmp_ngt_f32_e64 s1, v2, v4
	s_and_b32 s1, vcc_lo, s1
	s_delay_alu instid0(SALU_CYCLE_1) | instskip(SKIP_1) | instid1(VALU_DEP_1)
	s_or_b32 vcc_lo, s0, s1
	v_dual_mov_b32 v19, s18 :: v_dual_cndmask_b32 v6, v17, v15
	v_dual_cndmask_b32 v7, s10, v19 :: v_dual_add_nc_u32 v8, 1, v6
	s_delay_alu instid0(VALU_DEP_1) | instskip(SKIP_1) | instid1(VALU_DEP_2)
	v_add_min_u32_e64 v6, v7, -1, v8
	v_dual_cndmask_b32 v10, v15, v8 :: v_dual_cndmask_b32 v11, v8, v17
	v_lshlrev_b32_e32 v6, 3, v6
	s_delay_alu instid0(VALU_DEP_2) | instskip(NEXT) | instid1(VALU_DEP_3)
	v_cmp_gt_u32_e64 s0, s18, v10
	v_cmp_le_u32_e64 s2, s10, v11
	ds_load_b64 v[6:7], v6
	s_wait_dscnt 0x0
	v_cndmask_b32_e32 v15, v6, v2, vcc_lo
	v_dual_cndmask_b32 v6, v4, v6, vcc_lo :: v_dual_cndmask_b32 v2, v2, v4, vcc_lo
	s_delay_alu instid0(VALU_DEP_1) | instskip(SKIP_1) | instid1(SALU_CYCLE_1)
	v_cmp_ngt_f32_e64 s1, v15, v6
	s_and_b32 s0, s0, s1
	s_or_b32 s0, s2, s0
	s_delay_alu instid0(SALU_CYCLE_1) | instskip(NEXT) | instid1(VALU_DEP_1)
	v_cndmask_b32_e64 v8, v11, v10, s0
	v_dual_cndmask_b32 v9, s10, v19, s0 :: v_dual_add_nc_u32 v12, 1, v8
	s_delay_alu instid0(VALU_DEP_1) | instskip(SKIP_1) | instid1(VALU_DEP_2)
	v_add_min_u32_e64 v8, v9, -1, v12
	v_cndmask_b32_e64 v13, v10, v12, s0
	v_lshlrev_b32_e32 v8, 3, v8
	s_delay_alu instid0(VALU_DEP_2) | instskip(SKIP_4) | instid1(VALU_DEP_2)
	v_cmp_gt_u32_e64 s1, s18, v13
	ds_load_b64 v[8:9], v8
	s_wait_dscnt 0x0
	v_dual_cndmask_b32 v17, v8, v15, s0 :: v_dual_cndmask_b32 v21, v6, v8, s0
	v_cndmask_b32_e64 v8, v12, v11, s0
	v_cmp_ngt_f32_e64 s2, v17, v21
	s_delay_alu instid0(VALU_DEP_2) | instskip(SKIP_1) | instid1(SALU_CYCLE_1)
	v_cmp_le_u32_e64 s3, s10, v8
	s_and_b32 s1, s1, s2
	s_or_b32 s1, s3, s1
	s_delay_alu instid0(SALU_CYCLE_1) | instskip(NEXT) | instid1(VALU_DEP_1)
	v_cndmask_b32_e64 v10, v8, v13, s1
	v_dual_cndmask_b32 v11, s10, v19, s1 :: v_dual_add_nc_u32 v12, 1, v10
	s_delay_alu instid0(VALU_DEP_1) | instskip(SKIP_1) | instid1(VALU_DEP_2)
	v_add_min_u32_e64 v10, v11, -1, v12
	v_cndmask_b32_e64 v23, v13, v12, s1
	v_dual_cndmask_b32 v8, v12, v8, s1 :: v_dual_lshlrev_b32 v10, 3, v10
	s_delay_alu instid0(VALU_DEP_2) | instskip(NEXT) | instid1(VALU_DEP_2)
	v_cmp_gt_u32_e64 s2, s18, v23
	v_cmp_le_u32_e64 s4, s10, v8
	ds_load_b64 v[10:11], v10
	s_wait_dscnt 0x0
	v_dual_cndmask_b32 v25, v10, v17, s1 :: v_dual_cndmask_b32 v10, v21, v10, s1
	s_delay_alu instid0(VALU_DEP_1) | instskip(SKIP_1) | instid1(SALU_CYCLE_1)
	v_cmp_ngt_f32_e64 s3, v25, v10
	s_and_b32 s2, s2, s3
	s_or_b32 s2, s4, s2
	s_delay_alu instid0(SALU_CYCLE_1) | instskip(NEXT) | instid1(VALU_DEP_1)
	v_cndmask_b32_e64 v12, v8, v23, s2
	v_dual_cndmask_b32 v13, s10, v19, s2 :: v_dual_add_nc_u32 v26, 1, v12
	s_delay_alu instid0(VALU_DEP_1) | instskip(SKIP_1) | instid1(VALU_DEP_2)
	v_add_min_u32_e64 v12, v13, -1, v26
	v_dual_cndmask_b32 v23, v23, v26, s2 :: v_dual_cndmask_b32 v8, v26, v8, s2
	v_lshlrev_b32_e32 v12, 3, v12
	s_delay_alu instid0(VALU_DEP_2) | instskip(NEXT) | instid1(VALU_DEP_3)
	v_cmp_gt_u32_e64 s3, s18, v23
	v_cmp_le_u32_e64 s5, s10, v8
	ds_load_b64 v[12:13], v12
	s_wait_dscnt 0x0
	v_dual_cndmask_b32 v30, v12, v25, s2 :: v_dual_cndmask_b32 v12, v10, v12, s2
	v_cndmask_b32_e64 v10, v25, v10, s2
	s_delay_alu instid0(VALU_DEP_2) | instskip(SKIP_1) | instid1(SALU_CYCLE_1)
	v_cmp_ngt_f32_e64 s4, v30, v12
	s_and_b32 s3, s3, s4
	s_or_b32 s3, s5, s3
	s_delay_alu instid0(SALU_CYCLE_1) | instskip(NEXT) | instid1(VALU_DEP_1)
	v_cndmask_b32_e64 v26, v8, v23, s3
	v_dual_cndmask_b32 v27, s10, v19, s3 :: v_dual_add_nc_u32 v28, 1, v26
	s_delay_alu instid0(VALU_DEP_1) | instskip(SKIP_1) | instid1(VALU_DEP_2)
	v_add_min_u32_e64 v26, v27, -1, v28
	v_cndmask_b32_e64 v23, v23, v28, s3
	v_dual_cndmask_b32 v32, v28, v8, s3 :: v_dual_lshlrev_b32 v26, 3, v26
	s_delay_alu instid0(VALU_DEP_2) | instskip(NEXT) | instid1(VALU_DEP_2)
	v_cmp_gt_u32_e64 s4, s18, v23
	v_cmp_le_u32_e64 s6, s10, v32
	ds_load_b64 v[26:27], v26
	s_wait_dscnt 0x0
	v_cndmask_b32_e64 v31, v26, v30, s3
	v_cndmask_b32_e64 v26, v12, v26, s3
	s_delay_alu instid0(VALU_DEP_1) | instskip(SKIP_1) | instid1(SALU_CYCLE_1)
	v_cmp_ngt_f32_e64 s5, v31, v26
	s_and_b32 s4, s4, s5
	s_or_b32 s4, s6, s4
	s_delay_alu instid0(SALU_CYCLE_1) | instskip(NEXT) | instid1(VALU_DEP_1)
	v_cndmask_b32_e64 v8, v32, v23, s4
	v_dual_cndmask_b32 v19, s10, v19, s4 :: v_dual_add_nc_u32 v33, 1, v8
	s_delay_alu instid0(VALU_DEP_1) | instskip(SKIP_2) | instid1(VALU_DEP_2)
	v_add_min_u32_e64 v8, v19, -1, v33
	v_cndmask_b32_e32 v19, v7, v3, vcc_lo
	v_dual_cndmask_b32 v7, v5, v7, vcc_lo :: v_dual_cndmask_b32 v3, v3, v5, vcc_lo
	v_dual_lshlrev_b32 v8, 3, v8 :: v_dual_cndmask_b32 v34, v9, v19, s0
	s_delay_alu instid0(VALU_DEP_2)
	v_cndmask_b32_e64 v35, v7, v9, s0
	ds_load_b64 v[28:29], v8
	v_cndmask_b32_e64 v8, v15, v6, s0
	v_dual_cndmask_b32 v4, v11, v34, s1 :: v_dual_cndmask_b32 v6, v17, v21, s1
	v_cndmask_b32_e64 v5, v35, v11, s1
	v_dual_cndmask_b32 v9, v19, v7, s0 :: v_dual_cndmask_b32 v21, v33, v32, s4
	s_delay_alu instid0(VALU_DEP_3) | instskip(NEXT) | instid1(VALU_DEP_3)
	v_dual_cndmask_b32 v15, v13, v4, s2 :: v_dual_cndmask_b32 v7, v34, v35, s1
	v_cndmask_b32_e64 v13, v5, v13, s2
	v_dual_cndmask_b32 v11, v4, v5, s2 :: v_dual_cndmask_b32 v4, v30, v12, s3
	v_cndmask_b32_e64 v12, v23, v33, s4
	v_cmp_le_u32_e64 s1, s10, v21
	s_delay_alu instid0(VALU_DEP_4)
	v_cndmask_b32_e64 v5, v15, v13, s3
	v_cndmask_b32_e64 v15, v27, v15, s3
	;; [unrolled: 1-line block ×3, first 2 shown]
	s_wait_dscnt 0x0
	v_dual_cndmask_b32 v17, v28, v31, s4 :: v_dual_cndmask_b32 v19, v26, v28, s4
	v_cmp_gt_u32_e32 vcc_lo, s18, v12
	v_dual_cndmask_b32 v12, v31, v26, s4 :: v_dual_cndmask_b32 v21, v29, v15, s4
	v_cndmask_b32_e64 v23, v13, v29, s4
	s_delay_alu instid0(VALU_DEP_4) | instskip(SKIP_2) | instid1(SALU_CYCLE_1)
	v_cmp_ngt_f32_e64 s0, v17, v19
	v_cndmask_b32_e64 v13, v15, v13, s4
	s_and_b32 s0, vcc_lo, s0
	s_or_b32 vcc_lo, s1, s0
	v_cndmask_b32_e32 v26, v17, v19, vcc_lo
	v_cndmask_b32_e32 v27, v21, v23, vcc_lo
.LBB344_52:
	s_or_b32 exec_lo, exec_lo, s7
	v_mul_i32_i24_e32 v15, 0xffffffd0, v0
	s_mov_b32 s17, 0
	s_sub_co_i32 s4, s24, s16
	s_lshl_b64 s[2:3], s[16:17], 2
	s_cmp_gt_u32 s4, 0x6ff
	v_add_nc_u32_e32 v15, v1, v15
	s_add_nc_u64 s[0:1], s[14:15], s[2:3]
	s_wait_kmcnt 0x0
	s_add_nc_u64 s[2:3], s[8:9], s[2:3]
	s_barrier_signal -1
	s_barrier_wait -1
	ds_store_2addr_b64 v1, v[2:3], v[8:9] offset1:1
	ds_store_2addr_b64 v1, v[6:7], v[10:11] offset0:2 offset1:3
	ds_store_2addr_b64 v1, v[4:5], v[12:13] offset0:4 offset1:5
	ds_store_b64 v1, v[26:27] offset:48
	s_wait_dscnt 0x0
	s_cbranch_scc0 .LBB344_54
; %bb.53:
	s_barrier_signal -1
	s_barrier_wait -1
	ds_load_2addr_stride64_b64 v[6:9], v15 offset1:4
	ds_load_2addr_stride64_b64 v[10:13], v15 offset0:8 offset1:12
	ds_load_2addr_stride64_b64 v[26:29], v15 offset0:16 offset1:20
	ds_load_b64 v[4:5], v15 offset:12288
	s_mov_b32 s17, -1
	s_wait_dscnt 0x3
	s_clause 0x3
	global_store_b32 v0, v6, s[0:1] scale_offset
	global_store_b32 v0, v7, s[2:3] scale_offset
	global_store_b32 v0, v8, s[0:1] offset:1024 scale_offset
	global_store_b32 v0, v9, s[2:3] offset:1024 scale_offset
	s_wait_dscnt 0x2
	s_clause 0x3
	global_store_b32 v0, v10, s[0:1] offset:2048 scale_offset
	global_store_b32 v0, v11, s[2:3] offset:2048 scale_offset
	;; [unrolled: 1-line block ×4, first 2 shown]
	s_wait_dscnt 0x1
	s_clause 0x3
	global_store_b32 v0, v26, s[0:1] offset:4096 scale_offset
	global_store_b32 v0, v27, s[2:3] offset:4096 scale_offset
	;; [unrolled: 1-line block ×4, first 2 shown]
	s_cbranch_execz .LBB344_55
	s_branch .LBB344_63
.LBB344_54:
                                        ; implicit-def: $vgpr4_vgpr5
.LBB344_55:
	s_barrier_signal -1
	s_barrier_wait -1
	s_wait_storecnt_dscnt 0x0
	s_wait_xcnt 0x4
	ds_load_2addr_stride64_b64 v[10:13], v15 offset0:4 offset1:8
	ds_load_2addr_stride64_b64 v[6:9], v15 offset0:12 offset1:16
	;; [unrolled: 1-line block ×3, first 2 shown]
	s_wait_xcnt 0x0
	v_dual_mov_b32 v29, 0 :: v_dual_lshlrev_b32 v28, 2, v0
	s_mov_b32 s5, exec_lo
	s_delay_alu instid0(VALU_DEP_1)
	v_add_nc_u64_e32 v[26:27], s[0:1], v[28:29]
	v_add_nc_u64_e32 v[28:29], s[2:3], v[28:29]
	v_cmpx_gt_u32_e64 s4, v0
	s_cbranch_execnz .LBB344_66
; %bb.56:
	s_or_b32 exec_lo, exec_lo, s5
	s_delay_alu instid0(SALU_CYCLE_1)
	s_mov_b32 s5, exec_lo
	v_cmpx_gt_u32_e64 s4, v14
	s_cbranch_execnz .LBB344_67
.LBB344_57:
	s_or_b32 exec_lo, exec_lo, s5
	s_delay_alu instid0(SALU_CYCLE_1)
	s_mov_b32 s5, exec_lo
	v_cmpx_gt_u32_e64 s4, v16
	s_cbranch_execnz .LBB344_68
.LBB344_58:
	s_or_b32 exec_lo, exec_lo, s5
	s_delay_alu instid0(SALU_CYCLE_1)
	s_mov_b32 s5, exec_lo
	v_cmpx_gt_u32_e64 s4, v18
	s_cbranch_execnz .LBB344_69
.LBB344_59:
	s_or_b32 exec_lo, exec_lo, s5
	s_delay_alu instid0(SALU_CYCLE_1)
	s_mov_b32 s5, exec_lo
	v_cmpx_gt_u32_e64 s4, v20
	s_cbranch_execnz .LBB344_70
.LBB344_60:
	s_or_b32 exec_lo, exec_lo, s5
	s_delay_alu instid0(SALU_CYCLE_1)
	s_mov_b32 s5, exec_lo
	v_cmpx_gt_u32_e64 s4, v22
	s_cbranch_execz .LBB344_62
.LBB344_61:
	s_wait_dscnt 0x0
	global_store_b32 v[26:27], v2, off offset:5120
	global_store_b32 v[28:29], v3, off offset:5120
.LBB344_62:
	s_wait_xcnt 0x0
	s_or_b32 exec_lo, exec_lo, s5
	v_cmp_gt_u32_e64 s17, s4, v24
.LBB344_63:
	s_wait_xcnt 0x0
	s_delay_alu instid0(VALU_DEP_1)
	s_and_saveexec_b32 s4, s17
	s_cbranch_execnz .LBB344_65
; %bb.64:
	s_endpgm
.LBB344_65:
	s_wait_dscnt 0x0
	s_clause 0x1
	global_store_b32 v0, v4, s[0:1] offset:6144 scale_offset
	global_store_b32 v0, v5, s[2:3] offset:6144 scale_offset
	s_endpgm
.LBB344_66:
	ds_load_b64 v[30:31], v15
	s_wait_dscnt 0x0
	global_store_b32 v[26:27], v30, off
	global_store_b32 v[28:29], v31, off
	s_wait_xcnt 0x0
	s_or_b32 exec_lo, exec_lo, s5
	s_delay_alu instid0(SALU_CYCLE_1)
	s_mov_b32 s5, exec_lo
	v_cmpx_gt_u32_e64 s4, v14
	s_cbranch_execz .LBB344_57
.LBB344_67:
	s_wait_dscnt 0x2
	global_store_b32 v[26:27], v10, off offset:1024
	global_store_b32 v[28:29], v11, off offset:1024
	s_wait_xcnt 0x0
	s_or_b32 exec_lo, exec_lo, s5
	s_delay_alu instid0(SALU_CYCLE_1)
	s_mov_b32 s5, exec_lo
	v_cmpx_gt_u32_e64 s4, v16
	s_cbranch_execz .LBB344_58
.LBB344_68:
	s_wait_dscnt 0x2
	global_store_b32 v[26:27], v12, off offset:2048
	global_store_b32 v[28:29], v13, off offset:2048
	s_wait_xcnt 0x0
	s_or_b32 exec_lo, exec_lo, s5
	s_delay_alu instid0(SALU_CYCLE_1)
	s_mov_b32 s5, exec_lo
	v_cmpx_gt_u32_e64 s4, v18
	s_cbranch_execz .LBB344_59
.LBB344_69:
	s_wait_dscnt 0x1
	global_store_b32 v[26:27], v6, off offset:3072
	global_store_b32 v[28:29], v7, off offset:3072
	s_wait_xcnt 0x0
	s_or_b32 exec_lo, exec_lo, s5
	s_delay_alu instid0(SALU_CYCLE_1)
	s_mov_b32 s5, exec_lo
	v_cmpx_gt_u32_e64 s4, v20
	s_cbranch_execz .LBB344_60
.LBB344_70:
	s_wait_dscnt 0x1
	global_store_b32 v[26:27], v8, off offset:4096
	global_store_b32 v[28:29], v9, off offset:4096
	s_wait_xcnt 0x0
	s_or_b32 exec_lo, exec_lo, s5
	s_delay_alu instid0(SALU_CYCLE_1)
	s_mov_b32 s5, exec_lo
	v_cmpx_gt_u32_e64 s4, v22
	s_cbranch_execnz .LBB344_61
	s_branch .LBB344_62
	.section	.rodata,"a",@progbits
	.p2align	6, 0x0
	.amdhsa_kernel _ZN7rocprim17ROCPRIM_400000_NS6detail17trampoline_kernelINS0_14default_configENS1_21merge_config_selectorINS0_5tupleIJffEEENS0_10empty_typeEEEZNS1_10merge_implIS3_NS0_12zip_iteratorINS5_IJN6thrust23THRUST_200600_302600_NS6detail15normal_iteratorINSC_10device_ptrIKfEEEESI_EEEEESK_NSA_INS5_IJNSE_INSF_IfEEEESM_EEEEEPS7_SP_SP_NSC_11hip_rocprim7__merge17predicate_wrapperIffNSC_7greaterIfEEEEEE10hipError_tPvRmT0_T1_T2_T3_T4_T5_mmT6_P12ihipStream_tbEUlT_E0_NS1_11comp_targetILNS1_3genE0ELNS1_11target_archE4294967295ELNS1_3gpuE0ELNS1_3repE0EEENS1_30default_config_static_selectorELNS0_4arch9wavefront6targetE0EEEvS10_
		.amdhsa_group_segment_fixed_size 14352
		.amdhsa_private_segment_fixed_size 0
		.amdhsa_kernarg_size 112
		.amdhsa_user_sgpr_count 2
		.amdhsa_user_sgpr_dispatch_ptr 0
		.amdhsa_user_sgpr_queue_ptr 0
		.amdhsa_user_sgpr_kernarg_segment_ptr 1
		.amdhsa_user_sgpr_dispatch_id 0
		.amdhsa_user_sgpr_kernarg_preload_length 0
		.amdhsa_user_sgpr_kernarg_preload_offset 0
		.amdhsa_user_sgpr_private_segment_size 0
		.amdhsa_wavefront_size32 1
		.amdhsa_uses_dynamic_stack 0
		.amdhsa_enable_private_segment 0
		.amdhsa_system_sgpr_workgroup_id_x 1
		.amdhsa_system_sgpr_workgroup_id_y 0
		.amdhsa_system_sgpr_workgroup_id_z 0
		.amdhsa_system_sgpr_workgroup_info 0
		.amdhsa_system_vgpr_workitem_id 0
		.amdhsa_next_free_vgpr 36
		.amdhsa_next_free_sgpr 26
		.amdhsa_named_barrier_count 0
		.amdhsa_reserve_vcc 1
		.amdhsa_float_round_mode_32 0
		.amdhsa_float_round_mode_16_64 0
		.amdhsa_float_denorm_mode_32 3
		.amdhsa_float_denorm_mode_16_64 3
		.amdhsa_fp16_overflow 0
		.amdhsa_memory_ordered 1
		.amdhsa_forward_progress 1
		.amdhsa_inst_pref_size 28
		.amdhsa_round_robin_scheduling 0
		.amdhsa_exception_fp_ieee_invalid_op 0
		.amdhsa_exception_fp_denorm_src 0
		.amdhsa_exception_fp_ieee_div_zero 0
		.amdhsa_exception_fp_ieee_overflow 0
		.amdhsa_exception_fp_ieee_underflow 0
		.amdhsa_exception_fp_ieee_inexact 0
		.amdhsa_exception_int_div_zero 0
	.end_amdhsa_kernel
	.section	.text._ZN7rocprim17ROCPRIM_400000_NS6detail17trampoline_kernelINS0_14default_configENS1_21merge_config_selectorINS0_5tupleIJffEEENS0_10empty_typeEEEZNS1_10merge_implIS3_NS0_12zip_iteratorINS5_IJN6thrust23THRUST_200600_302600_NS6detail15normal_iteratorINSC_10device_ptrIKfEEEESI_EEEEESK_NSA_INS5_IJNSE_INSF_IfEEEESM_EEEEEPS7_SP_SP_NSC_11hip_rocprim7__merge17predicate_wrapperIffNSC_7greaterIfEEEEEE10hipError_tPvRmT0_T1_T2_T3_T4_T5_mmT6_P12ihipStream_tbEUlT_E0_NS1_11comp_targetILNS1_3genE0ELNS1_11target_archE4294967295ELNS1_3gpuE0ELNS1_3repE0EEENS1_30default_config_static_selectorELNS0_4arch9wavefront6targetE0EEEvS10_,"axG",@progbits,_ZN7rocprim17ROCPRIM_400000_NS6detail17trampoline_kernelINS0_14default_configENS1_21merge_config_selectorINS0_5tupleIJffEEENS0_10empty_typeEEEZNS1_10merge_implIS3_NS0_12zip_iteratorINS5_IJN6thrust23THRUST_200600_302600_NS6detail15normal_iteratorINSC_10device_ptrIKfEEEESI_EEEEESK_NSA_INS5_IJNSE_INSF_IfEEEESM_EEEEEPS7_SP_SP_NSC_11hip_rocprim7__merge17predicate_wrapperIffNSC_7greaterIfEEEEEE10hipError_tPvRmT0_T1_T2_T3_T4_T5_mmT6_P12ihipStream_tbEUlT_E0_NS1_11comp_targetILNS1_3genE0ELNS1_11target_archE4294967295ELNS1_3gpuE0ELNS1_3repE0EEENS1_30default_config_static_selectorELNS0_4arch9wavefront6targetE0EEEvS10_,comdat
.Lfunc_end344:
	.size	_ZN7rocprim17ROCPRIM_400000_NS6detail17trampoline_kernelINS0_14default_configENS1_21merge_config_selectorINS0_5tupleIJffEEENS0_10empty_typeEEEZNS1_10merge_implIS3_NS0_12zip_iteratorINS5_IJN6thrust23THRUST_200600_302600_NS6detail15normal_iteratorINSC_10device_ptrIKfEEEESI_EEEEESK_NSA_INS5_IJNSE_INSF_IfEEEESM_EEEEEPS7_SP_SP_NSC_11hip_rocprim7__merge17predicate_wrapperIffNSC_7greaterIfEEEEEE10hipError_tPvRmT0_T1_T2_T3_T4_T5_mmT6_P12ihipStream_tbEUlT_E0_NS1_11comp_targetILNS1_3genE0ELNS1_11target_archE4294967295ELNS1_3gpuE0ELNS1_3repE0EEENS1_30default_config_static_selectorELNS0_4arch9wavefront6targetE0EEEvS10_, .Lfunc_end344-_ZN7rocprim17ROCPRIM_400000_NS6detail17trampoline_kernelINS0_14default_configENS1_21merge_config_selectorINS0_5tupleIJffEEENS0_10empty_typeEEEZNS1_10merge_implIS3_NS0_12zip_iteratorINS5_IJN6thrust23THRUST_200600_302600_NS6detail15normal_iteratorINSC_10device_ptrIKfEEEESI_EEEEESK_NSA_INS5_IJNSE_INSF_IfEEEESM_EEEEEPS7_SP_SP_NSC_11hip_rocprim7__merge17predicate_wrapperIffNSC_7greaterIfEEEEEE10hipError_tPvRmT0_T1_T2_T3_T4_T5_mmT6_P12ihipStream_tbEUlT_E0_NS1_11comp_targetILNS1_3genE0ELNS1_11target_archE4294967295ELNS1_3gpuE0ELNS1_3repE0EEENS1_30default_config_static_selectorELNS0_4arch9wavefront6targetE0EEEvS10_
                                        ; -- End function
	.set _ZN7rocprim17ROCPRIM_400000_NS6detail17trampoline_kernelINS0_14default_configENS1_21merge_config_selectorINS0_5tupleIJffEEENS0_10empty_typeEEEZNS1_10merge_implIS3_NS0_12zip_iteratorINS5_IJN6thrust23THRUST_200600_302600_NS6detail15normal_iteratorINSC_10device_ptrIKfEEEESI_EEEEESK_NSA_INS5_IJNSE_INSF_IfEEEESM_EEEEEPS7_SP_SP_NSC_11hip_rocprim7__merge17predicate_wrapperIffNSC_7greaterIfEEEEEE10hipError_tPvRmT0_T1_T2_T3_T4_T5_mmT6_P12ihipStream_tbEUlT_E0_NS1_11comp_targetILNS1_3genE0ELNS1_11target_archE4294967295ELNS1_3gpuE0ELNS1_3repE0EEENS1_30default_config_static_selectorELNS0_4arch9wavefront6targetE0EEEvS10_.num_vgpr, 36
	.set _ZN7rocprim17ROCPRIM_400000_NS6detail17trampoline_kernelINS0_14default_configENS1_21merge_config_selectorINS0_5tupleIJffEEENS0_10empty_typeEEEZNS1_10merge_implIS3_NS0_12zip_iteratorINS5_IJN6thrust23THRUST_200600_302600_NS6detail15normal_iteratorINSC_10device_ptrIKfEEEESI_EEEEESK_NSA_INS5_IJNSE_INSF_IfEEEESM_EEEEEPS7_SP_SP_NSC_11hip_rocprim7__merge17predicate_wrapperIffNSC_7greaterIfEEEEEE10hipError_tPvRmT0_T1_T2_T3_T4_T5_mmT6_P12ihipStream_tbEUlT_E0_NS1_11comp_targetILNS1_3genE0ELNS1_11target_archE4294967295ELNS1_3gpuE0ELNS1_3repE0EEENS1_30default_config_static_selectorELNS0_4arch9wavefront6targetE0EEEvS10_.num_agpr, 0
	.set _ZN7rocprim17ROCPRIM_400000_NS6detail17trampoline_kernelINS0_14default_configENS1_21merge_config_selectorINS0_5tupleIJffEEENS0_10empty_typeEEEZNS1_10merge_implIS3_NS0_12zip_iteratorINS5_IJN6thrust23THRUST_200600_302600_NS6detail15normal_iteratorINSC_10device_ptrIKfEEEESI_EEEEESK_NSA_INS5_IJNSE_INSF_IfEEEESM_EEEEEPS7_SP_SP_NSC_11hip_rocprim7__merge17predicate_wrapperIffNSC_7greaterIfEEEEEE10hipError_tPvRmT0_T1_T2_T3_T4_T5_mmT6_P12ihipStream_tbEUlT_E0_NS1_11comp_targetILNS1_3genE0ELNS1_11target_archE4294967295ELNS1_3gpuE0ELNS1_3repE0EEENS1_30default_config_static_selectorELNS0_4arch9wavefront6targetE0EEEvS10_.numbered_sgpr, 26
	.set _ZN7rocprim17ROCPRIM_400000_NS6detail17trampoline_kernelINS0_14default_configENS1_21merge_config_selectorINS0_5tupleIJffEEENS0_10empty_typeEEEZNS1_10merge_implIS3_NS0_12zip_iteratorINS5_IJN6thrust23THRUST_200600_302600_NS6detail15normal_iteratorINSC_10device_ptrIKfEEEESI_EEEEESK_NSA_INS5_IJNSE_INSF_IfEEEESM_EEEEEPS7_SP_SP_NSC_11hip_rocprim7__merge17predicate_wrapperIffNSC_7greaterIfEEEEEE10hipError_tPvRmT0_T1_T2_T3_T4_T5_mmT6_P12ihipStream_tbEUlT_E0_NS1_11comp_targetILNS1_3genE0ELNS1_11target_archE4294967295ELNS1_3gpuE0ELNS1_3repE0EEENS1_30default_config_static_selectorELNS0_4arch9wavefront6targetE0EEEvS10_.num_named_barrier, 0
	.set _ZN7rocprim17ROCPRIM_400000_NS6detail17trampoline_kernelINS0_14default_configENS1_21merge_config_selectorINS0_5tupleIJffEEENS0_10empty_typeEEEZNS1_10merge_implIS3_NS0_12zip_iteratorINS5_IJN6thrust23THRUST_200600_302600_NS6detail15normal_iteratorINSC_10device_ptrIKfEEEESI_EEEEESK_NSA_INS5_IJNSE_INSF_IfEEEESM_EEEEEPS7_SP_SP_NSC_11hip_rocprim7__merge17predicate_wrapperIffNSC_7greaterIfEEEEEE10hipError_tPvRmT0_T1_T2_T3_T4_T5_mmT6_P12ihipStream_tbEUlT_E0_NS1_11comp_targetILNS1_3genE0ELNS1_11target_archE4294967295ELNS1_3gpuE0ELNS1_3repE0EEENS1_30default_config_static_selectorELNS0_4arch9wavefront6targetE0EEEvS10_.private_seg_size, 0
	.set _ZN7rocprim17ROCPRIM_400000_NS6detail17trampoline_kernelINS0_14default_configENS1_21merge_config_selectorINS0_5tupleIJffEEENS0_10empty_typeEEEZNS1_10merge_implIS3_NS0_12zip_iteratorINS5_IJN6thrust23THRUST_200600_302600_NS6detail15normal_iteratorINSC_10device_ptrIKfEEEESI_EEEEESK_NSA_INS5_IJNSE_INSF_IfEEEESM_EEEEEPS7_SP_SP_NSC_11hip_rocprim7__merge17predicate_wrapperIffNSC_7greaterIfEEEEEE10hipError_tPvRmT0_T1_T2_T3_T4_T5_mmT6_P12ihipStream_tbEUlT_E0_NS1_11comp_targetILNS1_3genE0ELNS1_11target_archE4294967295ELNS1_3gpuE0ELNS1_3repE0EEENS1_30default_config_static_selectorELNS0_4arch9wavefront6targetE0EEEvS10_.uses_vcc, 1
	.set _ZN7rocprim17ROCPRIM_400000_NS6detail17trampoline_kernelINS0_14default_configENS1_21merge_config_selectorINS0_5tupleIJffEEENS0_10empty_typeEEEZNS1_10merge_implIS3_NS0_12zip_iteratorINS5_IJN6thrust23THRUST_200600_302600_NS6detail15normal_iteratorINSC_10device_ptrIKfEEEESI_EEEEESK_NSA_INS5_IJNSE_INSF_IfEEEESM_EEEEEPS7_SP_SP_NSC_11hip_rocprim7__merge17predicate_wrapperIffNSC_7greaterIfEEEEEE10hipError_tPvRmT0_T1_T2_T3_T4_T5_mmT6_P12ihipStream_tbEUlT_E0_NS1_11comp_targetILNS1_3genE0ELNS1_11target_archE4294967295ELNS1_3gpuE0ELNS1_3repE0EEENS1_30default_config_static_selectorELNS0_4arch9wavefront6targetE0EEEvS10_.uses_flat_scratch, 0
	.set _ZN7rocprim17ROCPRIM_400000_NS6detail17trampoline_kernelINS0_14default_configENS1_21merge_config_selectorINS0_5tupleIJffEEENS0_10empty_typeEEEZNS1_10merge_implIS3_NS0_12zip_iteratorINS5_IJN6thrust23THRUST_200600_302600_NS6detail15normal_iteratorINSC_10device_ptrIKfEEEESI_EEEEESK_NSA_INS5_IJNSE_INSF_IfEEEESM_EEEEEPS7_SP_SP_NSC_11hip_rocprim7__merge17predicate_wrapperIffNSC_7greaterIfEEEEEE10hipError_tPvRmT0_T1_T2_T3_T4_T5_mmT6_P12ihipStream_tbEUlT_E0_NS1_11comp_targetILNS1_3genE0ELNS1_11target_archE4294967295ELNS1_3gpuE0ELNS1_3repE0EEENS1_30default_config_static_selectorELNS0_4arch9wavefront6targetE0EEEvS10_.has_dyn_sized_stack, 0
	.set _ZN7rocprim17ROCPRIM_400000_NS6detail17trampoline_kernelINS0_14default_configENS1_21merge_config_selectorINS0_5tupleIJffEEENS0_10empty_typeEEEZNS1_10merge_implIS3_NS0_12zip_iteratorINS5_IJN6thrust23THRUST_200600_302600_NS6detail15normal_iteratorINSC_10device_ptrIKfEEEESI_EEEEESK_NSA_INS5_IJNSE_INSF_IfEEEESM_EEEEEPS7_SP_SP_NSC_11hip_rocprim7__merge17predicate_wrapperIffNSC_7greaterIfEEEEEE10hipError_tPvRmT0_T1_T2_T3_T4_T5_mmT6_P12ihipStream_tbEUlT_E0_NS1_11comp_targetILNS1_3genE0ELNS1_11target_archE4294967295ELNS1_3gpuE0ELNS1_3repE0EEENS1_30default_config_static_selectorELNS0_4arch9wavefront6targetE0EEEvS10_.has_recursion, 0
	.set _ZN7rocprim17ROCPRIM_400000_NS6detail17trampoline_kernelINS0_14default_configENS1_21merge_config_selectorINS0_5tupleIJffEEENS0_10empty_typeEEEZNS1_10merge_implIS3_NS0_12zip_iteratorINS5_IJN6thrust23THRUST_200600_302600_NS6detail15normal_iteratorINSC_10device_ptrIKfEEEESI_EEEEESK_NSA_INS5_IJNSE_INSF_IfEEEESM_EEEEEPS7_SP_SP_NSC_11hip_rocprim7__merge17predicate_wrapperIffNSC_7greaterIfEEEEEE10hipError_tPvRmT0_T1_T2_T3_T4_T5_mmT6_P12ihipStream_tbEUlT_E0_NS1_11comp_targetILNS1_3genE0ELNS1_11target_archE4294967295ELNS1_3gpuE0ELNS1_3repE0EEENS1_30default_config_static_selectorELNS0_4arch9wavefront6targetE0EEEvS10_.has_indirect_call, 0
	.section	.AMDGPU.csdata,"",@progbits
; Kernel info:
; codeLenInByte = 3564
; TotalNumSgprs: 28
; NumVgprs: 36
; ScratchSize: 0
; MemoryBound: 0
; FloatMode: 240
; IeeeMode: 1
; LDSByteSize: 14352 bytes/workgroup (compile time only)
; SGPRBlocks: 0
; VGPRBlocks: 2
; NumSGPRsForWavesPerEU: 28
; NumVGPRsForWavesPerEU: 36
; NamedBarCnt: 0
; Occupancy: 16
; WaveLimiterHint : 1
; COMPUTE_PGM_RSRC2:SCRATCH_EN: 0
; COMPUTE_PGM_RSRC2:USER_SGPR: 2
; COMPUTE_PGM_RSRC2:TRAP_HANDLER: 0
; COMPUTE_PGM_RSRC2:TGID_X_EN: 1
; COMPUTE_PGM_RSRC2:TGID_Y_EN: 0
; COMPUTE_PGM_RSRC2:TGID_Z_EN: 0
; COMPUTE_PGM_RSRC2:TIDIG_COMP_CNT: 0
	.section	.text._ZN7rocprim17ROCPRIM_400000_NS6detail17trampoline_kernelINS0_14default_configENS1_21merge_config_selectorINS0_5tupleIJffEEENS0_10empty_typeEEEZNS1_10merge_implIS3_NS0_12zip_iteratorINS5_IJN6thrust23THRUST_200600_302600_NS6detail15normal_iteratorINSC_10device_ptrIKfEEEESI_EEEEESK_NSA_INS5_IJNSE_INSF_IfEEEESM_EEEEEPS7_SP_SP_NSC_11hip_rocprim7__merge17predicate_wrapperIffNSC_7greaterIfEEEEEE10hipError_tPvRmT0_T1_T2_T3_T4_T5_mmT6_P12ihipStream_tbEUlT_E0_NS1_11comp_targetILNS1_3genE5ELNS1_11target_archE942ELNS1_3gpuE9ELNS1_3repE0EEENS1_30default_config_static_selectorELNS0_4arch9wavefront6targetE0EEEvS10_,"axG",@progbits,_ZN7rocprim17ROCPRIM_400000_NS6detail17trampoline_kernelINS0_14default_configENS1_21merge_config_selectorINS0_5tupleIJffEEENS0_10empty_typeEEEZNS1_10merge_implIS3_NS0_12zip_iteratorINS5_IJN6thrust23THRUST_200600_302600_NS6detail15normal_iteratorINSC_10device_ptrIKfEEEESI_EEEEESK_NSA_INS5_IJNSE_INSF_IfEEEESM_EEEEEPS7_SP_SP_NSC_11hip_rocprim7__merge17predicate_wrapperIffNSC_7greaterIfEEEEEE10hipError_tPvRmT0_T1_T2_T3_T4_T5_mmT6_P12ihipStream_tbEUlT_E0_NS1_11comp_targetILNS1_3genE5ELNS1_11target_archE942ELNS1_3gpuE9ELNS1_3repE0EEENS1_30default_config_static_selectorELNS0_4arch9wavefront6targetE0EEEvS10_,comdat
	.protected	_ZN7rocprim17ROCPRIM_400000_NS6detail17trampoline_kernelINS0_14default_configENS1_21merge_config_selectorINS0_5tupleIJffEEENS0_10empty_typeEEEZNS1_10merge_implIS3_NS0_12zip_iteratorINS5_IJN6thrust23THRUST_200600_302600_NS6detail15normal_iteratorINSC_10device_ptrIKfEEEESI_EEEEESK_NSA_INS5_IJNSE_INSF_IfEEEESM_EEEEEPS7_SP_SP_NSC_11hip_rocprim7__merge17predicate_wrapperIffNSC_7greaterIfEEEEEE10hipError_tPvRmT0_T1_T2_T3_T4_T5_mmT6_P12ihipStream_tbEUlT_E0_NS1_11comp_targetILNS1_3genE5ELNS1_11target_archE942ELNS1_3gpuE9ELNS1_3repE0EEENS1_30default_config_static_selectorELNS0_4arch9wavefront6targetE0EEEvS10_ ; -- Begin function _ZN7rocprim17ROCPRIM_400000_NS6detail17trampoline_kernelINS0_14default_configENS1_21merge_config_selectorINS0_5tupleIJffEEENS0_10empty_typeEEEZNS1_10merge_implIS3_NS0_12zip_iteratorINS5_IJN6thrust23THRUST_200600_302600_NS6detail15normal_iteratorINSC_10device_ptrIKfEEEESI_EEEEESK_NSA_INS5_IJNSE_INSF_IfEEEESM_EEEEEPS7_SP_SP_NSC_11hip_rocprim7__merge17predicate_wrapperIffNSC_7greaterIfEEEEEE10hipError_tPvRmT0_T1_T2_T3_T4_T5_mmT6_P12ihipStream_tbEUlT_E0_NS1_11comp_targetILNS1_3genE5ELNS1_11target_archE942ELNS1_3gpuE9ELNS1_3repE0EEENS1_30default_config_static_selectorELNS0_4arch9wavefront6targetE0EEEvS10_
	.globl	_ZN7rocprim17ROCPRIM_400000_NS6detail17trampoline_kernelINS0_14default_configENS1_21merge_config_selectorINS0_5tupleIJffEEENS0_10empty_typeEEEZNS1_10merge_implIS3_NS0_12zip_iteratorINS5_IJN6thrust23THRUST_200600_302600_NS6detail15normal_iteratorINSC_10device_ptrIKfEEEESI_EEEEESK_NSA_INS5_IJNSE_INSF_IfEEEESM_EEEEEPS7_SP_SP_NSC_11hip_rocprim7__merge17predicate_wrapperIffNSC_7greaterIfEEEEEE10hipError_tPvRmT0_T1_T2_T3_T4_T5_mmT6_P12ihipStream_tbEUlT_E0_NS1_11comp_targetILNS1_3genE5ELNS1_11target_archE942ELNS1_3gpuE9ELNS1_3repE0EEENS1_30default_config_static_selectorELNS0_4arch9wavefront6targetE0EEEvS10_
	.p2align	8
	.type	_ZN7rocprim17ROCPRIM_400000_NS6detail17trampoline_kernelINS0_14default_configENS1_21merge_config_selectorINS0_5tupleIJffEEENS0_10empty_typeEEEZNS1_10merge_implIS3_NS0_12zip_iteratorINS5_IJN6thrust23THRUST_200600_302600_NS6detail15normal_iteratorINSC_10device_ptrIKfEEEESI_EEEEESK_NSA_INS5_IJNSE_INSF_IfEEEESM_EEEEEPS7_SP_SP_NSC_11hip_rocprim7__merge17predicate_wrapperIffNSC_7greaterIfEEEEEE10hipError_tPvRmT0_T1_T2_T3_T4_T5_mmT6_P12ihipStream_tbEUlT_E0_NS1_11comp_targetILNS1_3genE5ELNS1_11target_archE942ELNS1_3gpuE9ELNS1_3repE0EEENS1_30default_config_static_selectorELNS0_4arch9wavefront6targetE0EEEvS10_,@function
_ZN7rocprim17ROCPRIM_400000_NS6detail17trampoline_kernelINS0_14default_configENS1_21merge_config_selectorINS0_5tupleIJffEEENS0_10empty_typeEEEZNS1_10merge_implIS3_NS0_12zip_iteratorINS5_IJN6thrust23THRUST_200600_302600_NS6detail15normal_iteratorINSC_10device_ptrIKfEEEESI_EEEEESK_NSA_INS5_IJNSE_INSF_IfEEEESM_EEEEEPS7_SP_SP_NSC_11hip_rocprim7__merge17predicate_wrapperIffNSC_7greaterIfEEEEEE10hipError_tPvRmT0_T1_T2_T3_T4_T5_mmT6_P12ihipStream_tbEUlT_E0_NS1_11comp_targetILNS1_3genE5ELNS1_11target_archE942ELNS1_3gpuE9ELNS1_3repE0EEENS1_30default_config_static_selectorELNS0_4arch9wavefront6targetE0EEEvS10_: ; @_ZN7rocprim17ROCPRIM_400000_NS6detail17trampoline_kernelINS0_14default_configENS1_21merge_config_selectorINS0_5tupleIJffEEENS0_10empty_typeEEEZNS1_10merge_implIS3_NS0_12zip_iteratorINS5_IJN6thrust23THRUST_200600_302600_NS6detail15normal_iteratorINSC_10device_ptrIKfEEEESI_EEEEESK_NSA_INS5_IJNSE_INSF_IfEEEESM_EEEEEPS7_SP_SP_NSC_11hip_rocprim7__merge17predicate_wrapperIffNSC_7greaterIfEEEEEE10hipError_tPvRmT0_T1_T2_T3_T4_T5_mmT6_P12ihipStream_tbEUlT_E0_NS1_11comp_targetILNS1_3genE5ELNS1_11target_archE942ELNS1_3gpuE9ELNS1_3repE0EEENS1_30default_config_static_selectorELNS0_4arch9wavefront6targetE0EEEvS10_
; %bb.0:
	.section	.rodata,"a",@progbits
	.p2align	6, 0x0
	.amdhsa_kernel _ZN7rocprim17ROCPRIM_400000_NS6detail17trampoline_kernelINS0_14default_configENS1_21merge_config_selectorINS0_5tupleIJffEEENS0_10empty_typeEEEZNS1_10merge_implIS3_NS0_12zip_iteratorINS5_IJN6thrust23THRUST_200600_302600_NS6detail15normal_iteratorINSC_10device_ptrIKfEEEESI_EEEEESK_NSA_INS5_IJNSE_INSF_IfEEEESM_EEEEEPS7_SP_SP_NSC_11hip_rocprim7__merge17predicate_wrapperIffNSC_7greaterIfEEEEEE10hipError_tPvRmT0_T1_T2_T3_T4_T5_mmT6_P12ihipStream_tbEUlT_E0_NS1_11comp_targetILNS1_3genE5ELNS1_11target_archE942ELNS1_3gpuE9ELNS1_3repE0EEENS1_30default_config_static_selectorELNS0_4arch9wavefront6targetE0EEEvS10_
		.amdhsa_group_segment_fixed_size 0
		.amdhsa_private_segment_fixed_size 0
		.amdhsa_kernarg_size 112
		.amdhsa_user_sgpr_count 2
		.amdhsa_user_sgpr_dispatch_ptr 0
		.amdhsa_user_sgpr_queue_ptr 0
		.amdhsa_user_sgpr_kernarg_segment_ptr 1
		.amdhsa_user_sgpr_dispatch_id 0
		.amdhsa_user_sgpr_kernarg_preload_length 0
		.amdhsa_user_sgpr_kernarg_preload_offset 0
		.amdhsa_user_sgpr_private_segment_size 0
		.amdhsa_wavefront_size32 1
		.amdhsa_uses_dynamic_stack 0
		.amdhsa_enable_private_segment 0
		.amdhsa_system_sgpr_workgroup_id_x 1
		.amdhsa_system_sgpr_workgroup_id_y 0
		.amdhsa_system_sgpr_workgroup_id_z 0
		.amdhsa_system_sgpr_workgroup_info 0
		.amdhsa_system_vgpr_workitem_id 0
		.amdhsa_next_free_vgpr 1
		.amdhsa_next_free_sgpr 1
		.amdhsa_named_barrier_count 0
		.amdhsa_reserve_vcc 0
		.amdhsa_float_round_mode_32 0
		.amdhsa_float_round_mode_16_64 0
		.amdhsa_float_denorm_mode_32 3
		.amdhsa_float_denorm_mode_16_64 3
		.amdhsa_fp16_overflow 0
		.amdhsa_memory_ordered 1
		.amdhsa_forward_progress 1
		.amdhsa_inst_pref_size 0
		.amdhsa_round_robin_scheduling 0
		.amdhsa_exception_fp_ieee_invalid_op 0
		.amdhsa_exception_fp_denorm_src 0
		.amdhsa_exception_fp_ieee_div_zero 0
		.amdhsa_exception_fp_ieee_overflow 0
		.amdhsa_exception_fp_ieee_underflow 0
		.amdhsa_exception_fp_ieee_inexact 0
		.amdhsa_exception_int_div_zero 0
	.end_amdhsa_kernel
	.section	.text._ZN7rocprim17ROCPRIM_400000_NS6detail17trampoline_kernelINS0_14default_configENS1_21merge_config_selectorINS0_5tupleIJffEEENS0_10empty_typeEEEZNS1_10merge_implIS3_NS0_12zip_iteratorINS5_IJN6thrust23THRUST_200600_302600_NS6detail15normal_iteratorINSC_10device_ptrIKfEEEESI_EEEEESK_NSA_INS5_IJNSE_INSF_IfEEEESM_EEEEEPS7_SP_SP_NSC_11hip_rocprim7__merge17predicate_wrapperIffNSC_7greaterIfEEEEEE10hipError_tPvRmT0_T1_T2_T3_T4_T5_mmT6_P12ihipStream_tbEUlT_E0_NS1_11comp_targetILNS1_3genE5ELNS1_11target_archE942ELNS1_3gpuE9ELNS1_3repE0EEENS1_30default_config_static_selectorELNS0_4arch9wavefront6targetE0EEEvS10_,"axG",@progbits,_ZN7rocprim17ROCPRIM_400000_NS6detail17trampoline_kernelINS0_14default_configENS1_21merge_config_selectorINS0_5tupleIJffEEENS0_10empty_typeEEEZNS1_10merge_implIS3_NS0_12zip_iteratorINS5_IJN6thrust23THRUST_200600_302600_NS6detail15normal_iteratorINSC_10device_ptrIKfEEEESI_EEEEESK_NSA_INS5_IJNSE_INSF_IfEEEESM_EEEEEPS7_SP_SP_NSC_11hip_rocprim7__merge17predicate_wrapperIffNSC_7greaterIfEEEEEE10hipError_tPvRmT0_T1_T2_T3_T4_T5_mmT6_P12ihipStream_tbEUlT_E0_NS1_11comp_targetILNS1_3genE5ELNS1_11target_archE942ELNS1_3gpuE9ELNS1_3repE0EEENS1_30default_config_static_selectorELNS0_4arch9wavefront6targetE0EEEvS10_,comdat
.Lfunc_end345:
	.size	_ZN7rocprim17ROCPRIM_400000_NS6detail17trampoline_kernelINS0_14default_configENS1_21merge_config_selectorINS0_5tupleIJffEEENS0_10empty_typeEEEZNS1_10merge_implIS3_NS0_12zip_iteratorINS5_IJN6thrust23THRUST_200600_302600_NS6detail15normal_iteratorINSC_10device_ptrIKfEEEESI_EEEEESK_NSA_INS5_IJNSE_INSF_IfEEEESM_EEEEEPS7_SP_SP_NSC_11hip_rocprim7__merge17predicate_wrapperIffNSC_7greaterIfEEEEEE10hipError_tPvRmT0_T1_T2_T3_T4_T5_mmT6_P12ihipStream_tbEUlT_E0_NS1_11comp_targetILNS1_3genE5ELNS1_11target_archE942ELNS1_3gpuE9ELNS1_3repE0EEENS1_30default_config_static_selectorELNS0_4arch9wavefront6targetE0EEEvS10_, .Lfunc_end345-_ZN7rocprim17ROCPRIM_400000_NS6detail17trampoline_kernelINS0_14default_configENS1_21merge_config_selectorINS0_5tupleIJffEEENS0_10empty_typeEEEZNS1_10merge_implIS3_NS0_12zip_iteratorINS5_IJN6thrust23THRUST_200600_302600_NS6detail15normal_iteratorINSC_10device_ptrIKfEEEESI_EEEEESK_NSA_INS5_IJNSE_INSF_IfEEEESM_EEEEEPS7_SP_SP_NSC_11hip_rocprim7__merge17predicate_wrapperIffNSC_7greaterIfEEEEEE10hipError_tPvRmT0_T1_T2_T3_T4_T5_mmT6_P12ihipStream_tbEUlT_E0_NS1_11comp_targetILNS1_3genE5ELNS1_11target_archE942ELNS1_3gpuE9ELNS1_3repE0EEENS1_30default_config_static_selectorELNS0_4arch9wavefront6targetE0EEEvS10_
                                        ; -- End function
	.set _ZN7rocprim17ROCPRIM_400000_NS6detail17trampoline_kernelINS0_14default_configENS1_21merge_config_selectorINS0_5tupleIJffEEENS0_10empty_typeEEEZNS1_10merge_implIS3_NS0_12zip_iteratorINS5_IJN6thrust23THRUST_200600_302600_NS6detail15normal_iteratorINSC_10device_ptrIKfEEEESI_EEEEESK_NSA_INS5_IJNSE_INSF_IfEEEESM_EEEEEPS7_SP_SP_NSC_11hip_rocprim7__merge17predicate_wrapperIffNSC_7greaterIfEEEEEE10hipError_tPvRmT0_T1_T2_T3_T4_T5_mmT6_P12ihipStream_tbEUlT_E0_NS1_11comp_targetILNS1_3genE5ELNS1_11target_archE942ELNS1_3gpuE9ELNS1_3repE0EEENS1_30default_config_static_selectorELNS0_4arch9wavefront6targetE0EEEvS10_.num_vgpr, 0
	.set _ZN7rocprim17ROCPRIM_400000_NS6detail17trampoline_kernelINS0_14default_configENS1_21merge_config_selectorINS0_5tupleIJffEEENS0_10empty_typeEEEZNS1_10merge_implIS3_NS0_12zip_iteratorINS5_IJN6thrust23THRUST_200600_302600_NS6detail15normal_iteratorINSC_10device_ptrIKfEEEESI_EEEEESK_NSA_INS5_IJNSE_INSF_IfEEEESM_EEEEEPS7_SP_SP_NSC_11hip_rocprim7__merge17predicate_wrapperIffNSC_7greaterIfEEEEEE10hipError_tPvRmT0_T1_T2_T3_T4_T5_mmT6_P12ihipStream_tbEUlT_E0_NS1_11comp_targetILNS1_3genE5ELNS1_11target_archE942ELNS1_3gpuE9ELNS1_3repE0EEENS1_30default_config_static_selectorELNS0_4arch9wavefront6targetE0EEEvS10_.num_agpr, 0
	.set _ZN7rocprim17ROCPRIM_400000_NS6detail17trampoline_kernelINS0_14default_configENS1_21merge_config_selectorINS0_5tupleIJffEEENS0_10empty_typeEEEZNS1_10merge_implIS3_NS0_12zip_iteratorINS5_IJN6thrust23THRUST_200600_302600_NS6detail15normal_iteratorINSC_10device_ptrIKfEEEESI_EEEEESK_NSA_INS5_IJNSE_INSF_IfEEEESM_EEEEEPS7_SP_SP_NSC_11hip_rocprim7__merge17predicate_wrapperIffNSC_7greaterIfEEEEEE10hipError_tPvRmT0_T1_T2_T3_T4_T5_mmT6_P12ihipStream_tbEUlT_E0_NS1_11comp_targetILNS1_3genE5ELNS1_11target_archE942ELNS1_3gpuE9ELNS1_3repE0EEENS1_30default_config_static_selectorELNS0_4arch9wavefront6targetE0EEEvS10_.numbered_sgpr, 0
	.set _ZN7rocprim17ROCPRIM_400000_NS6detail17trampoline_kernelINS0_14default_configENS1_21merge_config_selectorINS0_5tupleIJffEEENS0_10empty_typeEEEZNS1_10merge_implIS3_NS0_12zip_iteratorINS5_IJN6thrust23THRUST_200600_302600_NS6detail15normal_iteratorINSC_10device_ptrIKfEEEESI_EEEEESK_NSA_INS5_IJNSE_INSF_IfEEEESM_EEEEEPS7_SP_SP_NSC_11hip_rocprim7__merge17predicate_wrapperIffNSC_7greaterIfEEEEEE10hipError_tPvRmT0_T1_T2_T3_T4_T5_mmT6_P12ihipStream_tbEUlT_E0_NS1_11comp_targetILNS1_3genE5ELNS1_11target_archE942ELNS1_3gpuE9ELNS1_3repE0EEENS1_30default_config_static_selectorELNS0_4arch9wavefront6targetE0EEEvS10_.num_named_barrier, 0
	.set _ZN7rocprim17ROCPRIM_400000_NS6detail17trampoline_kernelINS0_14default_configENS1_21merge_config_selectorINS0_5tupleIJffEEENS0_10empty_typeEEEZNS1_10merge_implIS3_NS0_12zip_iteratorINS5_IJN6thrust23THRUST_200600_302600_NS6detail15normal_iteratorINSC_10device_ptrIKfEEEESI_EEEEESK_NSA_INS5_IJNSE_INSF_IfEEEESM_EEEEEPS7_SP_SP_NSC_11hip_rocprim7__merge17predicate_wrapperIffNSC_7greaterIfEEEEEE10hipError_tPvRmT0_T1_T2_T3_T4_T5_mmT6_P12ihipStream_tbEUlT_E0_NS1_11comp_targetILNS1_3genE5ELNS1_11target_archE942ELNS1_3gpuE9ELNS1_3repE0EEENS1_30default_config_static_selectorELNS0_4arch9wavefront6targetE0EEEvS10_.private_seg_size, 0
	.set _ZN7rocprim17ROCPRIM_400000_NS6detail17trampoline_kernelINS0_14default_configENS1_21merge_config_selectorINS0_5tupleIJffEEENS0_10empty_typeEEEZNS1_10merge_implIS3_NS0_12zip_iteratorINS5_IJN6thrust23THRUST_200600_302600_NS6detail15normal_iteratorINSC_10device_ptrIKfEEEESI_EEEEESK_NSA_INS5_IJNSE_INSF_IfEEEESM_EEEEEPS7_SP_SP_NSC_11hip_rocprim7__merge17predicate_wrapperIffNSC_7greaterIfEEEEEE10hipError_tPvRmT0_T1_T2_T3_T4_T5_mmT6_P12ihipStream_tbEUlT_E0_NS1_11comp_targetILNS1_3genE5ELNS1_11target_archE942ELNS1_3gpuE9ELNS1_3repE0EEENS1_30default_config_static_selectorELNS0_4arch9wavefront6targetE0EEEvS10_.uses_vcc, 0
	.set _ZN7rocprim17ROCPRIM_400000_NS6detail17trampoline_kernelINS0_14default_configENS1_21merge_config_selectorINS0_5tupleIJffEEENS0_10empty_typeEEEZNS1_10merge_implIS3_NS0_12zip_iteratorINS5_IJN6thrust23THRUST_200600_302600_NS6detail15normal_iteratorINSC_10device_ptrIKfEEEESI_EEEEESK_NSA_INS5_IJNSE_INSF_IfEEEESM_EEEEEPS7_SP_SP_NSC_11hip_rocprim7__merge17predicate_wrapperIffNSC_7greaterIfEEEEEE10hipError_tPvRmT0_T1_T2_T3_T4_T5_mmT6_P12ihipStream_tbEUlT_E0_NS1_11comp_targetILNS1_3genE5ELNS1_11target_archE942ELNS1_3gpuE9ELNS1_3repE0EEENS1_30default_config_static_selectorELNS0_4arch9wavefront6targetE0EEEvS10_.uses_flat_scratch, 0
	.set _ZN7rocprim17ROCPRIM_400000_NS6detail17trampoline_kernelINS0_14default_configENS1_21merge_config_selectorINS0_5tupleIJffEEENS0_10empty_typeEEEZNS1_10merge_implIS3_NS0_12zip_iteratorINS5_IJN6thrust23THRUST_200600_302600_NS6detail15normal_iteratorINSC_10device_ptrIKfEEEESI_EEEEESK_NSA_INS5_IJNSE_INSF_IfEEEESM_EEEEEPS7_SP_SP_NSC_11hip_rocprim7__merge17predicate_wrapperIffNSC_7greaterIfEEEEEE10hipError_tPvRmT0_T1_T2_T3_T4_T5_mmT6_P12ihipStream_tbEUlT_E0_NS1_11comp_targetILNS1_3genE5ELNS1_11target_archE942ELNS1_3gpuE9ELNS1_3repE0EEENS1_30default_config_static_selectorELNS0_4arch9wavefront6targetE0EEEvS10_.has_dyn_sized_stack, 0
	.set _ZN7rocprim17ROCPRIM_400000_NS6detail17trampoline_kernelINS0_14default_configENS1_21merge_config_selectorINS0_5tupleIJffEEENS0_10empty_typeEEEZNS1_10merge_implIS3_NS0_12zip_iteratorINS5_IJN6thrust23THRUST_200600_302600_NS6detail15normal_iteratorINSC_10device_ptrIKfEEEESI_EEEEESK_NSA_INS5_IJNSE_INSF_IfEEEESM_EEEEEPS7_SP_SP_NSC_11hip_rocprim7__merge17predicate_wrapperIffNSC_7greaterIfEEEEEE10hipError_tPvRmT0_T1_T2_T3_T4_T5_mmT6_P12ihipStream_tbEUlT_E0_NS1_11comp_targetILNS1_3genE5ELNS1_11target_archE942ELNS1_3gpuE9ELNS1_3repE0EEENS1_30default_config_static_selectorELNS0_4arch9wavefront6targetE0EEEvS10_.has_recursion, 0
	.set _ZN7rocprim17ROCPRIM_400000_NS6detail17trampoline_kernelINS0_14default_configENS1_21merge_config_selectorINS0_5tupleIJffEEENS0_10empty_typeEEEZNS1_10merge_implIS3_NS0_12zip_iteratorINS5_IJN6thrust23THRUST_200600_302600_NS6detail15normal_iteratorINSC_10device_ptrIKfEEEESI_EEEEESK_NSA_INS5_IJNSE_INSF_IfEEEESM_EEEEEPS7_SP_SP_NSC_11hip_rocprim7__merge17predicate_wrapperIffNSC_7greaterIfEEEEEE10hipError_tPvRmT0_T1_T2_T3_T4_T5_mmT6_P12ihipStream_tbEUlT_E0_NS1_11comp_targetILNS1_3genE5ELNS1_11target_archE942ELNS1_3gpuE9ELNS1_3repE0EEENS1_30default_config_static_selectorELNS0_4arch9wavefront6targetE0EEEvS10_.has_indirect_call, 0
	.section	.AMDGPU.csdata,"",@progbits
; Kernel info:
; codeLenInByte = 0
; TotalNumSgprs: 0
; NumVgprs: 0
; ScratchSize: 0
; MemoryBound: 0
; FloatMode: 240
; IeeeMode: 1
; LDSByteSize: 0 bytes/workgroup (compile time only)
; SGPRBlocks: 0
; VGPRBlocks: 0
; NumSGPRsForWavesPerEU: 1
; NumVGPRsForWavesPerEU: 1
; NamedBarCnt: 0
; Occupancy: 16
; WaveLimiterHint : 0
; COMPUTE_PGM_RSRC2:SCRATCH_EN: 0
; COMPUTE_PGM_RSRC2:USER_SGPR: 2
; COMPUTE_PGM_RSRC2:TRAP_HANDLER: 0
; COMPUTE_PGM_RSRC2:TGID_X_EN: 1
; COMPUTE_PGM_RSRC2:TGID_Y_EN: 0
; COMPUTE_PGM_RSRC2:TGID_Z_EN: 0
; COMPUTE_PGM_RSRC2:TIDIG_COMP_CNT: 0
	.section	.text._ZN7rocprim17ROCPRIM_400000_NS6detail17trampoline_kernelINS0_14default_configENS1_21merge_config_selectorINS0_5tupleIJffEEENS0_10empty_typeEEEZNS1_10merge_implIS3_NS0_12zip_iteratorINS5_IJN6thrust23THRUST_200600_302600_NS6detail15normal_iteratorINSC_10device_ptrIKfEEEESI_EEEEESK_NSA_INS5_IJNSE_INSF_IfEEEESM_EEEEEPS7_SP_SP_NSC_11hip_rocprim7__merge17predicate_wrapperIffNSC_7greaterIfEEEEEE10hipError_tPvRmT0_T1_T2_T3_T4_T5_mmT6_P12ihipStream_tbEUlT_E0_NS1_11comp_targetILNS1_3genE4ELNS1_11target_archE910ELNS1_3gpuE8ELNS1_3repE0EEENS1_30default_config_static_selectorELNS0_4arch9wavefront6targetE0EEEvS10_,"axG",@progbits,_ZN7rocprim17ROCPRIM_400000_NS6detail17trampoline_kernelINS0_14default_configENS1_21merge_config_selectorINS0_5tupleIJffEEENS0_10empty_typeEEEZNS1_10merge_implIS3_NS0_12zip_iteratorINS5_IJN6thrust23THRUST_200600_302600_NS6detail15normal_iteratorINSC_10device_ptrIKfEEEESI_EEEEESK_NSA_INS5_IJNSE_INSF_IfEEEESM_EEEEEPS7_SP_SP_NSC_11hip_rocprim7__merge17predicate_wrapperIffNSC_7greaterIfEEEEEE10hipError_tPvRmT0_T1_T2_T3_T4_T5_mmT6_P12ihipStream_tbEUlT_E0_NS1_11comp_targetILNS1_3genE4ELNS1_11target_archE910ELNS1_3gpuE8ELNS1_3repE0EEENS1_30default_config_static_selectorELNS0_4arch9wavefront6targetE0EEEvS10_,comdat
	.protected	_ZN7rocprim17ROCPRIM_400000_NS6detail17trampoline_kernelINS0_14default_configENS1_21merge_config_selectorINS0_5tupleIJffEEENS0_10empty_typeEEEZNS1_10merge_implIS3_NS0_12zip_iteratorINS5_IJN6thrust23THRUST_200600_302600_NS6detail15normal_iteratorINSC_10device_ptrIKfEEEESI_EEEEESK_NSA_INS5_IJNSE_INSF_IfEEEESM_EEEEEPS7_SP_SP_NSC_11hip_rocprim7__merge17predicate_wrapperIffNSC_7greaterIfEEEEEE10hipError_tPvRmT0_T1_T2_T3_T4_T5_mmT6_P12ihipStream_tbEUlT_E0_NS1_11comp_targetILNS1_3genE4ELNS1_11target_archE910ELNS1_3gpuE8ELNS1_3repE0EEENS1_30default_config_static_selectorELNS0_4arch9wavefront6targetE0EEEvS10_ ; -- Begin function _ZN7rocprim17ROCPRIM_400000_NS6detail17trampoline_kernelINS0_14default_configENS1_21merge_config_selectorINS0_5tupleIJffEEENS0_10empty_typeEEEZNS1_10merge_implIS3_NS0_12zip_iteratorINS5_IJN6thrust23THRUST_200600_302600_NS6detail15normal_iteratorINSC_10device_ptrIKfEEEESI_EEEEESK_NSA_INS5_IJNSE_INSF_IfEEEESM_EEEEEPS7_SP_SP_NSC_11hip_rocprim7__merge17predicate_wrapperIffNSC_7greaterIfEEEEEE10hipError_tPvRmT0_T1_T2_T3_T4_T5_mmT6_P12ihipStream_tbEUlT_E0_NS1_11comp_targetILNS1_3genE4ELNS1_11target_archE910ELNS1_3gpuE8ELNS1_3repE0EEENS1_30default_config_static_selectorELNS0_4arch9wavefront6targetE0EEEvS10_
	.globl	_ZN7rocprim17ROCPRIM_400000_NS6detail17trampoline_kernelINS0_14default_configENS1_21merge_config_selectorINS0_5tupleIJffEEENS0_10empty_typeEEEZNS1_10merge_implIS3_NS0_12zip_iteratorINS5_IJN6thrust23THRUST_200600_302600_NS6detail15normal_iteratorINSC_10device_ptrIKfEEEESI_EEEEESK_NSA_INS5_IJNSE_INSF_IfEEEESM_EEEEEPS7_SP_SP_NSC_11hip_rocprim7__merge17predicate_wrapperIffNSC_7greaterIfEEEEEE10hipError_tPvRmT0_T1_T2_T3_T4_T5_mmT6_P12ihipStream_tbEUlT_E0_NS1_11comp_targetILNS1_3genE4ELNS1_11target_archE910ELNS1_3gpuE8ELNS1_3repE0EEENS1_30default_config_static_selectorELNS0_4arch9wavefront6targetE0EEEvS10_
	.p2align	8
	.type	_ZN7rocprim17ROCPRIM_400000_NS6detail17trampoline_kernelINS0_14default_configENS1_21merge_config_selectorINS0_5tupleIJffEEENS0_10empty_typeEEEZNS1_10merge_implIS3_NS0_12zip_iteratorINS5_IJN6thrust23THRUST_200600_302600_NS6detail15normal_iteratorINSC_10device_ptrIKfEEEESI_EEEEESK_NSA_INS5_IJNSE_INSF_IfEEEESM_EEEEEPS7_SP_SP_NSC_11hip_rocprim7__merge17predicate_wrapperIffNSC_7greaterIfEEEEEE10hipError_tPvRmT0_T1_T2_T3_T4_T5_mmT6_P12ihipStream_tbEUlT_E0_NS1_11comp_targetILNS1_3genE4ELNS1_11target_archE910ELNS1_3gpuE8ELNS1_3repE0EEENS1_30default_config_static_selectorELNS0_4arch9wavefront6targetE0EEEvS10_,@function
_ZN7rocprim17ROCPRIM_400000_NS6detail17trampoline_kernelINS0_14default_configENS1_21merge_config_selectorINS0_5tupleIJffEEENS0_10empty_typeEEEZNS1_10merge_implIS3_NS0_12zip_iteratorINS5_IJN6thrust23THRUST_200600_302600_NS6detail15normal_iteratorINSC_10device_ptrIKfEEEESI_EEEEESK_NSA_INS5_IJNSE_INSF_IfEEEESM_EEEEEPS7_SP_SP_NSC_11hip_rocprim7__merge17predicate_wrapperIffNSC_7greaterIfEEEEEE10hipError_tPvRmT0_T1_T2_T3_T4_T5_mmT6_P12ihipStream_tbEUlT_E0_NS1_11comp_targetILNS1_3genE4ELNS1_11target_archE910ELNS1_3gpuE8ELNS1_3repE0EEENS1_30default_config_static_selectorELNS0_4arch9wavefront6targetE0EEEvS10_: ; @_ZN7rocprim17ROCPRIM_400000_NS6detail17trampoline_kernelINS0_14default_configENS1_21merge_config_selectorINS0_5tupleIJffEEENS0_10empty_typeEEEZNS1_10merge_implIS3_NS0_12zip_iteratorINS5_IJN6thrust23THRUST_200600_302600_NS6detail15normal_iteratorINSC_10device_ptrIKfEEEESI_EEEEESK_NSA_INS5_IJNSE_INSF_IfEEEESM_EEEEEPS7_SP_SP_NSC_11hip_rocprim7__merge17predicate_wrapperIffNSC_7greaterIfEEEEEE10hipError_tPvRmT0_T1_T2_T3_T4_T5_mmT6_P12ihipStream_tbEUlT_E0_NS1_11comp_targetILNS1_3genE4ELNS1_11target_archE910ELNS1_3gpuE8ELNS1_3repE0EEENS1_30default_config_static_selectorELNS0_4arch9wavefront6targetE0EEEvS10_
; %bb.0:
	.section	.rodata,"a",@progbits
	.p2align	6, 0x0
	.amdhsa_kernel _ZN7rocprim17ROCPRIM_400000_NS6detail17trampoline_kernelINS0_14default_configENS1_21merge_config_selectorINS0_5tupleIJffEEENS0_10empty_typeEEEZNS1_10merge_implIS3_NS0_12zip_iteratorINS5_IJN6thrust23THRUST_200600_302600_NS6detail15normal_iteratorINSC_10device_ptrIKfEEEESI_EEEEESK_NSA_INS5_IJNSE_INSF_IfEEEESM_EEEEEPS7_SP_SP_NSC_11hip_rocprim7__merge17predicate_wrapperIffNSC_7greaterIfEEEEEE10hipError_tPvRmT0_T1_T2_T3_T4_T5_mmT6_P12ihipStream_tbEUlT_E0_NS1_11comp_targetILNS1_3genE4ELNS1_11target_archE910ELNS1_3gpuE8ELNS1_3repE0EEENS1_30default_config_static_selectorELNS0_4arch9wavefront6targetE0EEEvS10_
		.amdhsa_group_segment_fixed_size 0
		.amdhsa_private_segment_fixed_size 0
		.amdhsa_kernarg_size 112
		.amdhsa_user_sgpr_count 2
		.amdhsa_user_sgpr_dispatch_ptr 0
		.amdhsa_user_sgpr_queue_ptr 0
		.amdhsa_user_sgpr_kernarg_segment_ptr 1
		.amdhsa_user_sgpr_dispatch_id 0
		.amdhsa_user_sgpr_kernarg_preload_length 0
		.amdhsa_user_sgpr_kernarg_preload_offset 0
		.amdhsa_user_sgpr_private_segment_size 0
		.amdhsa_wavefront_size32 1
		.amdhsa_uses_dynamic_stack 0
		.amdhsa_enable_private_segment 0
		.amdhsa_system_sgpr_workgroup_id_x 1
		.amdhsa_system_sgpr_workgroup_id_y 0
		.amdhsa_system_sgpr_workgroup_id_z 0
		.amdhsa_system_sgpr_workgroup_info 0
		.amdhsa_system_vgpr_workitem_id 0
		.amdhsa_next_free_vgpr 1
		.amdhsa_next_free_sgpr 1
		.amdhsa_named_barrier_count 0
		.amdhsa_reserve_vcc 0
		.amdhsa_float_round_mode_32 0
		.amdhsa_float_round_mode_16_64 0
		.amdhsa_float_denorm_mode_32 3
		.amdhsa_float_denorm_mode_16_64 3
		.amdhsa_fp16_overflow 0
		.amdhsa_memory_ordered 1
		.amdhsa_forward_progress 1
		.amdhsa_inst_pref_size 0
		.amdhsa_round_robin_scheduling 0
		.amdhsa_exception_fp_ieee_invalid_op 0
		.amdhsa_exception_fp_denorm_src 0
		.amdhsa_exception_fp_ieee_div_zero 0
		.amdhsa_exception_fp_ieee_overflow 0
		.amdhsa_exception_fp_ieee_underflow 0
		.amdhsa_exception_fp_ieee_inexact 0
		.amdhsa_exception_int_div_zero 0
	.end_amdhsa_kernel
	.section	.text._ZN7rocprim17ROCPRIM_400000_NS6detail17trampoline_kernelINS0_14default_configENS1_21merge_config_selectorINS0_5tupleIJffEEENS0_10empty_typeEEEZNS1_10merge_implIS3_NS0_12zip_iteratorINS5_IJN6thrust23THRUST_200600_302600_NS6detail15normal_iteratorINSC_10device_ptrIKfEEEESI_EEEEESK_NSA_INS5_IJNSE_INSF_IfEEEESM_EEEEEPS7_SP_SP_NSC_11hip_rocprim7__merge17predicate_wrapperIffNSC_7greaterIfEEEEEE10hipError_tPvRmT0_T1_T2_T3_T4_T5_mmT6_P12ihipStream_tbEUlT_E0_NS1_11comp_targetILNS1_3genE4ELNS1_11target_archE910ELNS1_3gpuE8ELNS1_3repE0EEENS1_30default_config_static_selectorELNS0_4arch9wavefront6targetE0EEEvS10_,"axG",@progbits,_ZN7rocprim17ROCPRIM_400000_NS6detail17trampoline_kernelINS0_14default_configENS1_21merge_config_selectorINS0_5tupleIJffEEENS0_10empty_typeEEEZNS1_10merge_implIS3_NS0_12zip_iteratorINS5_IJN6thrust23THRUST_200600_302600_NS6detail15normal_iteratorINSC_10device_ptrIKfEEEESI_EEEEESK_NSA_INS5_IJNSE_INSF_IfEEEESM_EEEEEPS7_SP_SP_NSC_11hip_rocprim7__merge17predicate_wrapperIffNSC_7greaterIfEEEEEE10hipError_tPvRmT0_T1_T2_T3_T4_T5_mmT6_P12ihipStream_tbEUlT_E0_NS1_11comp_targetILNS1_3genE4ELNS1_11target_archE910ELNS1_3gpuE8ELNS1_3repE0EEENS1_30default_config_static_selectorELNS0_4arch9wavefront6targetE0EEEvS10_,comdat
.Lfunc_end346:
	.size	_ZN7rocprim17ROCPRIM_400000_NS6detail17trampoline_kernelINS0_14default_configENS1_21merge_config_selectorINS0_5tupleIJffEEENS0_10empty_typeEEEZNS1_10merge_implIS3_NS0_12zip_iteratorINS5_IJN6thrust23THRUST_200600_302600_NS6detail15normal_iteratorINSC_10device_ptrIKfEEEESI_EEEEESK_NSA_INS5_IJNSE_INSF_IfEEEESM_EEEEEPS7_SP_SP_NSC_11hip_rocprim7__merge17predicate_wrapperIffNSC_7greaterIfEEEEEE10hipError_tPvRmT0_T1_T2_T3_T4_T5_mmT6_P12ihipStream_tbEUlT_E0_NS1_11comp_targetILNS1_3genE4ELNS1_11target_archE910ELNS1_3gpuE8ELNS1_3repE0EEENS1_30default_config_static_selectorELNS0_4arch9wavefront6targetE0EEEvS10_, .Lfunc_end346-_ZN7rocprim17ROCPRIM_400000_NS6detail17trampoline_kernelINS0_14default_configENS1_21merge_config_selectorINS0_5tupleIJffEEENS0_10empty_typeEEEZNS1_10merge_implIS3_NS0_12zip_iteratorINS5_IJN6thrust23THRUST_200600_302600_NS6detail15normal_iteratorINSC_10device_ptrIKfEEEESI_EEEEESK_NSA_INS5_IJNSE_INSF_IfEEEESM_EEEEEPS7_SP_SP_NSC_11hip_rocprim7__merge17predicate_wrapperIffNSC_7greaterIfEEEEEE10hipError_tPvRmT0_T1_T2_T3_T4_T5_mmT6_P12ihipStream_tbEUlT_E0_NS1_11comp_targetILNS1_3genE4ELNS1_11target_archE910ELNS1_3gpuE8ELNS1_3repE0EEENS1_30default_config_static_selectorELNS0_4arch9wavefront6targetE0EEEvS10_
                                        ; -- End function
	.set _ZN7rocprim17ROCPRIM_400000_NS6detail17trampoline_kernelINS0_14default_configENS1_21merge_config_selectorINS0_5tupleIJffEEENS0_10empty_typeEEEZNS1_10merge_implIS3_NS0_12zip_iteratorINS5_IJN6thrust23THRUST_200600_302600_NS6detail15normal_iteratorINSC_10device_ptrIKfEEEESI_EEEEESK_NSA_INS5_IJNSE_INSF_IfEEEESM_EEEEEPS7_SP_SP_NSC_11hip_rocprim7__merge17predicate_wrapperIffNSC_7greaterIfEEEEEE10hipError_tPvRmT0_T1_T2_T3_T4_T5_mmT6_P12ihipStream_tbEUlT_E0_NS1_11comp_targetILNS1_3genE4ELNS1_11target_archE910ELNS1_3gpuE8ELNS1_3repE0EEENS1_30default_config_static_selectorELNS0_4arch9wavefront6targetE0EEEvS10_.num_vgpr, 0
	.set _ZN7rocprim17ROCPRIM_400000_NS6detail17trampoline_kernelINS0_14default_configENS1_21merge_config_selectorINS0_5tupleIJffEEENS0_10empty_typeEEEZNS1_10merge_implIS3_NS0_12zip_iteratorINS5_IJN6thrust23THRUST_200600_302600_NS6detail15normal_iteratorINSC_10device_ptrIKfEEEESI_EEEEESK_NSA_INS5_IJNSE_INSF_IfEEEESM_EEEEEPS7_SP_SP_NSC_11hip_rocprim7__merge17predicate_wrapperIffNSC_7greaterIfEEEEEE10hipError_tPvRmT0_T1_T2_T3_T4_T5_mmT6_P12ihipStream_tbEUlT_E0_NS1_11comp_targetILNS1_3genE4ELNS1_11target_archE910ELNS1_3gpuE8ELNS1_3repE0EEENS1_30default_config_static_selectorELNS0_4arch9wavefront6targetE0EEEvS10_.num_agpr, 0
	.set _ZN7rocprim17ROCPRIM_400000_NS6detail17trampoline_kernelINS0_14default_configENS1_21merge_config_selectorINS0_5tupleIJffEEENS0_10empty_typeEEEZNS1_10merge_implIS3_NS0_12zip_iteratorINS5_IJN6thrust23THRUST_200600_302600_NS6detail15normal_iteratorINSC_10device_ptrIKfEEEESI_EEEEESK_NSA_INS5_IJNSE_INSF_IfEEEESM_EEEEEPS7_SP_SP_NSC_11hip_rocprim7__merge17predicate_wrapperIffNSC_7greaterIfEEEEEE10hipError_tPvRmT0_T1_T2_T3_T4_T5_mmT6_P12ihipStream_tbEUlT_E0_NS1_11comp_targetILNS1_3genE4ELNS1_11target_archE910ELNS1_3gpuE8ELNS1_3repE0EEENS1_30default_config_static_selectorELNS0_4arch9wavefront6targetE0EEEvS10_.numbered_sgpr, 0
	.set _ZN7rocprim17ROCPRIM_400000_NS6detail17trampoline_kernelINS0_14default_configENS1_21merge_config_selectorINS0_5tupleIJffEEENS0_10empty_typeEEEZNS1_10merge_implIS3_NS0_12zip_iteratorINS5_IJN6thrust23THRUST_200600_302600_NS6detail15normal_iteratorINSC_10device_ptrIKfEEEESI_EEEEESK_NSA_INS5_IJNSE_INSF_IfEEEESM_EEEEEPS7_SP_SP_NSC_11hip_rocprim7__merge17predicate_wrapperIffNSC_7greaterIfEEEEEE10hipError_tPvRmT0_T1_T2_T3_T4_T5_mmT6_P12ihipStream_tbEUlT_E0_NS1_11comp_targetILNS1_3genE4ELNS1_11target_archE910ELNS1_3gpuE8ELNS1_3repE0EEENS1_30default_config_static_selectorELNS0_4arch9wavefront6targetE0EEEvS10_.num_named_barrier, 0
	.set _ZN7rocprim17ROCPRIM_400000_NS6detail17trampoline_kernelINS0_14default_configENS1_21merge_config_selectorINS0_5tupleIJffEEENS0_10empty_typeEEEZNS1_10merge_implIS3_NS0_12zip_iteratorINS5_IJN6thrust23THRUST_200600_302600_NS6detail15normal_iteratorINSC_10device_ptrIKfEEEESI_EEEEESK_NSA_INS5_IJNSE_INSF_IfEEEESM_EEEEEPS7_SP_SP_NSC_11hip_rocprim7__merge17predicate_wrapperIffNSC_7greaterIfEEEEEE10hipError_tPvRmT0_T1_T2_T3_T4_T5_mmT6_P12ihipStream_tbEUlT_E0_NS1_11comp_targetILNS1_3genE4ELNS1_11target_archE910ELNS1_3gpuE8ELNS1_3repE0EEENS1_30default_config_static_selectorELNS0_4arch9wavefront6targetE0EEEvS10_.private_seg_size, 0
	.set _ZN7rocprim17ROCPRIM_400000_NS6detail17trampoline_kernelINS0_14default_configENS1_21merge_config_selectorINS0_5tupleIJffEEENS0_10empty_typeEEEZNS1_10merge_implIS3_NS0_12zip_iteratorINS5_IJN6thrust23THRUST_200600_302600_NS6detail15normal_iteratorINSC_10device_ptrIKfEEEESI_EEEEESK_NSA_INS5_IJNSE_INSF_IfEEEESM_EEEEEPS7_SP_SP_NSC_11hip_rocprim7__merge17predicate_wrapperIffNSC_7greaterIfEEEEEE10hipError_tPvRmT0_T1_T2_T3_T4_T5_mmT6_P12ihipStream_tbEUlT_E0_NS1_11comp_targetILNS1_3genE4ELNS1_11target_archE910ELNS1_3gpuE8ELNS1_3repE0EEENS1_30default_config_static_selectorELNS0_4arch9wavefront6targetE0EEEvS10_.uses_vcc, 0
	.set _ZN7rocprim17ROCPRIM_400000_NS6detail17trampoline_kernelINS0_14default_configENS1_21merge_config_selectorINS0_5tupleIJffEEENS0_10empty_typeEEEZNS1_10merge_implIS3_NS0_12zip_iteratorINS5_IJN6thrust23THRUST_200600_302600_NS6detail15normal_iteratorINSC_10device_ptrIKfEEEESI_EEEEESK_NSA_INS5_IJNSE_INSF_IfEEEESM_EEEEEPS7_SP_SP_NSC_11hip_rocprim7__merge17predicate_wrapperIffNSC_7greaterIfEEEEEE10hipError_tPvRmT0_T1_T2_T3_T4_T5_mmT6_P12ihipStream_tbEUlT_E0_NS1_11comp_targetILNS1_3genE4ELNS1_11target_archE910ELNS1_3gpuE8ELNS1_3repE0EEENS1_30default_config_static_selectorELNS0_4arch9wavefront6targetE0EEEvS10_.uses_flat_scratch, 0
	.set _ZN7rocprim17ROCPRIM_400000_NS6detail17trampoline_kernelINS0_14default_configENS1_21merge_config_selectorINS0_5tupleIJffEEENS0_10empty_typeEEEZNS1_10merge_implIS3_NS0_12zip_iteratorINS5_IJN6thrust23THRUST_200600_302600_NS6detail15normal_iteratorINSC_10device_ptrIKfEEEESI_EEEEESK_NSA_INS5_IJNSE_INSF_IfEEEESM_EEEEEPS7_SP_SP_NSC_11hip_rocprim7__merge17predicate_wrapperIffNSC_7greaterIfEEEEEE10hipError_tPvRmT0_T1_T2_T3_T4_T5_mmT6_P12ihipStream_tbEUlT_E0_NS1_11comp_targetILNS1_3genE4ELNS1_11target_archE910ELNS1_3gpuE8ELNS1_3repE0EEENS1_30default_config_static_selectorELNS0_4arch9wavefront6targetE0EEEvS10_.has_dyn_sized_stack, 0
	.set _ZN7rocprim17ROCPRIM_400000_NS6detail17trampoline_kernelINS0_14default_configENS1_21merge_config_selectorINS0_5tupleIJffEEENS0_10empty_typeEEEZNS1_10merge_implIS3_NS0_12zip_iteratorINS5_IJN6thrust23THRUST_200600_302600_NS6detail15normal_iteratorINSC_10device_ptrIKfEEEESI_EEEEESK_NSA_INS5_IJNSE_INSF_IfEEEESM_EEEEEPS7_SP_SP_NSC_11hip_rocprim7__merge17predicate_wrapperIffNSC_7greaterIfEEEEEE10hipError_tPvRmT0_T1_T2_T3_T4_T5_mmT6_P12ihipStream_tbEUlT_E0_NS1_11comp_targetILNS1_3genE4ELNS1_11target_archE910ELNS1_3gpuE8ELNS1_3repE0EEENS1_30default_config_static_selectorELNS0_4arch9wavefront6targetE0EEEvS10_.has_recursion, 0
	.set _ZN7rocprim17ROCPRIM_400000_NS6detail17trampoline_kernelINS0_14default_configENS1_21merge_config_selectorINS0_5tupleIJffEEENS0_10empty_typeEEEZNS1_10merge_implIS3_NS0_12zip_iteratorINS5_IJN6thrust23THRUST_200600_302600_NS6detail15normal_iteratorINSC_10device_ptrIKfEEEESI_EEEEESK_NSA_INS5_IJNSE_INSF_IfEEEESM_EEEEEPS7_SP_SP_NSC_11hip_rocprim7__merge17predicate_wrapperIffNSC_7greaterIfEEEEEE10hipError_tPvRmT0_T1_T2_T3_T4_T5_mmT6_P12ihipStream_tbEUlT_E0_NS1_11comp_targetILNS1_3genE4ELNS1_11target_archE910ELNS1_3gpuE8ELNS1_3repE0EEENS1_30default_config_static_selectorELNS0_4arch9wavefront6targetE0EEEvS10_.has_indirect_call, 0
	.section	.AMDGPU.csdata,"",@progbits
; Kernel info:
; codeLenInByte = 0
; TotalNumSgprs: 0
; NumVgprs: 0
; ScratchSize: 0
; MemoryBound: 0
; FloatMode: 240
; IeeeMode: 1
; LDSByteSize: 0 bytes/workgroup (compile time only)
; SGPRBlocks: 0
; VGPRBlocks: 0
; NumSGPRsForWavesPerEU: 1
; NumVGPRsForWavesPerEU: 1
; NamedBarCnt: 0
; Occupancy: 16
; WaveLimiterHint : 0
; COMPUTE_PGM_RSRC2:SCRATCH_EN: 0
; COMPUTE_PGM_RSRC2:USER_SGPR: 2
; COMPUTE_PGM_RSRC2:TRAP_HANDLER: 0
; COMPUTE_PGM_RSRC2:TGID_X_EN: 1
; COMPUTE_PGM_RSRC2:TGID_Y_EN: 0
; COMPUTE_PGM_RSRC2:TGID_Z_EN: 0
; COMPUTE_PGM_RSRC2:TIDIG_COMP_CNT: 0
	.section	.text._ZN7rocprim17ROCPRIM_400000_NS6detail17trampoline_kernelINS0_14default_configENS1_21merge_config_selectorINS0_5tupleIJffEEENS0_10empty_typeEEEZNS1_10merge_implIS3_NS0_12zip_iteratorINS5_IJN6thrust23THRUST_200600_302600_NS6detail15normal_iteratorINSC_10device_ptrIKfEEEESI_EEEEESK_NSA_INS5_IJNSE_INSF_IfEEEESM_EEEEEPS7_SP_SP_NSC_11hip_rocprim7__merge17predicate_wrapperIffNSC_7greaterIfEEEEEE10hipError_tPvRmT0_T1_T2_T3_T4_T5_mmT6_P12ihipStream_tbEUlT_E0_NS1_11comp_targetILNS1_3genE3ELNS1_11target_archE908ELNS1_3gpuE7ELNS1_3repE0EEENS1_30default_config_static_selectorELNS0_4arch9wavefront6targetE0EEEvS10_,"axG",@progbits,_ZN7rocprim17ROCPRIM_400000_NS6detail17trampoline_kernelINS0_14default_configENS1_21merge_config_selectorINS0_5tupleIJffEEENS0_10empty_typeEEEZNS1_10merge_implIS3_NS0_12zip_iteratorINS5_IJN6thrust23THRUST_200600_302600_NS6detail15normal_iteratorINSC_10device_ptrIKfEEEESI_EEEEESK_NSA_INS5_IJNSE_INSF_IfEEEESM_EEEEEPS7_SP_SP_NSC_11hip_rocprim7__merge17predicate_wrapperIffNSC_7greaterIfEEEEEE10hipError_tPvRmT0_T1_T2_T3_T4_T5_mmT6_P12ihipStream_tbEUlT_E0_NS1_11comp_targetILNS1_3genE3ELNS1_11target_archE908ELNS1_3gpuE7ELNS1_3repE0EEENS1_30default_config_static_selectorELNS0_4arch9wavefront6targetE0EEEvS10_,comdat
	.protected	_ZN7rocprim17ROCPRIM_400000_NS6detail17trampoline_kernelINS0_14default_configENS1_21merge_config_selectorINS0_5tupleIJffEEENS0_10empty_typeEEEZNS1_10merge_implIS3_NS0_12zip_iteratorINS5_IJN6thrust23THRUST_200600_302600_NS6detail15normal_iteratorINSC_10device_ptrIKfEEEESI_EEEEESK_NSA_INS5_IJNSE_INSF_IfEEEESM_EEEEEPS7_SP_SP_NSC_11hip_rocprim7__merge17predicate_wrapperIffNSC_7greaterIfEEEEEE10hipError_tPvRmT0_T1_T2_T3_T4_T5_mmT6_P12ihipStream_tbEUlT_E0_NS1_11comp_targetILNS1_3genE3ELNS1_11target_archE908ELNS1_3gpuE7ELNS1_3repE0EEENS1_30default_config_static_selectorELNS0_4arch9wavefront6targetE0EEEvS10_ ; -- Begin function _ZN7rocprim17ROCPRIM_400000_NS6detail17trampoline_kernelINS0_14default_configENS1_21merge_config_selectorINS0_5tupleIJffEEENS0_10empty_typeEEEZNS1_10merge_implIS3_NS0_12zip_iteratorINS5_IJN6thrust23THRUST_200600_302600_NS6detail15normal_iteratorINSC_10device_ptrIKfEEEESI_EEEEESK_NSA_INS5_IJNSE_INSF_IfEEEESM_EEEEEPS7_SP_SP_NSC_11hip_rocprim7__merge17predicate_wrapperIffNSC_7greaterIfEEEEEE10hipError_tPvRmT0_T1_T2_T3_T4_T5_mmT6_P12ihipStream_tbEUlT_E0_NS1_11comp_targetILNS1_3genE3ELNS1_11target_archE908ELNS1_3gpuE7ELNS1_3repE0EEENS1_30default_config_static_selectorELNS0_4arch9wavefront6targetE0EEEvS10_
	.globl	_ZN7rocprim17ROCPRIM_400000_NS6detail17trampoline_kernelINS0_14default_configENS1_21merge_config_selectorINS0_5tupleIJffEEENS0_10empty_typeEEEZNS1_10merge_implIS3_NS0_12zip_iteratorINS5_IJN6thrust23THRUST_200600_302600_NS6detail15normal_iteratorINSC_10device_ptrIKfEEEESI_EEEEESK_NSA_INS5_IJNSE_INSF_IfEEEESM_EEEEEPS7_SP_SP_NSC_11hip_rocprim7__merge17predicate_wrapperIffNSC_7greaterIfEEEEEE10hipError_tPvRmT0_T1_T2_T3_T4_T5_mmT6_P12ihipStream_tbEUlT_E0_NS1_11comp_targetILNS1_3genE3ELNS1_11target_archE908ELNS1_3gpuE7ELNS1_3repE0EEENS1_30default_config_static_selectorELNS0_4arch9wavefront6targetE0EEEvS10_
	.p2align	8
	.type	_ZN7rocprim17ROCPRIM_400000_NS6detail17trampoline_kernelINS0_14default_configENS1_21merge_config_selectorINS0_5tupleIJffEEENS0_10empty_typeEEEZNS1_10merge_implIS3_NS0_12zip_iteratorINS5_IJN6thrust23THRUST_200600_302600_NS6detail15normal_iteratorINSC_10device_ptrIKfEEEESI_EEEEESK_NSA_INS5_IJNSE_INSF_IfEEEESM_EEEEEPS7_SP_SP_NSC_11hip_rocprim7__merge17predicate_wrapperIffNSC_7greaterIfEEEEEE10hipError_tPvRmT0_T1_T2_T3_T4_T5_mmT6_P12ihipStream_tbEUlT_E0_NS1_11comp_targetILNS1_3genE3ELNS1_11target_archE908ELNS1_3gpuE7ELNS1_3repE0EEENS1_30default_config_static_selectorELNS0_4arch9wavefront6targetE0EEEvS10_,@function
_ZN7rocprim17ROCPRIM_400000_NS6detail17trampoline_kernelINS0_14default_configENS1_21merge_config_selectorINS0_5tupleIJffEEENS0_10empty_typeEEEZNS1_10merge_implIS3_NS0_12zip_iteratorINS5_IJN6thrust23THRUST_200600_302600_NS6detail15normal_iteratorINSC_10device_ptrIKfEEEESI_EEEEESK_NSA_INS5_IJNSE_INSF_IfEEEESM_EEEEEPS7_SP_SP_NSC_11hip_rocprim7__merge17predicate_wrapperIffNSC_7greaterIfEEEEEE10hipError_tPvRmT0_T1_T2_T3_T4_T5_mmT6_P12ihipStream_tbEUlT_E0_NS1_11comp_targetILNS1_3genE3ELNS1_11target_archE908ELNS1_3gpuE7ELNS1_3repE0EEENS1_30default_config_static_selectorELNS0_4arch9wavefront6targetE0EEEvS10_: ; @_ZN7rocprim17ROCPRIM_400000_NS6detail17trampoline_kernelINS0_14default_configENS1_21merge_config_selectorINS0_5tupleIJffEEENS0_10empty_typeEEEZNS1_10merge_implIS3_NS0_12zip_iteratorINS5_IJN6thrust23THRUST_200600_302600_NS6detail15normal_iteratorINSC_10device_ptrIKfEEEESI_EEEEESK_NSA_INS5_IJNSE_INSF_IfEEEESM_EEEEEPS7_SP_SP_NSC_11hip_rocprim7__merge17predicate_wrapperIffNSC_7greaterIfEEEEEE10hipError_tPvRmT0_T1_T2_T3_T4_T5_mmT6_P12ihipStream_tbEUlT_E0_NS1_11comp_targetILNS1_3genE3ELNS1_11target_archE908ELNS1_3gpuE7ELNS1_3repE0EEENS1_30default_config_static_selectorELNS0_4arch9wavefront6targetE0EEEvS10_
; %bb.0:
	.section	.rodata,"a",@progbits
	.p2align	6, 0x0
	.amdhsa_kernel _ZN7rocprim17ROCPRIM_400000_NS6detail17trampoline_kernelINS0_14default_configENS1_21merge_config_selectorINS0_5tupleIJffEEENS0_10empty_typeEEEZNS1_10merge_implIS3_NS0_12zip_iteratorINS5_IJN6thrust23THRUST_200600_302600_NS6detail15normal_iteratorINSC_10device_ptrIKfEEEESI_EEEEESK_NSA_INS5_IJNSE_INSF_IfEEEESM_EEEEEPS7_SP_SP_NSC_11hip_rocprim7__merge17predicate_wrapperIffNSC_7greaterIfEEEEEE10hipError_tPvRmT0_T1_T2_T3_T4_T5_mmT6_P12ihipStream_tbEUlT_E0_NS1_11comp_targetILNS1_3genE3ELNS1_11target_archE908ELNS1_3gpuE7ELNS1_3repE0EEENS1_30default_config_static_selectorELNS0_4arch9wavefront6targetE0EEEvS10_
		.amdhsa_group_segment_fixed_size 0
		.amdhsa_private_segment_fixed_size 0
		.amdhsa_kernarg_size 112
		.amdhsa_user_sgpr_count 2
		.amdhsa_user_sgpr_dispatch_ptr 0
		.amdhsa_user_sgpr_queue_ptr 0
		.amdhsa_user_sgpr_kernarg_segment_ptr 1
		.amdhsa_user_sgpr_dispatch_id 0
		.amdhsa_user_sgpr_kernarg_preload_length 0
		.amdhsa_user_sgpr_kernarg_preload_offset 0
		.amdhsa_user_sgpr_private_segment_size 0
		.amdhsa_wavefront_size32 1
		.amdhsa_uses_dynamic_stack 0
		.amdhsa_enable_private_segment 0
		.amdhsa_system_sgpr_workgroup_id_x 1
		.amdhsa_system_sgpr_workgroup_id_y 0
		.amdhsa_system_sgpr_workgroup_id_z 0
		.amdhsa_system_sgpr_workgroup_info 0
		.amdhsa_system_vgpr_workitem_id 0
		.amdhsa_next_free_vgpr 1
		.amdhsa_next_free_sgpr 1
		.amdhsa_named_barrier_count 0
		.amdhsa_reserve_vcc 0
		.amdhsa_float_round_mode_32 0
		.amdhsa_float_round_mode_16_64 0
		.amdhsa_float_denorm_mode_32 3
		.amdhsa_float_denorm_mode_16_64 3
		.amdhsa_fp16_overflow 0
		.amdhsa_memory_ordered 1
		.amdhsa_forward_progress 1
		.amdhsa_inst_pref_size 0
		.amdhsa_round_robin_scheduling 0
		.amdhsa_exception_fp_ieee_invalid_op 0
		.amdhsa_exception_fp_denorm_src 0
		.amdhsa_exception_fp_ieee_div_zero 0
		.amdhsa_exception_fp_ieee_overflow 0
		.amdhsa_exception_fp_ieee_underflow 0
		.amdhsa_exception_fp_ieee_inexact 0
		.amdhsa_exception_int_div_zero 0
	.end_amdhsa_kernel
	.section	.text._ZN7rocprim17ROCPRIM_400000_NS6detail17trampoline_kernelINS0_14default_configENS1_21merge_config_selectorINS0_5tupleIJffEEENS0_10empty_typeEEEZNS1_10merge_implIS3_NS0_12zip_iteratorINS5_IJN6thrust23THRUST_200600_302600_NS6detail15normal_iteratorINSC_10device_ptrIKfEEEESI_EEEEESK_NSA_INS5_IJNSE_INSF_IfEEEESM_EEEEEPS7_SP_SP_NSC_11hip_rocprim7__merge17predicate_wrapperIffNSC_7greaterIfEEEEEE10hipError_tPvRmT0_T1_T2_T3_T4_T5_mmT6_P12ihipStream_tbEUlT_E0_NS1_11comp_targetILNS1_3genE3ELNS1_11target_archE908ELNS1_3gpuE7ELNS1_3repE0EEENS1_30default_config_static_selectorELNS0_4arch9wavefront6targetE0EEEvS10_,"axG",@progbits,_ZN7rocprim17ROCPRIM_400000_NS6detail17trampoline_kernelINS0_14default_configENS1_21merge_config_selectorINS0_5tupleIJffEEENS0_10empty_typeEEEZNS1_10merge_implIS3_NS0_12zip_iteratorINS5_IJN6thrust23THRUST_200600_302600_NS6detail15normal_iteratorINSC_10device_ptrIKfEEEESI_EEEEESK_NSA_INS5_IJNSE_INSF_IfEEEESM_EEEEEPS7_SP_SP_NSC_11hip_rocprim7__merge17predicate_wrapperIffNSC_7greaterIfEEEEEE10hipError_tPvRmT0_T1_T2_T3_T4_T5_mmT6_P12ihipStream_tbEUlT_E0_NS1_11comp_targetILNS1_3genE3ELNS1_11target_archE908ELNS1_3gpuE7ELNS1_3repE0EEENS1_30default_config_static_selectorELNS0_4arch9wavefront6targetE0EEEvS10_,comdat
.Lfunc_end347:
	.size	_ZN7rocprim17ROCPRIM_400000_NS6detail17trampoline_kernelINS0_14default_configENS1_21merge_config_selectorINS0_5tupleIJffEEENS0_10empty_typeEEEZNS1_10merge_implIS3_NS0_12zip_iteratorINS5_IJN6thrust23THRUST_200600_302600_NS6detail15normal_iteratorINSC_10device_ptrIKfEEEESI_EEEEESK_NSA_INS5_IJNSE_INSF_IfEEEESM_EEEEEPS7_SP_SP_NSC_11hip_rocprim7__merge17predicate_wrapperIffNSC_7greaterIfEEEEEE10hipError_tPvRmT0_T1_T2_T3_T4_T5_mmT6_P12ihipStream_tbEUlT_E0_NS1_11comp_targetILNS1_3genE3ELNS1_11target_archE908ELNS1_3gpuE7ELNS1_3repE0EEENS1_30default_config_static_selectorELNS0_4arch9wavefront6targetE0EEEvS10_, .Lfunc_end347-_ZN7rocprim17ROCPRIM_400000_NS6detail17trampoline_kernelINS0_14default_configENS1_21merge_config_selectorINS0_5tupleIJffEEENS0_10empty_typeEEEZNS1_10merge_implIS3_NS0_12zip_iteratorINS5_IJN6thrust23THRUST_200600_302600_NS6detail15normal_iteratorINSC_10device_ptrIKfEEEESI_EEEEESK_NSA_INS5_IJNSE_INSF_IfEEEESM_EEEEEPS7_SP_SP_NSC_11hip_rocprim7__merge17predicate_wrapperIffNSC_7greaterIfEEEEEE10hipError_tPvRmT0_T1_T2_T3_T4_T5_mmT6_P12ihipStream_tbEUlT_E0_NS1_11comp_targetILNS1_3genE3ELNS1_11target_archE908ELNS1_3gpuE7ELNS1_3repE0EEENS1_30default_config_static_selectorELNS0_4arch9wavefront6targetE0EEEvS10_
                                        ; -- End function
	.set _ZN7rocprim17ROCPRIM_400000_NS6detail17trampoline_kernelINS0_14default_configENS1_21merge_config_selectorINS0_5tupleIJffEEENS0_10empty_typeEEEZNS1_10merge_implIS3_NS0_12zip_iteratorINS5_IJN6thrust23THRUST_200600_302600_NS6detail15normal_iteratorINSC_10device_ptrIKfEEEESI_EEEEESK_NSA_INS5_IJNSE_INSF_IfEEEESM_EEEEEPS7_SP_SP_NSC_11hip_rocprim7__merge17predicate_wrapperIffNSC_7greaterIfEEEEEE10hipError_tPvRmT0_T1_T2_T3_T4_T5_mmT6_P12ihipStream_tbEUlT_E0_NS1_11comp_targetILNS1_3genE3ELNS1_11target_archE908ELNS1_3gpuE7ELNS1_3repE0EEENS1_30default_config_static_selectorELNS0_4arch9wavefront6targetE0EEEvS10_.num_vgpr, 0
	.set _ZN7rocprim17ROCPRIM_400000_NS6detail17trampoline_kernelINS0_14default_configENS1_21merge_config_selectorINS0_5tupleIJffEEENS0_10empty_typeEEEZNS1_10merge_implIS3_NS0_12zip_iteratorINS5_IJN6thrust23THRUST_200600_302600_NS6detail15normal_iteratorINSC_10device_ptrIKfEEEESI_EEEEESK_NSA_INS5_IJNSE_INSF_IfEEEESM_EEEEEPS7_SP_SP_NSC_11hip_rocprim7__merge17predicate_wrapperIffNSC_7greaterIfEEEEEE10hipError_tPvRmT0_T1_T2_T3_T4_T5_mmT6_P12ihipStream_tbEUlT_E0_NS1_11comp_targetILNS1_3genE3ELNS1_11target_archE908ELNS1_3gpuE7ELNS1_3repE0EEENS1_30default_config_static_selectorELNS0_4arch9wavefront6targetE0EEEvS10_.num_agpr, 0
	.set _ZN7rocprim17ROCPRIM_400000_NS6detail17trampoline_kernelINS0_14default_configENS1_21merge_config_selectorINS0_5tupleIJffEEENS0_10empty_typeEEEZNS1_10merge_implIS3_NS0_12zip_iteratorINS5_IJN6thrust23THRUST_200600_302600_NS6detail15normal_iteratorINSC_10device_ptrIKfEEEESI_EEEEESK_NSA_INS5_IJNSE_INSF_IfEEEESM_EEEEEPS7_SP_SP_NSC_11hip_rocprim7__merge17predicate_wrapperIffNSC_7greaterIfEEEEEE10hipError_tPvRmT0_T1_T2_T3_T4_T5_mmT6_P12ihipStream_tbEUlT_E0_NS1_11comp_targetILNS1_3genE3ELNS1_11target_archE908ELNS1_3gpuE7ELNS1_3repE0EEENS1_30default_config_static_selectorELNS0_4arch9wavefront6targetE0EEEvS10_.numbered_sgpr, 0
	.set _ZN7rocprim17ROCPRIM_400000_NS6detail17trampoline_kernelINS0_14default_configENS1_21merge_config_selectorINS0_5tupleIJffEEENS0_10empty_typeEEEZNS1_10merge_implIS3_NS0_12zip_iteratorINS5_IJN6thrust23THRUST_200600_302600_NS6detail15normal_iteratorINSC_10device_ptrIKfEEEESI_EEEEESK_NSA_INS5_IJNSE_INSF_IfEEEESM_EEEEEPS7_SP_SP_NSC_11hip_rocprim7__merge17predicate_wrapperIffNSC_7greaterIfEEEEEE10hipError_tPvRmT0_T1_T2_T3_T4_T5_mmT6_P12ihipStream_tbEUlT_E0_NS1_11comp_targetILNS1_3genE3ELNS1_11target_archE908ELNS1_3gpuE7ELNS1_3repE0EEENS1_30default_config_static_selectorELNS0_4arch9wavefront6targetE0EEEvS10_.num_named_barrier, 0
	.set _ZN7rocprim17ROCPRIM_400000_NS6detail17trampoline_kernelINS0_14default_configENS1_21merge_config_selectorINS0_5tupleIJffEEENS0_10empty_typeEEEZNS1_10merge_implIS3_NS0_12zip_iteratorINS5_IJN6thrust23THRUST_200600_302600_NS6detail15normal_iteratorINSC_10device_ptrIKfEEEESI_EEEEESK_NSA_INS5_IJNSE_INSF_IfEEEESM_EEEEEPS7_SP_SP_NSC_11hip_rocprim7__merge17predicate_wrapperIffNSC_7greaterIfEEEEEE10hipError_tPvRmT0_T1_T2_T3_T4_T5_mmT6_P12ihipStream_tbEUlT_E0_NS1_11comp_targetILNS1_3genE3ELNS1_11target_archE908ELNS1_3gpuE7ELNS1_3repE0EEENS1_30default_config_static_selectorELNS0_4arch9wavefront6targetE0EEEvS10_.private_seg_size, 0
	.set _ZN7rocprim17ROCPRIM_400000_NS6detail17trampoline_kernelINS0_14default_configENS1_21merge_config_selectorINS0_5tupleIJffEEENS0_10empty_typeEEEZNS1_10merge_implIS3_NS0_12zip_iteratorINS5_IJN6thrust23THRUST_200600_302600_NS6detail15normal_iteratorINSC_10device_ptrIKfEEEESI_EEEEESK_NSA_INS5_IJNSE_INSF_IfEEEESM_EEEEEPS7_SP_SP_NSC_11hip_rocprim7__merge17predicate_wrapperIffNSC_7greaterIfEEEEEE10hipError_tPvRmT0_T1_T2_T3_T4_T5_mmT6_P12ihipStream_tbEUlT_E0_NS1_11comp_targetILNS1_3genE3ELNS1_11target_archE908ELNS1_3gpuE7ELNS1_3repE0EEENS1_30default_config_static_selectorELNS0_4arch9wavefront6targetE0EEEvS10_.uses_vcc, 0
	.set _ZN7rocprim17ROCPRIM_400000_NS6detail17trampoline_kernelINS0_14default_configENS1_21merge_config_selectorINS0_5tupleIJffEEENS0_10empty_typeEEEZNS1_10merge_implIS3_NS0_12zip_iteratorINS5_IJN6thrust23THRUST_200600_302600_NS6detail15normal_iteratorINSC_10device_ptrIKfEEEESI_EEEEESK_NSA_INS5_IJNSE_INSF_IfEEEESM_EEEEEPS7_SP_SP_NSC_11hip_rocprim7__merge17predicate_wrapperIffNSC_7greaterIfEEEEEE10hipError_tPvRmT0_T1_T2_T3_T4_T5_mmT6_P12ihipStream_tbEUlT_E0_NS1_11comp_targetILNS1_3genE3ELNS1_11target_archE908ELNS1_3gpuE7ELNS1_3repE0EEENS1_30default_config_static_selectorELNS0_4arch9wavefront6targetE0EEEvS10_.uses_flat_scratch, 0
	.set _ZN7rocprim17ROCPRIM_400000_NS6detail17trampoline_kernelINS0_14default_configENS1_21merge_config_selectorINS0_5tupleIJffEEENS0_10empty_typeEEEZNS1_10merge_implIS3_NS0_12zip_iteratorINS5_IJN6thrust23THRUST_200600_302600_NS6detail15normal_iteratorINSC_10device_ptrIKfEEEESI_EEEEESK_NSA_INS5_IJNSE_INSF_IfEEEESM_EEEEEPS7_SP_SP_NSC_11hip_rocprim7__merge17predicate_wrapperIffNSC_7greaterIfEEEEEE10hipError_tPvRmT0_T1_T2_T3_T4_T5_mmT6_P12ihipStream_tbEUlT_E0_NS1_11comp_targetILNS1_3genE3ELNS1_11target_archE908ELNS1_3gpuE7ELNS1_3repE0EEENS1_30default_config_static_selectorELNS0_4arch9wavefront6targetE0EEEvS10_.has_dyn_sized_stack, 0
	.set _ZN7rocprim17ROCPRIM_400000_NS6detail17trampoline_kernelINS0_14default_configENS1_21merge_config_selectorINS0_5tupleIJffEEENS0_10empty_typeEEEZNS1_10merge_implIS3_NS0_12zip_iteratorINS5_IJN6thrust23THRUST_200600_302600_NS6detail15normal_iteratorINSC_10device_ptrIKfEEEESI_EEEEESK_NSA_INS5_IJNSE_INSF_IfEEEESM_EEEEEPS7_SP_SP_NSC_11hip_rocprim7__merge17predicate_wrapperIffNSC_7greaterIfEEEEEE10hipError_tPvRmT0_T1_T2_T3_T4_T5_mmT6_P12ihipStream_tbEUlT_E0_NS1_11comp_targetILNS1_3genE3ELNS1_11target_archE908ELNS1_3gpuE7ELNS1_3repE0EEENS1_30default_config_static_selectorELNS0_4arch9wavefront6targetE0EEEvS10_.has_recursion, 0
	.set _ZN7rocprim17ROCPRIM_400000_NS6detail17trampoline_kernelINS0_14default_configENS1_21merge_config_selectorINS0_5tupleIJffEEENS0_10empty_typeEEEZNS1_10merge_implIS3_NS0_12zip_iteratorINS5_IJN6thrust23THRUST_200600_302600_NS6detail15normal_iteratorINSC_10device_ptrIKfEEEESI_EEEEESK_NSA_INS5_IJNSE_INSF_IfEEEESM_EEEEEPS7_SP_SP_NSC_11hip_rocprim7__merge17predicate_wrapperIffNSC_7greaterIfEEEEEE10hipError_tPvRmT0_T1_T2_T3_T4_T5_mmT6_P12ihipStream_tbEUlT_E0_NS1_11comp_targetILNS1_3genE3ELNS1_11target_archE908ELNS1_3gpuE7ELNS1_3repE0EEENS1_30default_config_static_selectorELNS0_4arch9wavefront6targetE0EEEvS10_.has_indirect_call, 0
	.section	.AMDGPU.csdata,"",@progbits
; Kernel info:
; codeLenInByte = 0
; TotalNumSgprs: 0
; NumVgprs: 0
; ScratchSize: 0
; MemoryBound: 0
; FloatMode: 240
; IeeeMode: 1
; LDSByteSize: 0 bytes/workgroup (compile time only)
; SGPRBlocks: 0
; VGPRBlocks: 0
; NumSGPRsForWavesPerEU: 1
; NumVGPRsForWavesPerEU: 1
; NamedBarCnt: 0
; Occupancy: 16
; WaveLimiterHint : 0
; COMPUTE_PGM_RSRC2:SCRATCH_EN: 0
; COMPUTE_PGM_RSRC2:USER_SGPR: 2
; COMPUTE_PGM_RSRC2:TRAP_HANDLER: 0
; COMPUTE_PGM_RSRC2:TGID_X_EN: 1
; COMPUTE_PGM_RSRC2:TGID_Y_EN: 0
; COMPUTE_PGM_RSRC2:TGID_Z_EN: 0
; COMPUTE_PGM_RSRC2:TIDIG_COMP_CNT: 0
	.section	.text._ZN7rocprim17ROCPRIM_400000_NS6detail17trampoline_kernelINS0_14default_configENS1_21merge_config_selectorINS0_5tupleIJffEEENS0_10empty_typeEEEZNS1_10merge_implIS3_NS0_12zip_iteratorINS5_IJN6thrust23THRUST_200600_302600_NS6detail15normal_iteratorINSC_10device_ptrIKfEEEESI_EEEEESK_NSA_INS5_IJNSE_INSF_IfEEEESM_EEEEEPS7_SP_SP_NSC_11hip_rocprim7__merge17predicate_wrapperIffNSC_7greaterIfEEEEEE10hipError_tPvRmT0_T1_T2_T3_T4_T5_mmT6_P12ihipStream_tbEUlT_E0_NS1_11comp_targetILNS1_3genE2ELNS1_11target_archE906ELNS1_3gpuE6ELNS1_3repE0EEENS1_30default_config_static_selectorELNS0_4arch9wavefront6targetE0EEEvS10_,"axG",@progbits,_ZN7rocprim17ROCPRIM_400000_NS6detail17trampoline_kernelINS0_14default_configENS1_21merge_config_selectorINS0_5tupleIJffEEENS0_10empty_typeEEEZNS1_10merge_implIS3_NS0_12zip_iteratorINS5_IJN6thrust23THRUST_200600_302600_NS6detail15normal_iteratorINSC_10device_ptrIKfEEEESI_EEEEESK_NSA_INS5_IJNSE_INSF_IfEEEESM_EEEEEPS7_SP_SP_NSC_11hip_rocprim7__merge17predicate_wrapperIffNSC_7greaterIfEEEEEE10hipError_tPvRmT0_T1_T2_T3_T4_T5_mmT6_P12ihipStream_tbEUlT_E0_NS1_11comp_targetILNS1_3genE2ELNS1_11target_archE906ELNS1_3gpuE6ELNS1_3repE0EEENS1_30default_config_static_selectorELNS0_4arch9wavefront6targetE0EEEvS10_,comdat
	.protected	_ZN7rocprim17ROCPRIM_400000_NS6detail17trampoline_kernelINS0_14default_configENS1_21merge_config_selectorINS0_5tupleIJffEEENS0_10empty_typeEEEZNS1_10merge_implIS3_NS0_12zip_iteratorINS5_IJN6thrust23THRUST_200600_302600_NS6detail15normal_iteratorINSC_10device_ptrIKfEEEESI_EEEEESK_NSA_INS5_IJNSE_INSF_IfEEEESM_EEEEEPS7_SP_SP_NSC_11hip_rocprim7__merge17predicate_wrapperIffNSC_7greaterIfEEEEEE10hipError_tPvRmT0_T1_T2_T3_T4_T5_mmT6_P12ihipStream_tbEUlT_E0_NS1_11comp_targetILNS1_3genE2ELNS1_11target_archE906ELNS1_3gpuE6ELNS1_3repE0EEENS1_30default_config_static_selectorELNS0_4arch9wavefront6targetE0EEEvS10_ ; -- Begin function _ZN7rocprim17ROCPRIM_400000_NS6detail17trampoline_kernelINS0_14default_configENS1_21merge_config_selectorINS0_5tupleIJffEEENS0_10empty_typeEEEZNS1_10merge_implIS3_NS0_12zip_iteratorINS5_IJN6thrust23THRUST_200600_302600_NS6detail15normal_iteratorINSC_10device_ptrIKfEEEESI_EEEEESK_NSA_INS5_IJNSE_INSF_IfEEEESM_EEEEEPS7_SP_SP_NSC_11hip_rocprim7__merge17predicate_wrapperIffNSC_7greaterIfEEEEEE10hipError_tPvRmT0_T1_T2_T3_T4_T5_mmT6_P12ihipStream_tbEUlT_E0_NS1_11comp_targetILNS1_3genE2ELNS1_11target_archE906ELNS1_3gpuE6ELNS1_3repE0EEENS1_30default_config_static_selectorELNS0_4arch9wavefront6targetE0EEEvS10_
	.globl	_ZN7rocprim17ROCPRIM_400000_NS6detail17trampoline_kernelINS0_14default_configENS1_21merge_config_selectorINS0_5tupleIJffEEENS0_10empty_typeEEEZNS1_10merge_implIS3_NS0_12zip_iteratorINS5_IJN6thrust23THRUST_200600_302600_NS6detail15normal_iteratorINSC_10device_ptrIKfEEEESI_EEEEESK_NSA_INS5_IJNSE_INSF_IfEEEESM_EEEEEPS7_SP_SP_NSC_11hip_rocprim7__merge17predicate_wrapperIffNSC_7greaterIfEEEEEE10hipError_tPvRmT0_T1_T2_T3_T4_T5_mmT6_P12ihipStream_tbEUlT_E0_NS1_11comp_targetILNS1_3genE2ELNS1_11target_archE906ELNS1_3gpuE6ELNS1_3repE0EEENS1_30default_config_static_selectorELNS0_4arch9wavefront6targetE0EEEvS10_
	.p2align	8
	.type	_ZN7rocprim17ROCPRIM_400000_NS6detail17trampoline_kernelINS0_14default_configENS1_21merge_config_selectorINS0_5tupleIJffEEENS0_10empty_typeEEEZNS1_10merge_implIS3_NS0_12zip_iteratorINS5_IJN6thrust23THRUST_200600_302600_NS6detail15normal_iteratorINSC_10device_ptrIKfEEEESI_EEEEESK_NSA_INS5_IJNSE_INSF_IfEEEESM_EEEEEPS7_SP_SP_NSC_11hip_rocprim7__merge17predicate_wrapperIffNSC_7greaterIfEEEEEE10hipError_tPvRmT0_T1_T2_T3_T4_T5_mmT6_P12ihipStream_tbEUlT_E0_NS1_11comp_targetILNS1_3genE2ELNS1_11target_archE906ELNS1_3gpuE6ELNS1_3repE0EEENS1_30default_config_static_selectorELNS0_4arch9wavefront6targetE0EEEvS10_,@function
_ZN7rocprim17ROCPRIM_400000_NS6detail17trampoline_kernelINS0_14default_configENS1_21merge_config_selectorINS0_5tupleIJffEEENS0_10empty_typeEEEZNS1_10merge_implIS3_NS0_12zip_iteratorINS5_IJN6thrust23THRUST_200600_302600_NS6detail15normal_iteratorINSC_10device_ptrIKfEEEESI_EEEEESK_NSA_INS5_IJNSE_INSF_IfEEEESM_EEEEEPS7_SP_SP_NSC_11hip_rocprim7__merge17predicate_wrapperIffNSC_7greaterIfEEEEEE10hipError_tPvRmT0_T1_T2_T3_T4_T5_mmT6_P12ihipStream_tbEUlT_E0_NS1_11comp_targetILNS1_3genE2ELNS1_11target_archE906ELNS1_3gpuE6ELNS1_3repE0EEENS1_30default_config_static_selectorELNS0_4arch9wavefront6targetE0EEEvS10_: ; @_ZN7rocprim17ROCPRIM_400000_NS6detail17trampoline_kernelINS0_14default_configENS1_21merge_config_selectorINS0_5tupleIJffEEENS0_10empty_typeEEEZNS1_10merge_implIS3_NS0_12zip_iteratorINS5_IJN6thrust23THRUST_200600_302600_NS6detail15normal_iteratorINSC_10device_ptrIKfEEEESI_EEEEESK_NSA_INS5_IJNSE_INSF_IfEEEESM_EEEEEPS7_SP_SP_NSC_11hip_rocprim7__merge17predicate_wrapperIffNSC_7greaterIfEEEEEE10hipError_tPvRmT0_T1_T2_T3_T4_T5_mmT6_P12ihipStream_tbEUlT_E0_NS1_11comp_targetILNS1_3genE2ELNS1_11target_archE906ELNS1_3gpuE6ELNS1_3repE0EEENS1_30default_config_static_selectorELNS0_4arch9wavefront6targetE0EEEvS10_
; %bb.0:
	.section	.rodata,"a",@progbits
	.p2align	6, 0x0
	.amdhsa_kernel _ZN7rocprim17ROCPRIM_400000_NS6detail17trampoline_kernelINS0_14default_configENS1_21merge_config_selectorINS0_5tupleIJffEEENS0_10empty_typeEEEZNS1_10merge_implIS3_NS0_12zip_iteratorINS5_IJN6thrust23THRUST_200600_302600_NS6detail15normal_iteratorINSC_10device_ptrIKfEEEESI_EEEEESK_NSA_INS5_IJNSE_INSF_IfEEEESM_EEEEEPS7_SP_SP_NSC_11hip_rocprim7__merge17predicate_wrapperIffNSC_7greaterIfEEEEEE10hipError_tPvRmT0_T1_T2_T3_T4_T5_mmT6_P12ihipStream_tbEUlT_E0_NS1_11comp_targetILNS1_3genE2ELNS1_11target_archE906ELNS1_3gpuE6ELNS1_3repE0EEENS1_30default_config_static_selectorELNS0_4arch9wavefront6targetE0EEEvS10_
		.amdhsa_group_segment_fixed_size 0
		.amdhsa_private_segment_fixed_size 0
		.amdhsa_kernarg_size 112
		.amdhsa_user_sgpr_count 2
		.amdhsa_user_sgpr_dispatch_ptr 0
		.amdhsa_user_sgpr_queue_ptr 0
		.amdhsa_user_sgpr_kernarg_segment_ptr 1
		.amdhsa_user_sgpr_dispatch_id 0
		.amdhsa_user_sgpr_kernarg_preload_length 0
		.amdhsa_user_sgpr_kernarg_preload_offset 0
		.amdhsa_user_sgpr_private_segment_size 0
		.amdhsa_wavefront_size32 1
		.amdhsa_uses_dynamic_stack 0
		.amdhsa_enable_private_segment 0
		.amdhsa_system_sgpr_workgroup_id_x 1
		.amdhsa_system_sgpr_workgroup_id_y 0
		.amdhsa_system_sgpr_workgroup_id_z 0
		.amdhsa_system_sgpr_workgroup_info 0
		.amdhsa_system_vgpr_workitem_id 0
		.amdhsa_next_free_vgpr 1
		.amdhsa_next_free_sgpr 1
		.amdhsa_named_barrier_count 0
		.amdhsa_reserve_vcc 0
		.amdhsa_float_round_mode_32 0
		.amdhsa_float_round_mode_16_64 0
		.amdhsa_float_denorm_mode_32 3
		.amdhsa_float_denorm_mode_16_64 3
		.amdhsa_fp16_overflow 0
		.amdhsa_memory_ordered 1
		.amdhsa_forward_progress 1
		.amdhsa_inst_pref_size 0
		.amdhsa_round_robin_scheduling 0
		.amdhsa_exception_fp_ieee_invalid_op 0
		.amdhsa_exception_fp_denorm_src 0
		.amdhsa_exception_fp_ieee_div_zero 0
		.amdhsa_exception_fp_ieee_overflow 0
		.amdhsa_exception_fp_ieee_underflow 0
		.amdhsa_exception_fp_ieee_inexact 0
		.amdhsa_exception_int_div_zero 0
	.end_amdhsa_kernel
	.section	.text._ZN7rocprim17ROCPRIM_400000_NS6detail17trampoline_kernelINS0_14default_configENS1_21merge_config_selectorINS0_5tupleIJffEEENS0_10empty_typeEEEZNS1_10merge_implIS3_NS0_12zip_iteratorINS5_IJN6thrust23THRUST_200600_302600_NS6detail15normal_iteratorINSC_10device_ptrIKfEEEESI_EEEEESK_NSA_INS5_IJNSE_INSF_IfEEEESM_EEEEEPS7_SP_SP_NSC_11hip_rocprim7__merge17predicate_wrapperIffNSC_7greaterIfEEEEEE10hipError_tPvRmT0_T1_T2_T3_T4_T5_mmT6_P12ihipStream_tbEUlT_E0_NS1_11comp_targetILNS1_3genE2ELNS1_11target_archE906ELNS1_3gpuE6ELNS1_3repE0EEENS1_30default_config_static_selectorELNS0_4arch9wavefront6targetE0EEEvS10_,"axG",@progbits,_ZN7rocprim17ROCPRIM_400000_NS6detail17trampoline_kernelINS0_14default_configENS1_21merge_config_selectorINS0_5tupleIJffEEENS0_10empty_typeEEEZNS1_10merge_implIS3_NS0_12zip_iteratorINS5_IJN6thrust23THRUST_200600_302600_NS6detail15normal_iteratorINSC_10device_ptrIKfEEEESI_EEEEESK_NSA_INS5_IJNSE_INSF_IfEEEESM_EEEEEPS7_SP_SP_NSC_11hip_rocprim7__merge17predicate_wrapperIffNSC_7greaterIfEEEEEE10hipError_tPvRmT0_T1_T2_T3_T4_T5_mmT6_P12ihipStream_tbEUlT_E0_NS1_11comp_targetILNS1_3genE2ELNS1_11target_archE906ELNS1_3gpuE6ELNS1_3repE0EEENS1_30default_config_static_selectorELNS0_4arch9wavefront6targetE0EEEvS10_,comdat
.Lfunc_end348:
	.size	_ZN7rocprim17ROCPRIM_400000_NS6detail17trampoline_kernelINS0_14default_configENS1_21merge_config_selectorINS0_5tupleIJffEEENS0_10empty_typeEEEZNS1_10merge_implIS3_NS0_12zip_iteratorINS5_IJN6thrust23THRUST_200600_302600_NS6detail15normal_iteratorINSC_10device_ptrIKfEEEESI_EEEEESK_NSA_INS5_IJNSE_INSF_IfEEEESM_EEEEEPS7_SP_SP_NSC_11hip_rocprim7__merge17predicate_wrapperIffNSC_7greaterIfEEEEEE10hipError_tPvRmT0_T1_T2_T3_T4_T5_mmT6_P12ihipStream_tbEUlT_E0_NS1_11comp_targetILNS1_3genE2ELNS1_11target_archE906ELNS1_3gpuE6ELNS1_3repE0EEENS1_30default_config_static_selectorELNS0_4arch9wavefront6targetE0EEEvS10_, .Lfunc_end348-_ZN7rocprim17ROCPRIM_400000_NS6detail17trampoline_kernelINS0_14default_configENS1_21merge_config_selectorINS0_5tupleIJffEEENS0_10empty_typeEEEZNS1_10merge_implIS3_NS0_12zip_iteratorINS5_IJN6thrust23THRUST_200600_302600_NS6detail15normal_iteratorINSC_10device_ptrIKfEEEESI_EEEEESK_NSA_INS5_IJNSE_INSF_IfEEEESM_EEEEEPS7_SP_SP_NSC_11hip_rocprim7__merge17predicate_wrapperIffNSC_7greaterIfEEEEEE10hipError_tPvRmT0_T1_T2_T3_T4_T5_mmT6_P12ihipStream_tbEUlT_E0_NS1_11comp_targetILNS1_3genE2ELNS1_11target_archE906ELNS1_3gpuE6ELNS1_3repE0EEENS1_30default_config_static_selectorELNS0_4arch9wavefront6targetE0EEEvS10_
                                        ; -- End function
	.set _ZN7rocprim17ROCPRIM_400000_NS6detail17trampoline_kernelINS0_14default_configENS1_21merge_config_selectorINS0_5tupleIJffEEENS0_10empty_typeEEEZNS1_10merge_implIS3_NS0_12zip_iteratorINS5_IJN6thrust23THRUST_200600_302600_NS6detail15normal_iteratorINSC_10device_ptrIKfEEEESI_EEEEESK_NSA_INS5_IJNSE_INSF_IfEEEESM_EEEEEPS7_SP_SP_NSC_11hip_rocprim7__merge17predicate_wrapperIffNSC_7greaterIfEEEEEE10hipError_tPvRmT0_T1_T2_T3_T4_T5_mmT6_P12ihipStream_tbEUlT_E0_NS1_11comp_targetILNS1_3genE2ELNS1_11target_archE906ELNS1_3gpuE6ELNS1_3repE0EEENS1_30default_config_static_selectorELNS0_4arch9wavefront6targetE0EEEvS10_.num_vgpr, 0
	.set _ZN7rocprim17ROCPRIM_400000_NS6detail17trampoline_kernelINS0_14default_configENS1_21merge_config_selectorINS0_5tupleIJffEEENS0_10empty_typeEEEZNS1_10merge_implIS3_NS0_12zip_iteratorINS5_IJN6thrust23THRUST_200600_302600_NS6detail15normal_iteratorINSC_10device_ptrIKfEEEESI_EEEEESK_NSA_INS5_IJNSE_INSF_IfEEEESM_EEEEEPS7_SP_SP_NSC_11hip_rocprim7__merge17predicate_wrapperIffNSC_7greaterIfEEEEEE10hipError_tPvRmT0_T1_T2_T3_T4_T5_mmT6_P12ihipStream_tbEUlT_E0_NS1_11comp_targetILNS1_3genE2ELNS1_11target_archE906ELNS1_3gpuE6ELNS1_3repE0EEENS1_30default_config_static_selectorELNS0_4arch9wavefront6targetE0EEEvS10_.num_agpr, 0
	.set _ZN7rocprim17ROCPRIM_400000_NS6detail17trampoline_kernelINS0_14default_configENS1_21merge_config_selectorINS0_5tupleIJffEEENS0_10empty_typeEEEZNS1_10merge_implIS3_NS0_12zip_iteratorINS5_IJN6thrust23THRUST_200600_302600_NS6detail15normal_iteratorINSC_10device_ptrIKfEEEESI_EEEEESK_NSA_INS5_IJNSE_INSF_IfEEEESM_EEEEEPS7_SP_SP_NSC_11hip_rocprim7__merge17predicate_wrapperIffNSC_7greaterIfEEEEEE10hipError_tPvRmT0_T1_T2_T3_T4_T5_mmT6_P12ihipStream_tbEUlT_E0_NS1_11comp_targetILNS1_3genE2ELNS1_11target_archE906ELNS1_3gpuE6ELNS1_3repE0EEENS1_30default_config_static_selectorELNS0_4arch9wavefront6targetE0EEEvS10_.numbered_sgpr, 0
	.set _ZN7rocprim17ROCPRIM_400000_NS6detail17trampoline_kernelINS0_14default_configENS1_21merge_config_selectorINS0_5tupleIJffEEENS0_10empty_typeEEEZNS1_10merge_implIS3_NS0_12zip_iteratorINS5_IJN6thrust23THRUST_200600_302600_NS6detail15normal_iteratorINSC_10device_ptrIKfEEEESI_EEEEESK_NSA_INS5_IJNSE_INSF_IfEEEESM_EEEEEPS7_SP_SP_NSC_11hip_rocprim7__merge17predicate_wrapperIffNSC_7greaterIfEEEEEE10hipError_tPvRmT0_T1_T2_T3_T4_T5_mmT6_P12ihipStream_tbEUlT_E0_NS1_11comp_targetILNS1_3genE2ELNS1_11target_archE906ELNS1_3gpuE6ELNS1_3repE0EEENS1_30default_config_static_selectorELNS0_4arch9wavefront6targetE0EEEvS10_.num_named_barrier, 0
	.set _ZN7rocprim17ROCPRIM_400000_NS6detail17trampoline_kernelINS0_14default_configENS1_21merge_config_selectorINS0_5tupleIJffEEENS0_10empty_typeEEEZNS1_10merge_implIS3_NS0_12zip_iteratorINS5_IJN6thrust23THRUST_200600_302600_NS6detail15normal_iteratorINSC_10device_ptrIKfEEEESI_EEEEESK_NSA_INS5_IJNSE_INSF_IfEEEESM_EEEEEPS7_SP_SP_NSC_11hip_rocprim7__merge17predicate_wrapperIffNSC_7greaterIfEEEEEE10hipError_tPvRmT0_T1_T2_T3_T4_T5_mmT6_P12ihipStream_tbEUlT_E0_NS1_11comp_targetILNS1_3genE2ELNS1_11target_archE906ELNS1_3gpuE6ELNS1_3repE0EEENS1_30default_config_static_selectorELNS0_4arch9wavefront6targetE0EEEvS10_.private_seg_size, 0
	.set _ZN7rocprim17ROCPRIM_400000_NS6detail17trampoline_kernelINS0_14default_configENS1_21merge_config_selectorINS0_5tupleIJffEEENS0_10empty_typeEEEZNS1_10merge_implIS3_NS0_12zip_iteratorINS5_IJN6thrust23THRUST_200600_302600_NS6detail15normal_iteratorINSC_10device_ptrIKfEEEESI_EEEEESK_NSA_INS5_IJNSE_INSF_IfEEEESM_EEEEEPS7_SP_SP_NSC_11hip_rocprim7__merge17predicate_wrapperIffNSC_7greaterIfEEEEEE10hipError_tPvRmT0_T1_T2_T3_T4_T5_mmT6_P12ihipStream_tbEUlT_E0_NS1_11comp_targetILNS1_3genE2ELNS1_11target_archE906ELNS1_3gpuE6ELNS1_3repE0EEENS1_30default_config_static_selectorELNS0_4arch9wavefront6targetE0EEEvS10_.uses_vcc, 0
	.set _ZN7rocprim17ROCPRIM_400000_NS6detail17trampoline_kernelINS0_14default_configENS1_21merge_config_selectorINS0_5tupleIJffEEENS0_10empty_typeEEEZNS1_10merge_implIS3_NS0_12zip_iteratorINS5_IJN6thrust23THRUST_200600_302600_NS6detail15normal_iteratorINSC_10device_ptrIKfEEEESI_EEEEESK_NSA_INS5_IJNSE_INSF_IfEEEESM_EEEEEPS7_SP_SP_NSC_11hip_rocprim7__merge17predicate_wrapperIffNSC_7greaterIfEEEEEE10hipError_tPvRmT0_T1_T2_T3_T4_T5_mmT6_P12ihipStream_tbEUlT_E0_NS1_11comp_targetILNS1_3genE2ELNS1_11target_archE906ELNS1_3gpuE6ELNS1_3repE0EEENS1_30default_config_static_selectorELNS0_4arch9wavefront6targetE0EEEvS10_.uses_flat_scratch, 0
	.set _ZN7rocprim17ROCPRIM_400000_NS6detail17trampoline_kernelINS0_14default_configENS1_21merge_config_selectorINS0_5tupleIJffEEENS0_10empty_typeEEEZNS1_10merge_implIS3_NS0_12zip_iteratorINS5_IJN6thrust23THRUST_200600_302600_NS6detail15normal_iteratorINSC_10device_ptrIKfEEEESI_EEEEESK_NSA_INS5_IJNSE_INSF_IfEEEESM_EEEEEPS7_SP_SP_NSC_11hip_rocprim7__merge17predicate_wrapperIffNSC_7greaterIfEEEEEE10hipError_tPvRmT0_T1_T2_T3_T4_T5_mmT6_P12ihipStream_tbEUlT_E0_NS1_11comp_targetILNS1_3genE2ELNS1_11target_archE906ELNS1_3gpuE6ELNS1_3repE0EEENS1_30default_config_static_selectorELNS0_4arch9wavefront6targetE0EEEvS10_.has_dyn_sized_stack, 0
	.set _ZN7rocprim17ROCPRIM_400000_NS6detail17trampoline_kernelINS0_14default_configENS1_21merge_config_selectorINS0_5tupleIJffEEENS0_10empty_typeEEEZNS1_10merge_implIS3_NS0_12zip_iteratorINS5_IJN6thrust23THRUST_200600_302600_NS6detail15normal_iteratorINSC_10device_ptrIKfEEEESI_EEEEESK_NSA_INS5_IJNSE_INSF_IfEEEESM_EEEEEPS7_SP_SP_NSC_11hip_rocprim7__merge17predicate_wrapperIffNSC_7greaterIfEEEEEE10hipError_tPvRmT0_T1_T2_T3_T4_T5_mmT6_P12ihipStream_tbEUlT_E0_NS1_11comp_targetILNS1_3genE2ELNS1_11target_archE906ELNS1_3gpuE6ELNS1_3repE0EEENS1_30default_config_static_selectorELNS0_4arch9wavefront6targetE0EEEvS10_.has_recursion, 0
	.set _ZN7rocprim17ROCPRIM_400000_NS6detail17trampoline_kernelINS0_14default_configENS1_21merge_config_selectorINS0_5tupleIJffEEENS0_10empty_typeEEEZNS1_10merge_implIS3_NS0_12zip_iteratorINS5_IJN6thrust23THRUST_200600_302600_NS6detail15normal_iteratorINSC_10device_ptrIKfEEEESI_EEEEESK_NSA_INS5_IJNSE_INSF_IfEEEESM_EEEEEPS7_SP_SP_NSC_11hip_rocprim7__merge17predicate_wrapperIffNSC_7greaterIfEEEEEE10hipError_tPvRmT0_T1_T2_T3_T4_T5_mmT6_P12ihipStream_tbEUlT_E0_NS1_11comp_targetILNS1_3genE2ELNS1_11target_archE906ELNS1_3gpuE6ELNS1_3repE0EEENS1_30default_config_static_selectorELNS0_4arch9wavefront6targetE0EEEvS10_.has_indirect_call, 0
	.section	.AMDGPU.csdata,"",@progbits
; Kernel info:
; codeLenInByte = 0
; TotalNumSgprs: 0
; NumVgprs: 0
; ScratchSize: 0
; MemoryBound: 0
; FloatMode: 240
; IeeeMode: 1
; LDSByteSize: 0 bytes/workgroup (compile time only)
; SGPRBlocks: 0
; VGPRBlocks: 0
; NumSGPRsForWavesPerEU: 1
; NumVGPRsForWavesPerEU: 1
; NamedBarCnt: 0
; Occupancy: 16
; WaveLimiterHint : 0
; COMPUTE_PGM_RSRC2:SCRATCH_EN: 0
; COMPUTE_PGM_RSRC2:USER_SGPR: 2
; COMPUTE_PGM_RSRC2:TRAP_HANDLER: 0
; COMPUTE_PGM_RSRC2:TGID_X_EN: 1
; COMPUTE_PGM_RSRC2:TGID_Y_EN: 0
; COMPUTE_PGM_RSRC2:TGID_Z_EN: 0
; COMPUTE_PGM_RSRC2:TIDIG_COMP_CNT: 0
	.section	.text._ZN7rocprim17ROCPRIM_400000_NS6detail17trampoline_kernelINS0_14default_configENS1_21merge_config_selectorINS0_5tupleIJffEEENS0_10empty_typeEEEZNS1_10merge_implIS3_NS0_12zip_iteratorINS5_IJN6thrust23THRUST_200600_302600_NS6detail15normal_iteratorINSC_10device_ptrIKfEEEESI_EEEEESK_NSA_INS5_IJNSE_INSF_IfEEEESM_EEEEEPS7_SP_SP_NSC_11hip_rocprim7__merge17predicate_wrapperIffNSC_7greaterIfEEEEEE10hipError_tPvRmT0_T1_T2_T3_T4_T5_mmT6_P12ihipStream_tbEUlT_E0_NS1_11comp_targetILNS1_3genE10ELNS1_11target_archE1201ELNS1_3gpuE5ELNS1_3repE0EEENS1_30default_config_static_selectorELNS0_4arch9wavefront6targetE0EEEvS10_,"axG",@progbits,_ZN7rocprim17ROCPRIM_400000_NS6detail17trampoline_kernelINS0_14default_configENS1_21merge_config_selectorINS0_5tupleIJffEEENS0_10empty_typeEEEZNS1_10merge_implIS3_NS0_12zip_iteratorINS5_IJN6thrust23THRUST_200600_302600_NS6detail15normal_iteratorINSC_10device_ptrIKfEEEESI_EEEEESK_NSA_INS5_IJNSE_INSF_IfEEEESM_EEEEEPS7_SP_SP_NSC_11hip_rocprim7__merge17predicate_wrapperIffNSC_7greaterIfEEEEEE10hipError_tPvRmT0_T1_T2_T3_T4_T5_mmT6_P12ihipStream_tbEUlT_E0_NS1_11comp_targetILNS1_3genE10ELNS1_11target_archE1201ELNS1_3gpuE5ELNS1_3repE0EEENS1_30default_config_static_selectorELNS0_4arch9wavefront6targetE0EEEvS10_,comdat
	.protected	_ZN7rocprim17ROCPRIM_400000_NS6detail17trampoline_kernelINS0_14default_configENS1_21merge_config_selectorINS0_5tupleIJffEEENS0_10empty_typeEEEZNS1_10merge_implIS3_NS0_12zip_iteratorINS5_IJN6thrust23THRUST_200600_302600_NS6detail15normal_iteratorINSC_10device_ptrIKfEEEESI_EEEEESK_NSA_INS5_IJNSE_INSF_IfEEEESM_EEEEEPS7_SP_SP_NSC_11hip_rocprim7__merge17predicate_wrapperIffNSC_7greaterIfEEEEEE10hipError_tPvRmT0_T1_T2_T3_T4_T5_mmT6_P12ihipStream_tbEUlT_E0_NS1_11comp_targetILNS1_3genE10ELNS1_11target_archE1201ELNS1_3gpuE5ELNS1_3repE0EEENS1_30default_config_static_selectorELNS0_4arch9wavefront6targetE0EEEvS10_ ; -- Begin function _ZN7rocprim17ROCPRIM_400000_NS6detail17trampoline_kernelINS0_14default_configENS1_21merge_config_selectorINS0_5tupleIJffEEENS0_10empty_typeEEEZNS1_10merge_implIS3_NS0_12zip_iteratorINS5_IJN6thrust23THRUST_200600_302600_NS6detail15normal_iteratorINSC_10device_ptrIKfEEEESI_EEEEESK_NSA_INS5_IJNSE_INSF_IfEEEESM_EEEEEPS7_SP_SP_NSC_11hip_rocprim7__merge17predicate_wrapperIffNSC_7greaterIfEEEEEE10hipError_tPvRmT0_T1_T2_T3_T4_T5_mmT6_P12ihipStream_tbEUlT_E0_NS1_11comp_targetILNS1_3genE10ELNS1_11target_archE1201ELNS1_3gpuE5ELNS1_3repE0EEENS1_30default_config_static_selectorELNS0_4arch9wavefront6targetE0EEEvS10_
	.globl	_ZN7rocprim17ROCPRIM_400000_NS6detail17trampoline_kernelINS0_14default_configENS1_21merge_config_selectorINS0_5tupleIJffEEENS0_10empty_typeEEEZNS1_10merge_implIS3_NS0_12zip_iteratorINS5_IJN6thrust23THRUST_200600_302600_NS6detail15normal_iteratorINSC_10device_ptrIKfEEEESI_EEEEESK_NSA_INS5_IJNSE_INSF_IfEEEESM_EEEEEPS7_SP_SP_NSC_11hip_rocprim7__merge17predicate_wrapperIffNSC_7greaterIfEEEEEE10hipError_tPvRmT0_T1_T2_T3_T4_T5_mmT6_P12ihipStream_tbEUlT_E0_NS1_11comp_targetILNS1_3genE10ELNS1_11target_archE1201ELNS1_3gpuE5ELNS1_3repE0EEENS1_30default_config_static_selectorELNS0_4arch9wavefront6targetE0EEEvS10_
	.p2align	8
	.type	_ZN7rocprim17ROCPRIM_400000_NS6detail17trampoline_kernelINS0_14default_configENS1_21merge_config_selectorINS0_5tupleIJffEEENS0_10empty_typeEEEZNS1_10merge_implIS3_NS0_12zip_iteratorINS5_IJN6thrust23THRUST_200600_302600_NS6detail15normal_iteratorINSC_10device_ptrIKfEEEESI_EEEEESK_NSA_INS5_IJNSE_INSF_IfEEEESM_EEEEEPS7_SP_SP_NSC_11hip_rocprim7__merge17predicate_wrapperIffNSC_7greaterIfEEEEEE10hipError_tPvRmT0_T1_T2_T3_T4_T5_mmT6_P12ihipStream_tbEUlT_E0_NS1_11comp_targetILNS1_3genE10ELNS1_11target_archE1201ELNS1_3gpuE5ELNS1_3repE0EEENS1_30default_config_static_selectorELNS0_4arch9wavefront6targetE0EEEvS10_,@function
_ZN7rocprim17ROCPRIM_400000_NS6detail17trampoline_kernelINS0_14default_configENS1_21merge_config_selectorINS0_5tupleIJffEEENS0_10empty_typeEEEZNS1_10merge_implIS3_NS0_12zip_iteratorINS5_IJN6thrust23THRUST_200600_302600_NS6detail15normal_iteratorINSC_10device_ptrIKfEEEESI_EEEEESK_NSA_INS5_IJNSE_INSF_IfEEEESM_EEEEEPS7_SP_SP_NSC_11hip_rocprim7__merge17predicate_wrapperIffNSC_7greaterIfEEEEEE10hipError_tPvRmT0_T1_T2_T3_T4_T5_mmT6_P12ihipStream_tbEUlT_E0_NS1_11comp_targetILNS1_3genE10ELNS1_11target_archE1201ELNS1_3gpuE5ELNS1_3repE0EEENS1_30default_config_static_selectorELNS0_4arch9wavefront6targetE0EEEvS10_: ; @_ZN7rocprim17ROCPRIM_400000_NS6detail17trampoline_kernelINS0_14default_configENS1_21merge_config_selectorINS0_5tupleIJffEEENS0_10empty_typeEEEZNS1_10merge_implIS3_NS0_12zip_iteratorINS5_IJN6thrust23THRUST_200600_302600_NS6detail15normal_iteratorINSC_10device_ptrIKfEEEESI_EEEEESK_NSA_INS5_IJNSE_INSF_IfEEEESM_EEEEEPS7_SP_SP_NSC_11hip_rocprim7__merge17predicate_wrapperIffNSC_7greaterIfEEEEEE10hipError_tPvRmT0_T1_T2_T3_T4_T5_mmT6_P12ihipStream_tbEUlT_E0_NS1_11comp_targetILNS1_3genE10ELNS1_11target_archE1201ELNS1_3gpuE5ELNS1_3repE0EEENS1_30default_config_static_selectorELNS0_4arch9wavefront6targetE0EEEvS10_
; %bb.0:
	.section	.rodata,"a",@progbits
	.p2align	6, 0x0
	.amdhsa_kernel _ZN7rocprim17ROCPRIM_400000_NS6detail17trampoline_kernelINS0_14default_configENS1_21merge_config_selectorINS0_5tupleIJffEEENS0_10empty_typeEEEZNS1_10merge_implIS3_NS0_12zip_iteratorINS5_IJN6thrust23THRUST_200600_302600_NS6detail15normal_iteratorINSC_10device_ptrIKfEEEESI_EEEEESK_NSA_INS5_IJNSE_INSF_IfEEEESM_EEEEEPS7_SP_SP_NSC_11hip_rocprim7__merge17predicate_wrapperIffNSC_7greaterIfEEEEEE10hipError_tPvRmT0_T1_T2_T3_T4_T5_mmT6_P12ihipStream_tbEUlT_E0_NS1_11comp_targetILNS1_3genE10ELNS1_11target_archE1201ELNS1_3gpuE5ELNS1_3repE0EEENS1_30default_config_static_selectorELNS0_4arch9wavefront6targetE0EEEvS10_
		.amdhsa_group_segment_fixed_size 0
		.amdhsa_private_segment_fixed_size 0
		.amdhsa_kernarg_size 112
		.amdhsa_user_sgpr_count 2
		.amdhsa_user_sgpr_dispatch_ptr 0
		.amdhsa_user_sgpr_queue_ptr 0
		.amdhsa_user_sgpr_kernarg_segment_ptr 1
		.amdhsa_user_sgpr_dispatch_id 0
		.amdhsa_user_sgpr_kernarg_preload_length 0
		.amdhsa_user_sgpr_kernarg_preload_offset 0
		.amdhsa_user_sgpr_private_segment_size 0
		.amdhsa_wavefront_size32 1
		.amdhsa_uses_dynamic_stack 0
		.amdhsa_enable_private_segment 0
		.amdhsa_system_sgpr_workgroup_id_x 1
		.amdhsa_system_sgpr_workgroup_id_y 0
		.amdhsa_system_sgpr_workgroup_id_z 0
		.amdhsa_system_sgpr_workgroup_info 0
		.amdhsa_system_vgpr_workitem_id 0
		.amdhsa_next_free_vgpr 1
		.amdhsa_next_free_sgpr 1
		.amdhsa_named_barrier_count 0
		.amdhsa_reserve_vcc 0
		.amdhsa_float_round_mode_32 0
		.amdhsa_float_round_mode_16_64 0
		.amdhsa_float_denorm_mode_32 3
		.amdhsa_float_denorm_mode_16_64 3
		.amdhsa_fp16_overflow 0
		.amdhsa_memory_ordered 1
		.amdhsa_forward_progress 1
		.amdhsa_inst_pref_size 0
		.amdhsa_round_robin_scheduling 0
		.amdhsa_exception_fp_ieee_invalid_op 0
		.amdhsa_exception_fp_denorm_src 0
		.amdhsa_exception_fp_ieee_div_zero 0
		.amdhsa_exception_fp_ieee_overflow 0
		.amdhsa_exception_fp_ieee_underflow 0
		.amdhsa_exception_fp_ieee_inexact 0
		.amdhsa_exception_int_div_zero 0
	.end_amdhsa_kernel
	.section	.text._ZN7rocprim17ROCPRIM_400000_NS6detail17trampoline_kernelINS0_14default_configENS1_21merge_config_selectorINS0_5tupleIJffEEENS0_10empty_typeEEEZNS1_10merge_implIS3_NS0_12zip_iteratorINS5_IJN6thrust23THRUST_200600_302600_NS6detail15normal_iteratorINSC_10device_ptrIKfEEEESI_EEEEESK_NSA_INS5_IJNSE_INSF_IfEEEESM_EEEEEPS7_SP_SP_NSC_11hip_rocprim7__merge17predicate_wrapperIffNSC_7greaterIfEEEEEE10hipError_tPvRmT0_T1_T2_T3_T4_T5_mmT6_P12ihipStream_tbEUlT_E0_NS1_11comp_targetILNS1_3genE10ELNS1_11target_archE1201ELNS1_3gpuE5ELNS1_3repE0EEENS1_30default_config_static_selectorELNS0_4arch9wavefront6targetE0EEEvS10_,"axG",@progbits,_ZN7rocprim17ROCPRIM_400000_NS6detail17trampoline_kernelINS0_14default_configENS1_21merge_config_selectorINS0_5tupleIJffEEENS0_10empty_typeEEEZNS1_10merge_implIS3_NS0_12zip_iteratorINS5_IJN6thrust23THRUST_200600_302600_NS6detail15normal_iteratorINSC_10device_ptrIKfEEEESI_EEEEESK_NSA_INS5_IJNSE_INSF_IfEEEESM_EEEEEPS7_SP_SP_NSC_11hip_rocprim7__merge17predicate_wrapperIffNSC_7greaterIfEEEEEE10hipError_tPvRmT0_T1_T2_T3_T4_T5_mmT6_P12ihipStream_tbEUlT_E0_NS1_11comp_targetILNS1_3genE10ELNS1_11target_archE1201ELNS1_3gpuE5ELNS1_3repE0EEENS1_30default_config_static_selectorELNS0_4arch9wavefront6targetE0EEEvS10_,comdat
.Lfunc_end349:
	.size	_ZN7rocprim17ROCPRIM_400000_NS6detail17trampoline_kernelINS0_14default_configENS1_21merge_config_selectorINS0_5tupleIJffEEENS0_10empty_typeEEEZNS1_10merge_implIS3_NS0_12zip_iteratorINS5_IJN6thrust23THRUST_200600_302600_NS6detail15normal_iteratorINSC_10device_ptrIKfEEEESI_EEEEESK_NSA_INS5_IJNSE_INSF_IfEEEESM_EEEEEPS7_SP_SP_NSC_11hip_rocprim7__merge17predicate_wrapperIffNSC_7greaterIfEEEEEE10hipError_tPvRmT0_T1_T2_T3_T4_T5_mmT6_P12ihipStream_tbEUlT_E0_NS1_11comp_targetILNS1_3genE10ELNS1_11target_archE1201ELNS1_3gpuE5ELNS1_3repE0EEENS1_30default_config_static_selectorELNS0_4arch9wavefront6targetE0EEEvS10_, .Lfunc_end349-_ZN7rocprim17ROCPRIM_400000_NS6detail17trampoline_kernelINS0_14default_configENS1_21merge_config_selectorINS0_5tupleIJffEEENS0_10empty_typeEEEZNS1_10merge_implIS3_NS0_12zip_iteratorINS5_IJN6thrust23THRUST_200600_302600_NS6detail15normal_iteratorINSC_10device_ptrIKfEEEESI_EEEEESK_NSA_INS5_IJNSE_INSF_IfEEEESM_EEEEEPS7_SP_SP_NSC_11hip_rocprim7__merge17predicate_wrapperIffNSC_7greaterIfEEEEEE10hipError_tPvRmT0_T1_T2_T3_T4_T5_mmT6_P12ihipStream_tbEUlT_E0_NS1_11comp_targetILNS1_3genE10ELNS1_11target_archE1201ELNS1_3gpuE5ELNS1_3repE0EEENS1_30default_config_static_selectorELNS0_4arch9wavefront6targetE0EEEvS10_
                                        ; -- End function
	.set _ZN7rocprim17ROCPRIM_400000_NS6detail17trampoline_kernelINS0_14default_configENS1_21merge_config_selectorINS0_5tupleIJffEEENS0_10empty_typeEEEZNS1_10merge_implIS3_NS0_12zip_iteratorINS5_IJN6thrust23THRUST_200600_302600_NS6detail15normal_iteratorINSC_10device_ptrIKfEEEESI_EEEEESK_NSA_INS5_IJNSE_INSF_IfEEEESM_EEEEEPS7_SP_SP_NSC_11hip_rocprim7__merge17predicate_wrapperIffNSC_7greaterIfEEEEEE10hipError_tPvRmT0_T1_T2_T3_T4_T5_mmT6_P12ihipStream_tbEUlT_E0_NS1_11comp_targetILNS1_3genE10ELNS1_11target_archE1201ELNS1_3gpuE5ELNS1_3repE0EEENS1_30default_config_static_selectorELNS0_4arch9wavefront6targetE0EEEvS10_.num_vgpr, 0
	.set _ZN7rocprim17ROCPRIM_400000_NS6detail17trampoline_kernelINS0_14default_configENS1_21merge_config_selectorINS0_5tupleIJffEEENS0_10empty_typeEEEZNS1_10merge_implIS3_NS0_12zip_iteratorINS5_IJN6thrust23THRUST_200600_302600_NS6detail15normal_iteratorINSC_10device_ptrIKfEEEESI_EEEEESK_NSA_INS5_IJNSE_INSF_IfEEEESM_EEEEEPS7_SP_SP_NSC_11hip_rocprim7__merge17predicate_wrapperIffNSC_7greaterIfEEEEEE10hipError_tPvRmT0_T1_T2_T3_T4_T5_mmT6_P12ihipStream_tbEUlT_E0_NS1_11comp_targetILNS1_3genE10ELNS1_11target_archE1201ELNS1_3gpuE5ELNS1_3repE0EEENS1_30default_config_static_selectorELNS0_4arch9wavefront6targetE0EEEvS10_.num_agpr, 0
	.set _ZN7rocprim17ROCPRIM_400000_NS6detail17trampoline_kernelINS0_14default_configENS1_21merge_config_selectorINS0_5tupleIJffEEENS0_10empty_typeEEEZNS1_10merge_implIS3_NS0_12zip_iteratorINS5_IJN6thrust23THRUST_200600_302600_NS6detail15normal_iteratorINSC_10device_ptrIKfEEEESI_EEEEESK_NSA_INS5_IJNSE_INSF_IfEEEESM_EEEEEPS7_SP_SP_NSC_11hip_rocprim7__merge17predicate_wrapperIffNSC_7greaterIfEEEEEE10hipError_tPvRmT0_T1_T2_T3_T4_T5_mmT6_P12ihipStream_tbEUlT_E0_NS1_11comp_targetILNS1_3genE10ELNS1_11target_archE1201ELNS1_3gpuE5ELNS1_3repE0EEENS1_30default_config_static_selectorELNS0_4arch9wavefront6targetE0EEEvS10_.numbered_sgpr, 0
	.set _ZN7rocprim17ROCPRIM_400000_NS6detail17trampoline_kernelINS0_14default_configENS1_21merge_config_selectorINS0_5tupleIJffEEENS0_10empty_typeEEEZNS1_10merge_implIS3_NS0_12zip_iteratorINS5_IJN6thrust23THRUST_200600_302600_NS6detail15normal_iteratorINSC_10device_ptrIKfEEEESI_EEEEESK_NSA_INS5_IJNSE_INSF_IfEEEESM_EEEEEPS7_SP_SP_NSC_11hip_rocprim7__merge17predicate_wrapperIffNSC_7greaterIfEEEEEE10hipError_tPvRmT0_T1_T2_T3_T4_T5_mmT6_P12ihipStream_tbEUlT_E0_NS1_11comp_targetILNS1_3genE10ELNS1_11target_archE1201ELNS1_3gpuE5ELNS1_3repE0EEENS1_30default_config_static_selectorELNS0_4arch9wavefront6targetE0EEEvS10_.num_named_barrier, 0
	.set _ZN7rocprim17ROCPRIM_400000_NS6detail17trampoline_kernelINS0_14default_configENS1_21merge_config_selectorINS0_5tupleIJffEEENS0_10empty_typeEEEZNS1_10merge_implIS3_NS0_12zip_iteratorINS5_IJN6thrust23THRUST_200600_302600_NS6detail15normal_iteratorINSC_10device_ptrIKfEEEESI_EEEEESK_NSA_INS5_IJNSE_INSF_IfEEEESM_EEEEEPS7_SP_SP_NSC_11hip_rocprim7__merge17predicate_wrapperIffNSC_7greaterIfEEEEEE10hipError_tPvRmT0_T1_T2_T3_T4_T5_mmT6_P12ihipStream_tbEUlT_E0_NS1_11comp_targetILNS1_3genE10ELNS1_11target_archE1201ELNS1_3gpuE5ELNS1_3repE0EEENS1_30default_config_static_selectorELNS0_4arch9wavefront6targetE0EEEvS10_.private_seg_size, 0
	.set _ZN7rocprim17ROCPRIM_400000_NS6detail17trampoline_kernelINS0_14default_configENS1_21merge_config_selectorINS0_5tupleIJffEEENS0_10empty_typeEEEZNS1_10merge_implIS3_NS0_12zip_iteratorINS5_IJN6thrust23THRUST_200600_302600_NS6detail15normal_iteratorINSC_10device_ptrIKfEEEESI_EEEEESK_NSA_INS5_IJNSE_INSF_IfEEEESM_EEEEEPS7_SP_SP_NSC_11hip_rocprim7__merge17predicate_wrapperIffNSC_7greaterIfEEEEEE10hipError_tPvRmT0_T1_T2_T3_T4_T5_mmT6_P12ihipStream_tbEUlT_E0_NS1_11comp_targetILNS1_3genE10ELNS1_11target_archE1201ELNS1_3gpuE5ELNS1_3repE0EEENS1_30default_config_static_selectorELNS0_4arch9wavefront6targetE0EEEvS10_.uses_vcc, 0
	.set _ZN7rocprim17ROCPRIM_400000_NS6detail17trampoline_kernelINS0_14default_configENS1_21merge_config_selectorINS0_5tupleIJffEEENS0_10empty_typeEEEZNS1_10merge_implIS3_NS0_12zip_iteratorINS5_IJN6thrust23THRUST_200600_302600_NS6detail15normal_iteratorINSC_10device_ptrIKfEEEESI_EEEEESK_NSA_INS5_IJNSE_INSF_IfEEEESM_EEEEEPS7_SP_SP_NSC_11hip_rocprim7__merge17predicate_wrapperIffNSC_7greaterIfEEEEEE10hipError_tPvRmT0_T1_T2_T3_T4_T5_mmT6_P12ihipStream_tbEUlT_E0_NS1_11comp_targetILNS1_3genE10ELNS1_11target_archE1201ELNS1_3gpuE5ELNS1_3repE0EEENS1_30default_config_static_selectorELNS0_4arch9wavefront6targetE0EEEvS10_.uses_flat_scratch, 0
	.set _ZN7rocprim17ROCPRIM_400000_NS6detail17trampoline_kernelINS0_14default_configENS1_21merge_config_selectorINS0_5tupleIJffEEENS0_10empty_typeEEEZNS1_10merge_implIS3_NS0_12zip_iteratorINS5_IJN6thrust23THRUST_200600_302600_NS6detail15normal_iteratorINSC_10device_ptrIKfEEEESI_EEEEESK_NSA_INS5_IJNSE_INSF_IfEEEESM_EEEEEPS7_SP_SP_NSC_11hip_rocprim7__merge17predicate_wrapperIffNSC_7greaterIfEEEEEE10hipError_tPvRmT0_T1_T2_T3_T4_T5_mmT6_P12ihipStream_tbEUlT_E0_NS1_11comp_targetILNS1_3genE10ELNS1_11target_archE1201ELNS1_3gpuE5ELNS1_3repE0EEENS1_30default_config_static_selectorELNS0_4arch9wavefront6targetE0EEEvS10_.has_dyn_sized_stack, 0
	.set _ZN7rocprim17ROCPRIM_400000_NS6detail17trampoline_kernelINS0_14default_configENS1_21merge_config_selectorINS0_5tupleIJffEEENS0_10empty_typeEEEZNS1_10merge_implIS3_NS0_12zip_iteratorINS5_IJN6thrust23THRUST_200600_302600_NS6detail15normal_iteratorINSC_10device_ptrIKfEEEESI_EEEEESK_NSA_INS5_IJNSE_INSF_IfEEEESM_EEEEEPS7_SP_SP_NSC_11hip_rocprim7__merge17predicate_wrapperIffNSC_7greaterIfEEEEEE10hipError_tPvRmT0_T1_T2_T3_T4_T5_mmT6_P12ihipStream_tbEUlT_E0_NS1_11comp_targetILNS1_3genE10ELNS1_11target_archE1201ELNS1_3gpuE5ELNS1_3repE0EEENS1_30default_config_static_selectorELNS0_4arch9wavefront6targetE0EEEvS10_.has_recursion, 0
	.set _ZN7rocprim17ROCPRIM_400000_NS6detail17trampoline_kernelINS0_14default_configENS1_21merge_config_selectorINS0_5tupleIJffEEENS0_10empty_typeEEEZNS1_10merge_implIS3_NS0_12zip_iteratorINS5_IJN6thrust23THRUST_200600_302600_NS6detail15normal_iteratorINSC_10device_ptrIKfEEEESI_EEEEESK_NSA_INS5_IJNSE_INSF_IfEEEESM_EEEEEPS7_SP_SP_NSC_11hip_rocprim7__merge17predicate_wrapperIffNSC_7greaterIfEEEEEE10hipError_tPvRmT0_T1_T2_T3_T4_T5_mmT6_P12ihipStream_tbEUlT_E0_NS1_11comp_targetILNS1_3genE10ELNS1_11target_archE1201ELNS1_3gpuE5ELNS1_3repE0EEENS1_30default_config_static_selectorELNS0_4arch9wavefront6targetE0EEEvS10_.has_indirect_call, 0
	.section	.AMDGPU.csdata,"",@progbits
; Kernel info:
; codeLenInByte = 0
; TotalNumSgprs: 0
; NumVgprs: 0
; ScratchSize: 0
; MemoryBound: 0
; FloatMode: 240
; IeeeMode: 1
; LDSByteSize: 0 bytes/workgroup (compile time only)
; SGPRBlocks: 0
; VGPRBlocks: 0
; NumSGPRsForWavesPerEU: 1
; NumVGPRsForWavesPerEU: 1
; NamedBarCnt: 0
; Occupancy: 16
; WaveLimiterHint : 0
; COMPUTE_PGM_RSRC2:SCRATCH_EN: 0
; COMPUTE_PGM_RSRC2:USER_SGPR: 2
; COMPUTE_PGM_RSRC2:TRAP_HANDLER: 0
; COMPUTE_PGM_RSRC2:TGID_X_EN: 1
; COMPUTE_PGM_RSRC2:TGID_Y_EN: 0
; COMPUTE_PGM_RSRC2:TGID_Z_EN: 0
; COMPUTE_PGM_RSRC2:TIDIG_COMP_CNT: 0
	.section	.text._ZN7rocprim17ROCPRIM_400000_NS6detail17trampoline_kernelINS0_14default_configENS1_21merge_config_selectorINS0_5tupleIJffEEENS0_10empty_typeEEEZNS1_10merge_implIS3_NS0_12zip_iteratorINS5_IJN6thrust23THRUST_200600_302600_NS6detail15normal_iteratorINSC_10device_ptrIKfEEEESI_EEEEESK_NSA_INS5_IJNSE_INSF_IfEEEESM_EEEEEPS7_SP_SP_NSC_11hip_rocprim7__merge17predicate_wrapperIffNSC_7greaterIfEEEEEE10hipError_tPvRmT0_T1_T2_T3_T4_T5_mmT6_P12ihipStream_tbEUlT_E0_NS1_11comp_targetILNS1_3genE10ELNS1_11target_archE1200ELNS1_3gpuE4ELNS1_3repE0EEENS1_30default_config_static_selectorELNS0_4arch9wavefront6targetE0EEEvS10_,"axG",@progbits,_ZN7rocprim17ROCPRIM_400000_NS6detail17trampoline_kernelINS0_14default_configENS1_21merge_config_selectorINS0_5tupleIJffEEENS0_10empty_typeEEEZNS1_10merge_implIS3_NS0_12zip_iteratorINS5_IJN6thrust23THRUST_200600_302600_NS6detail15normal_iteratorINSC_10device_ptrIKfEEEESI_EEEEESK_NSA_INS5_IJNSE_INSF_IfEEEESM_EEEEEPS7_SP_SP_NSC_11hip_rocprim7__merge17predicate_wrapperIffNSC_7greaterIfEEEEEE10hipError_tPvRmT0_T1_T2_T3_T4_T5_mmT6_P12ihipStream_tbEUlT_E0_NS1_11comp_targetILNS1_3genE10ELNS1_11target_archE1200ELNS1_3gpuE4ELNS1_3repE0EEENS1_30default_config_static_selectorELNS0_4arch9wavefront6targetE0EEEvS10_,comdat
	.protected	_ZN7rocprim17ROCPRIM_400000_NS6detail17trampoline_kernelINS0_14default_configENS1_21merge_config_selectorINS0_5tupleIJffEEENS0_10empty_typeEEEZNS1_10merge_implIS3_NS0_12zip_iteratorINS5_IJN6thrust23THRUST_200600_302600_NS6detail15normal_iteratorINSC_10device_ptrIKfEEEESI_EEEEESK_NSA_INS5_IJNSE_INSF_IfEEEESM_EEEEEPS7_SP_SP_NSC_11hip_rocprim7__merge17predicate_wrapperIffNSC_7greaterIfEEEEEE10hipError_tPvRmT0_T1_T2_T3_T4_T5_mmT6_P12ihipStream_tbEUlT_E0_NS1_11comp_targetILNS1_3genE10ELNS1_11target_archE1200ELNS1_3gpuE4ELNS1_3repE0EEENS1_30default_config_static_selectorELNS0_4arch9wavefront6targetE0EEEvS10_ ; -- Begin function _ZN7rocprim17ROCPRIM_400000_NS6detail17trampoline_kernelINS0_14default_configENS1_21merge_config_selectorINS0_5tupleIJffEEENS0_10empty_typeEEEZNS1_10merge_implIS3_NS0_12zip_iteratorINS5_IJN6thrust23THRUST_200600_302600_NS6detail15normal_iteratorINSC_10device_ptrIKfEEEESI_EEEEESK_NSA_INS5_IJNSE_INSF_IfEEEESM_EEEEEPS7_SP_SP_NSC_11hip_rocprim7__merge17predicate_wrapperIffNSC_7greaterIfEEEEEE10hipError_tPvRmT0_T1_T2_T3_T4_T5_mmT6_P12ihipStream_tbEUlT_E0_NS1_11comp_targetILNS1_3genE10ELNS1_11target_archE1200ELNS1_3gpuE4ELNS1_3repE0EEENS1_30default_config_static_selectorELNS0_4arch9wavefront6targetE0EEEvS10_
	.globl	_ZN7rocprim17ROCPRIM_400000_NS6detail17trampoline_kernelINS0_14default_configENS1_21merge_config_selectorINS0_5tupleIJffEEENS0_10empty_typeEEEZNS1_10merge_implIS3_NS0_12zip_iteratorINS5_IJN6thrust23THRUST_200600_302600_NS6detail15normal_iteratorINSC_10device_ptrIKfEEEESI_EEEEESK_NSA_INS5_IJNSE_INSF_IfEEEESM_EEEEEPS7_SP_SP_NSC_11hip_rocprim7__merge17predicate_wrapperIffNSC_7greaterIfEEEEEE10hipError_tPvRmT0_T1_T2_T3_T4_T5_mmT6_P12ihipStream_tbEUlT_E0_NS1_11comp_targetILNS1_3genE10ELNS1_11target_archE1200ELNS1_3gpuE4ELNS1_3repE0EEENS1_30default_config_static_selectorELNS0_4arch9wavefront6targetE0EEEvS10_
	.p2align	8
	.type	_ZN7rocprim17ROCPRIM_400000_NS6detail17trampoline_kernelINS0_14default_configENS1_21merge_config_selectorINS0_5tupleIJffEEENS0_10empty_typeEEEZNS1_10merge_implIS3_NS0_12zip_iteratorINS5_IJN6thrust23THRUST_200600_302600_NS6detail15normal_iteratorINSC_10device_ptrIKfEEEESI_EEEEESK_NSA_INS5_IJNSE_INSF_IfEEEESM_EEEEEPS7_SP_SP_NSC_11hip_rocprim7__merge17predicate_wrapperIffNSC_7greaterIfEEEEEE10hipError_tPvRmT0_T1_T2_T3_T4_T5_mmT6_P12ihipStream_tbEUlT_E0_NS1_11comp_targetILNS1_3genE10ELNS1_11target_archE1200ELNS1_3gpuE4ELNS1_3repE0EEENS1_30default_config_static_selectorELNS0_4arch9wavefront6targetE0EEEvS10_,@function
_ZN7rocprim17ROCPRIM_400000_NS6detail17trampoline_kernelINS0_14default_configENS1_21merge_config_selectorINS0_5tupleIJffEEENS0_10empty_typeEEEZNS1_10merge_implIS3_NS0_12zip_iteratorINS5_IJN6thrust23THRUST_200600_302600_NS6detail15normal_iteratorINSC_10device_ptrIKfEEEESI_EEEEESK_NSA_INS5_IJNSE_INSF_IfEEEESM_EEEEEPS7_SP_SP_NSC_11hip_rocprim7__merge17predicate_wrapperIffNSC_7greaterIfEEEEEE10hipError_tPvRmT0_T1_T2_T3_T4_T5_mmT6_P12ihipStream_tbEUlT_E0_NS1_11comp_targetILNS1_3genE10ELNS1_11target_archE1200ELNS1_3gpuE4ELNS1_3repE0EEENS1_30default_config_static_selectorELNS0_4arch9wavefront6targetE0EEEvS10_: ; @_ZN7rocprim17ROCPRIM_400000_NS6detail17trampoline_kernelINS0_14default_configENS1_21merge_config_selectorINS0_5tupleIJffEEENS0_10empty_typeEEEZNS1_10merge_implIS3_NS0_12zip_iteratorINS5_IJN6thrust23THRUST_200600_302600_NS6detail15normal_iteratorINSC_10device_ptrIKfEEEESI_EEEEESK_NSA_INS5_IJNSE_INSF_IfEEEESM_EEEEEPS7_SP_SP_NSC_11hip_rocprim7__merge17predicate_wrapperIffNSC_7greaterIfEEEEEE10hipError_tPvRmT0_T1_T2_T3_T4_T5_mmT6_P12ihipStream_tbEUlT_E0_NS1_11comp_targetILNS1_3genE10ELNS1_11target_archE1200ELNS1_3gpuE4ELNS1_3repE0EEENS1_30default_config_static_selectorELNS0_4arch9wavefront6targetE0EEEvS10_
; %bb.0:
	.section	.rodata,"a",@progbits
	.p2align	6, 0x0
	.amdhsa_kernel _ZN7rocprim17ROCPRIM_400000_NS6detail17trampoline_kernelINS0_14default_configENS1_21merge_config_selectorINS0_5tupleIJffEEENS0_10empty_typeEEEZNS1_10merge_implIS3_NS0_12zip_iteratorINS5_IJN6thrust23THRUST_200600_302600_NS6detail15normal_iteratorINSC_10device_ptrIKfEEEESI_EEEEESK_NSA_INS5_IJNSE_INSF_IfEEEESM_EEEEEPS7_SP_SP_NSC_11hip_rocprim7__merge17predicate_wrapperIffNSC_7greaterIfEEEEEE10hipError_tPvRmT0_T1_T2_T3_T4_T5_mmT6_P12ihipStream_tbEUlT_E0_NS1_11comp_targetILNS1_3genE10ELNS1_11target_archE1200ELNS1_3gpuE4ELNS1_3repE0EEENS1_30default_config_static_selectorELNS0_4arch9wavefront6targetE0EEEvS10_
		.amdhsa_group_segment_fixed_size 0
		.amdhsa_private_segment_fixed_size 0
		.amdhsa_kernarg_size 112
		.amdhsa_user_sgpr_count 2
		.amdhsa_user_sgpr_dispatch_ptr 0
		.amdhsa_user_sgpr_queue_ptr 0
		.amdhsa_user_sgpr_kernarg_segment_ptr 1
		.amdhsa_user_sgpr_dispatch_id 0
		.amdhsa_user_sgpr_kernarg_preload_length 0
		.amdhsa_user_sgpr_kernarg_preload_offset 0
		.amdhsa_user_sgpr_private_segment_size 0
		.amdhsa_wavefront_size32 1
		.amdhsa_uses_dynamic_stack 0
		.amdhsa_enable_private_segment 0
		.amdhsa_system_sgpr_workgroup_id_x 1
		.amdhsa_system_sgpr_workgroup_id_y 0
		.amdhsa_system_sgpr_workgroup_id_z 0
		.amdhsa_system_sgpr_workgroup_info 0
		.amdhsa_system_vgpr_workitem_id 0
		.amdhsa_next_free_vgpr 1
		.amdhsa_next_free_sgpr 1
		.amdhsa_named_barrier_count 0
		.amdhsa_reserve_vcc 0
		.amdhsa_float_round_mode_32 0
		.amdhsa_float_round_mode_16_64 0
		.amdhsa_float_denorm_mode_32 3
		.amdhsa_float_denorm_mode_16_64 3
		.amdhsa_fp16_overflow 0
		.amdhsa_memory_ordered 1
		.amdhsa_forward_progress 1
		.amdhsa_inst_pref_size 0
		.amdhsa_round_robin_scheduling 0
		.amdhsa_exception_fp_ieee_invalid_op 0
		.amdhsa_exception_fp_denorm_src 0
		.amdhsa_exception_fp_ieee_div_zero 0
		.amdhsa_exception_fp_ieee_overflow 0
		.amdhsa_exception_fp_ieee_underflow 0
		.amdhsa_exception_fp_ieee_inexact 0
		.amdhsa_exception_int_div_zero 0
	.end_amdhsa_kernel
	.section	.text._ZN7rocprim17ROCPRIM_400000_NS6detail17trampoline_kernelINS0_14default_configENS1_21merge_config_selectorINS0_5tupleIJffEEENS0_10empty_typeEEEZNS1_10merge_implIS3_NS0_12zip_iteratorINS5_IJN6thrust23THRUST_200600_302600_NS6detail15normal_iteratorINSC_10device_ptrIKfEEEESI_EEEEESK_NSA_INS5_IJNSE_INSF_IfEEEESM_EEEEEPS7_SP_SP_NSC_11hip_rocprim7__merge17predicate_wrapperIffNSC_7greaterIfEEEEEE10hipError_tPvRmT0_T1_T2_T3_T4_T5_mmT6_P12ihipStream_tbEUlT_E0_NS1_11comp_targetILNS1_3genE10ELNS1_11target_archE1200ELNS1_3gpuE4ELNS1_3repE0EEENS1_30default_config_static_selectorELNS0_4arch9wavefront6targetE0EEEvS10_,"axG",@progbits,_ZN7rocprim17ROCPRIM_400000_NS6detail17trampoline_kernelINS0_14default_configENS1_21merge_config_selectorINS0_5tupleIJffEEENS0_10empty_typeEEEZNS1_10merge_implIS3_NS0_12zip_iteratorINS5_IJN6thrust23THRUST_200600_302600_NS6detail15normal_iteratorINSC_10device_ptrIKfEEEESI_EEEEESK_NSA_INS5_IJNSE_INSF_IfEEEESM_EEEEEPS7_SP_SP_NSC_11hip_rocprim7__merge17predicate_wrapperIffNSC_7greaterIfEEEEEE10hipError_tPvRmT0_T1_T2_T3_T4_T5_mmT6_P12ihipStream_tbEUlT_E0_NS1_11comp_targetILNS1_3genE10ELNS1_11target_archE1200ELNS1_3gpuE4ELNS1_3repE0EEENS1_30default_config_static_selectorELNS0_4arch9wavefront6targetE0EEEvS10_,comdat
.Lfunc_end350:
	.size	_ZN7rocprim17ROCPRIM_400000_NS6detail17trampoline_kernelINS0_14default_configENS1_21merge_config_selectorINS0_5tupleIJffEEENS0_10empty_typeEEEZNS1_10merge_implIS3_NS0_12zip_iteratorINS5_IJN6thrust23THRUST_200600_302600_NS6detail15normal_iteratorINSC_10device_ptrIKfEEEESI_EEEEESK_NSA_INS5_IJNSE_INSF_IfEEEESM_EEEEEPS7_SP_SP_NSC_11hip_rocprim7__merge17predicate_wrapperIffNSC_7greaterIfEEEEEE10hipError_tPvRmT0_T1_T2_T3_T4_T5_mmT6_P12ihipStream_tbEUlT_E0_NS1_11comp_targetILNS1_3genE10ELNS1_11target_archE1200ELNS1_3gpuE4ELNS1_3repE0EEENS1_30default_config_static_selectorELNS0_4arch9wavefront6targetE0EEEvS10_, .Lfunc_end350-_ZN7rocprim17ROCPRIM_400000_NS6detail17trampoline_kernelINS0_14default_configENS1_21merge_config_selectorINS0_5tupleIJffEEENS0_10empty_typeEEEZNS1_10merge_implIS3_NS0_12zip_iteratorINS5_IJN6thrust23THRUST_200600_302600_NS6detail15normal_iteratorINSC_10device_ptrIKfEEEESI_EEEEESK_NSA_INS5_IJNSE_INSF_IfEEEESM_EEEEEPS7_SP_SP_NSC_11hip_rocprim7__merge17predicate_wrapperIffNSC_7greaterIfEEEEEE10hipError_tPvRmT0_T1_T2_T3_T4_T5_mmT6_P12ihipStream_tbEUlT_E0_NS1_11comp_targetILNS1_3genE10ELNS1_11target_archE1200ELNS1_3gpuE4ELNS1_3repE0EEENS1_30default_config_static_selectorELNS0_4arch9wavefront6targetE0EEEvS10_
                                        ; -- End function
	.set _ZN7rocprim17ROCPRIM_400000_NS6detail17trampoline_kernelINS0_14default_configENS1_21merge_config_selectorINS0_5tupleIJffEEENS0_10empty_typeEEEZNS1_10merge_implIS3_NS0_12zip_iteratorINS5_IJN6thrust23THRUST_200600_302600_NS6detail15normal_iteratorINSC_10device_ptrIKfEEEESI_EEEEESK_NSA_INS5_IJNSE_INSF_IfEEEESM_EEEEEPS7_SP_SP_NSC_11hip_rocprim7__merge17predicate_wrapperIffNSC_7greaterIfEEEEEE10hipError_tPvRmT0_T1_T2_T3_T4_T5_mmT6_P12ihipStream_tbEUlT_E0_NS1_11comp_targetILNS1_3genE10ELNS1_11target_archE1200ELNS1_3gpuE4ELNS1_3repE0EEENS1_30default_config_static_selectorELNS0_4arch9wavefront6targetE0EEEvS10_.num_vgpr, 0
	.set _ZN7rocprim17ROCPRIM_400000_NS6detail17trampoline_kernelINS0_14default_configENS1_21merge_config_selectorINS0_5tupleIJffEEENS0_10empty_typeEEEZNS1_10merge_implIS3_NS0_12zip_iteratorINS5_IJN6thrust23THRUST_200600_302600_NS6detail15normal_iteratorINSC_10device_ptrIKfEEEESI_EEEEESK_NSA_INS5_IJNSE_INSF_IfEEEESM_EEEEEPS7_SP_SP_NSC_11hip_rocprim7__merge17predicate_wrapperIffNSC_7greaterIfEEEEEE10hipError_tPvRmT0_T1_T2_T3_T4_T5_mmT6_P12ihipStream_tbEUlT_E0_NS1_11comp_targetILNS1_3genE10ELNS1_11target_archE1200ELNS1_3gpuE4ELNS1_3repE0EEENS1_30default_config_static_selectorELNS0_4arch9wavefront6targetE0EEEvS10_.num_agpr, 0
	.set _ZN7rocprim17ROCPRIM_400000_NS6detail17trampoline_kernelINS0_14default_configENS1_21merge_config_selectorINS0_5tupleIJffEEENS0_10empty_typeEEEZNS1_10merge_implIS3_NS0_12zip_iteratorINS5_IJN6thrust23THRUST_200600_302600_NS6detail15normal_iteratorINSC_10device_ptrIKfEEEESI_EEEEESK_NSA_INS5_IJNSE_INSF_IfEEEESM_EEEEEPS7_SP_SP_NSC_11hip_rocprim7__merge17predicate_wrapperIffNSC_7greaterIfEEEEEE10hipError_tPvRmT0_T1_T2_T3_T4_T5_mmT6_P12ihipStream_tbEUlT_E0_NS1_11comp_targetILNS1_3genE10ELNS1_11target_archE1200ELNS1_3gpuE4ELNS1_3repE0EEENS1_30default_config_static_selectorELNS0_4arch9wavefront6targetE0EEEvS10_.numbered_sgpr, 0
	.set _ZN7rocprim17ROCPRIM_400000_NS6detail17trampoline_kernelINS0_14default_configENS1_21merge_config_selectorINS0_5tupleIJffEEENS0_10empty_typeEEEZNS1_10merge_implIS3_NS0_12zip_iteratorINS5_IJN6thrust23THRUST_200600_302600_NS6detail15normal_iteratorINSC_10device_ptrIKfEEEESI_EEEEESK_NSA_INS5_IJNSE_INSF_IfEEEESM_EEEEEPS7_SP_SP_NSC_11hip_rocprim7__merge17predicate_wrapperIffNSC_7greaterIfEEEEEE10hipError_tPvRmT0_T1_T2_T3_T4_T5_mmT6_P12ihipStream_tbEUlT_E0_NS1_11comp_targetILNS1_3genE10ELNS1_11target_archE1200ELNS1_3gpuE4ELNS1_3repE0EEENS1_30default_config_static_selectorELNS0_4arch9wavefront6targetE0EEEvS10_.num_named_barrier, 0
	.set _ZN7rocprim17ROCPRIM_400000_NS6detail17trampoline_kernelINS0_14default_configENS1_21merge_config_selectorINS0_5tupleIJffEEENS0_10empty_typeEEEZNS1_10merge_implIS3_NS0_12zip_iteratorINS5_IJN6thrust23THRUST_200600_302600_NS6detail15normal_iteratorINSC_10device_ptrIKfEEEESI_EEEEESK_NSA_INS5_IJNSE_INSF_IfEEEESM_EEEEEPS7_SP_SP_NSC_11hip_rocprim7__merge17predicate_wrapperIffNSC_7greaterIfEEEEEE10hipError_tPvRmT0_T1_T2_T3_T4_T5_mmT6_P12ihipStream_tbEUlT_E0_NS1_11comp_targetILNS1_3genE10ELNS1_11target_archE1200ELNS1_3gpuE4ELNS1_3repE0EEENS1_30default_config_static_selectorELNS0_4arch9wavefront6targetE0EEEvS10_.private_seg_size, 0
	.set _ZN7rocprim17ROCPRIM_400000_NS6detail17trampoline_kernelINS0_14default_configENS1_21merge_config_selectorINS0_5tupleIJffEEENS0_10empty_typeEEEZNS1_10merge_implIS3_NS0_12zip_iteratorINS5_IJN6thrust23THRUST_200600_302600_NS6detail15normal_iteratorINSC_10device_ptrIKfEEEESI_EEEEESK_NSA_INS5_IJNSE_INSF_IfEEEESM_EEEEEPS7_SP_SP_NSC_11hip_rocprim7__merge17predicate_wrapperIffNSC_7greaterIfEEEEEE10hipError_tPvRmT0_T1_T2_T3_T4_T5_mmT6_P12ihipStream_tbEUlT_E0_NS1_11comp_targetILNS1_3genE10ELNS1_11target_archE1200ELNS1_3gpuE4ELNS1_3repE0EEENS1_30default_config_static_selectorELNS0_4arch9wavefront6targetE0EEEvS10_.uses_vcc, 0
	.set _ZN7rocprim17ROCPRIM_400000_NS6detail17trampoline_kernelINS0_14default_configENS1_21merge_config_selectorINS0_5tupleIJffEEENS0_10empty_typeEEEZNS1_10merge_implIS3_NS0_12zip_iteratorINS5_IJN6thrust23THRUST_200600_302600_NS6detail15normal_iteratorINSC_10device_ptrIKfEEEESI_EEEEESK_NSA_INS5_IJNSE_INSF_IfEEEESM_EEEEEPS7_SP_SP_NSC_11hip_rocprim7__merge17predicate_wrapperIffNSC_7greaterIfEEEEEE10hipError_tPvRmT0_T1_T2_T3_T4_T5_mmT6_P12ihipStream_tbEUlT_E0_NS1_11comp_targetILNS1_3genE10ELNS1_11target_archE1200ELNS1_3gpuE4ELNS1_3repE0EEENS1_30default_config_static_selectorELNS0_4arch9wavefront6targetE0EEEvS10_.uses_flat_scratch, 0
	.set _ZN7rocprim17ROCPRIM_400000_NS6detail17trampoline_kernelINS0_14default_configENS1_21merge_config_selectorINS0_5tupleIJffEEENS0_10empty_typeEEEZNS1_10merge_implIS3_NS0_12zip_iteratorINS5_IJN6thrust23THRUST_200600_302600_NS6detail15normal_iteratorINSC_10device_ptrIKfEEEESI_EEEEESK_NSA_INS5_IJNSE_INSF_IfEEEESM_EEEEEPS7_SP_SP_NSC_11hip_rocprim7__merge17predicate_wrapperIffNSC_7greaterIfEEEEEE10hipError_tPvRmT0_T1_T2_T3_T4_T5_mmT6_P12ihipStream_tbEUlT_E0_NS1_11comp_targetILNS1_3genE10ELNS1_11target_archE1200ELNS1_3gpuE4ELNS1_3repE0EEENS1_30default_config_static_selectorELNS0_4arch9wavefront6targetE0EEEvS10_.has_dyn_sized_stack, 0
	.set _ZN7rocprim17ROCPRIM_400000_NS6detail17trampoline_kernelINS0_14default_configENS1_21merge_config_selectorINS0_5tupleIJffEEENS0_10empty_typeEEEZNS1_10merge_implIS3_NS0_12zip_iteratorINS5_IJN6thrust23THRUST_200600_302600_NS6detail15normal_iteratorINSC_10device_ptrIKfEEEESI_EEEEESK_NSA_INS5_IJNSE_INSF_IfEEEESM_EEEEEPS7_SP_SP_NSC_11hip_rocprim7__merge17predicate_wrapperIffNSC_7greaterIfEEEEEE10hipError_tPvRmT0_T1_T2_T3_T4_T5_mmT6_P12ihipStream_tbEUlT_E0_NS1_11comp_targetILNS1_3genE10ELNS1_11target_archE1200ELNS1_3gpuE4ELNS1_3repE0EEENS1_30default_config_static_selectorELNS0_4arch9wavefront6targetE0EEEvS10_.has_recursion, 0
	.set _ZN7rocprim17ROCPRIM_400000_NS6detail17trampoline_kernelINS0_14default_configENS1_21merge_config_selectorINS0_5tupleIJffEEENS0_10empty_typeEEEZNS1_10merge_implIS3_NS0_12zip_iteratorINS5_IJN6thrust23THRUST_200600_302600_NS6detail15normal_iteratorINSC_10device_ptrIKfEEEESI_EEEEESK_NSA_INS5_IJNSE_INSF_IfEEEESM_EEEEEPS7_SP_SP_NSC_11hip_rocprim7__merge17predicate_wrapperIffNSC_7greaterIfEEEEEE10hipError_tPvRmT0_T1_T2_T3_T4_T5_mmT6_P12ihipStream_tbEUlT_E0_NS1_11comp_targetILNS1_3genE10ELNS1_11target_archE1200ELNS1_3gpuE4ELNS1_3repE0EEENS1_30default_config_static_selectorELNS0_4arch9wavefront6targetE0EEEvS10_.has_indirect_call, 0
	.section	.AMDGPU.csdata,"",@progbits
; Kernel info:
; codeLenInByte = 0
; TotalNumSgprs: 0
; NumVgprs: 0
; ScratchSize: 0
; MemoryBound: 0
; FloatMode: 240
; IeeeMode: 1
; LDSByteSize: 0 bytes/workgroup (compile time only)
; SGPRBlocks: 0
; VGPRBlocks: 0
; NumSGPRsForWavesPerEU: 1
; NumVGPRsForWavesPerEU: 1
; NamedBarCnt: 0
; Occupancy: 16
; WaveLimiterHint : 0
; COMPUTE_PGM_RSRC2:SCRATCH_EN: 0
; COMPUTE_PGM_RSRC2:USER_SGPR: 2
; COMPUTE_PGM_RSRC2:TRAP_HANDLER: 0
; COMPUTE_PGM_RSRC2:TGID_X_EN: 1
; COMPUTE_PGM_RSRC2:TGID_Y_EN: 0
; COMPUTE_PGM_RSRC2:TGID_Z_EN: 0
; COMPUTE_PGM_RSRC2:TIDIG_COMP_CNT: 0
	.section	.text._ZN7rocprim17ROCPRIM_400000_NS6detail17trampoline_kernelINS0_14default_configENS1_21merge_config_selectorINS0_5tupleIJffEEENS0_10empty_typeEEEZNS1_10merge_implIS3_NS0_12zip_iteratorINS5_IJN6thrust23THRUST_200600_302600_NS6detail15normal_iteratorINSC_10device_ptrIKfEEEESI_EEEEESK_NSA_INS5_IJNSE_INSF_IfEEEESM_EEEEEPS7_SP_SP_NSC_11hip_rocprim7__merge17predicate_wrapperIffNSC_7greaterIfEEEEEE10hipError_tPvRmT0_T1_T2_T3_T4_T5_mmT6_P12ihipStream_tbEUlT_E0_NS1_11comp_targetILNS1_3genE9ELNS1_11target_archE1100ELNS1_3gpuE3ELNS1_3repE0EEENS1_30default_config_static_selectorELNS0_4arch9wavefront6targetE0EEEvS10_,"axG",@progbits,_ZN7rocprim17ROCPRIM_400000_NS6detail17trampoline_kernelINS0_14default_configENS1_21merge_config_selectorINS0_5tupleIJffEEENS0_10empty_typeEEEZNS1_10merge_implIS3_NS0_12zip_iteratorINS5_IJN6thrust23THRUST_200600_302600_NS6detail15normal_iteratorINSC_10device_ptrIKfEEEESI_EEEEESK_NSA_INS5_IJNSE_INSF_IfEEEESM_EEEEEPS7_SP_SP_NSC_11hip_rocprim7__merge17predicate_wrapperIffNSC_7greaterIfEEEEEE10hipError_tPvRmT0_T1_T2_T3_T4_T5_mmT6_P12ihipStream_tbEUlT_E0_NS1_11comp_targetILNS1_3genE9ELNS1_11target_archE1100ELNS1_3gpuE3ELNS1_3repE0EEENS1_30default_config_static_selectorELNS0_4arch9wavefront6targetE0EEEvS10_,comdat
	.protected	_ZN7rocprim17ROCPRIM_400000_NS6detail17trampoline_kernelINS0_14default_configENS1_21merge_config_selectorINS0_5tupleIJffEEENS0_10empty_typeEEEZNS1_10merge_implIS3_NS0_12zip_iteratorINS5_IJN6thrust23THRUST_200600_302600_NS6detail15normal_iteratorINSC_10device_ptrIKfEEEESI_EEEEESK_NSA_INS5_IJNSE_INSF_IfEEEESM_EEEEEPS7_SP_SP_NSC_11hip_rocprim7__merge17predicate_wrapperIffNSC_7greaterIfEEEEEE10hipError_tPvRmT0_T1_T2_T3_T4_T5_mmT6_P12ihipStream_tbEUlT_E0_NS1_11comp_targetILNS1_3genE9ELNS1_11target_archE1100ELNS1_3gpuE3ELNS1_3repE0EEENS1_30default_config_static_selectorELNS0_4arch9wavefront6targetE0EEEvS10_ ; -- Begin function _ZN7rocprim17ROCPRIM_400000_NS6detail17trampoline_kernelINS0_14default_configENS1_21merge_config_selectorINS0_5tupleIJffEEENS0_10empty_typeEEEZNS1_10merge_implIS3_NS0_12zip_iteratorINS5_IJN6thrust23THRUST_200600_302600_NS6detail15normal_iteratorINSC_10device_ptrIKfEEEESI_EEEEESK_NSA_INS5_IJNSE_INSF_IfEEEESM_EEEEEPS7_SP_SP_NSC_11hip_rocprim7__merge17predicate_wrapperIffNSC_7greaterIfEEEEEE10hipError_tPvRmT0_T1_T2_T3_T4_T5_mmT6_P12ihipStream_tbEUlT_E0_NS1_11comp_targetILNS1_3genE9ELNS1_11target_archE1100ELNS1_3gpuE3ELNS1_3repE0EEENS1_30default_config_static_selectorELNS0_4arch9wavefront6targetE0EEEvS10_
	.globl	_ZN7rocprim17ROCPRIM_400000_NS6detail17trampoline_kernelINS0_14default_configENS1_21merge_config_selectorINS0_5tupleIJffEEENS0_10empty_typeEEEZNS1_10merge_implIS3_NS0_12zip_iteratorINS5_IJN6thrust23THRUST_200600_302600_NS6detail15normal_iteratorINSC_10device_ptrIKfEEEESI_EEEEESK_NSA_INS5_IJNSE_INSF_IfEEEESM_EEEEEPS7_SP_SP_NSC_11hip_rocprim7__merge17predicate_wrapperIffNSC_7greaterIfEEEEEE10hipError_tPvRmT0_T1_T2_T3_T4_T5_mmT6_P12ihipStream_tbEUlT_E0_NS1_11comp_targetILNS1_3genE9ELNS1_11target_archE1100ELNS1_3gpuE3ELNS1_3repE0EEENS1_30default_config_static_selectorELNS0_4arch9wavefront6targetE0EEEvS10_
	.p2align	8
	.type	_ZN7rocprim17ROCPRIM_400000_NS6detail17trampoline_kernelINS0_14default_configENS1_21merge_config_selectorINS0_5tupleIJffEEENS0_10empty_typeEEEZNS1_10merge_implIS3_NS0_12zip_iteratorINS5_IJN6thrust23THRUST_200600_302600_NS6detail15normal_iteratorINSC_10device_ptrIKfEEEESI_EEEEESK_NSA_INS5_IJNSE_INSF_IfEEEESM_EEEEEPS7_SP_SP_NSC_11hip_rocprim7__merge17predicate_wrapperIffNSC_7greaterIfEEEEEE10hipError_tPvRmT0_T1_T2_T3_T4_T5_mmT6_P12ihipStream_tbEUlT_E0_NS1_11comp_targetILNS1_3genE9ELNS1_11target_archE1100ELNS1_3gpuE3ELNS1_3repE0EEENS1_30default_config_static_selectorELNS0_4arch9wavefront6targetE0EEEvS10_,@function
_ZN7rocprim17ROCPRIM_400000_NS6detail17trampoline_kernelINS0_14default_configENS1_21merge_config_selectorINS0_5tupleIJffEEENS0_10empty_typeEEEZNS1_10merge_implIS3_NS0_12zip_iteratorINS5_IJN6thrust23THRUST_200600_302600_NS6detail15normal_iteratorINSC_10device_ptrIKfEEEESI_EEEEESK_NSA_INS5_IJNSE_INSF_IfEEEESM_EEEEEPS7_SP_SP_NSC_11hip_rocprim7__merge17predicate_wrapperIffNSC_7greaterIfEEEEEE10hipError_tPvRmT0_T1_T2_T3_T4_T5_mmT6_P12ihipStream_tbEUlT_E0_NS1_11comp_targetILNS1_3genE9ELNS1_11target_archE1100ELNS1_3gpuE3ELNS1_3repE0EEENS1_30default_config_static_selectorELNS0_4arch9wavefront6targetE0EEEvS10_: ; @_ZN7rocprim17ROCPRIM_400000_NS6detail17trampoline_kernelINS0_14default_configENS1_21merge_config_selectorINS0_5tupleIJffEEENS0_10empty_typeEEEZNS1_10merge_implIS3_NS0_12zip_iteratorINS5_IJN6thrust23THRUST_200600_302600_NS6detail15normal_iteratorINSC_10device_ptrIKfEEEESI_EEEEESK_NSA_INS5_IJNSE_INSF_IfEEEESM_EEEEEPS7_SP_SP_NSC_11hip_rocprim7__merge17predicate_wrapperIffNSC_7greaterIfEEEEEE10hipError_tPvRmT0_T1_T2_T3_T4_T5_mmT6_P12ihipStream_tbEUlT_E0_NS1_11comp_targetILNS1_3genE9ELNS1_11target_archE1100ELNS1_3gpuE3ELNS1_3repE0EEENS1_30default_config_static_selectorELNS0_4arch9wavefront6targetE0EEEvS10_
; %bb.0:
	.section	.rodata,"a",@progbits
	.p2align	6, 0x0
	.amdhsa_kernel _ZN7rocprim17ROCPRIM_400000_NS6detail17trampoline_kernelINS0_14default_configENS1_21merge_config_selectorINS0_5tupleIJffEEENS0_10empty_typeEEEZNS1_10merge_implIS3_NS0_12zip_iteratorINS5_IJN6thrust23THRUST_200600_302600_NS6detail15normal_iteratorINSC_10device_ptrIKfEEEESI_EEEEESK_NSA_INS5_IJNSE_INSF_IfEEEESM_EEEEEPS7_SP_SP_NSC_11hip_rocprim7__merge17predicate_wrapperIffNSC_7greaterIfEEEEEE10hipError_tPvRmT0_T1_T2_T3_T4_T5_mmT6_P12ihipStream_tbEUlT_E0_NS1_11comp_targetILNS1_3genE9ELNS1_11target_archE1100ELNS1_3gpuE3ELNS1_3repE0EEENS1_30default_config_static_selectorELNS0_4arch9wavefront6targetE0EEEvS10_
		.amdhsa_group_segment_fixed_size 0
		.amdhsa_private_segment_fixed_size 0
		.amdhsa_kernarg_size 112
		.amdhsa_user_sgpr_count 2
		.amdhsa_user_sgpr_dispatch_ptr 0
		.amdhsa_user_sgpr_queue_ptr 0
		.amdhsa_user_sgpr_kernarg_segment_ptr 1
		.amdhsa_user_sgpr_dispatch_id 0
		.amdhsa_user_sgpr_kernarg_preload_length 0
		.amdhsa_user_sgpr_kernarg_preload_offset 0
		.amdhsa_user_sgpr_private_segment_size 0
		.amdhsa_wavefront_size32 1
		.amdhsa_uses_dynamic_stack 0
		.amdhsa_enable_private_segment 0
		.amdhsa_system_sgpr_workgroup_id_x 1
		.amdhsa_system_sgpr_workgroup_id_y 0
		.amdhsa_system_sgpr_workgroup_id_z 0
		.amdhsa_system_sgpr_workgroup_info 0
		.amdhsa_system_vgpr_workitem_id 0
		.amdhsa_next_free_vgpr 1
		.amdhsa_next_free_sgpr 1
		.amdhsa_named_barrier_count 0
		.amdhsa_reserve_vcc 0
		.amdhsa_float_round_mode_32 0
		.amdhsa_float_round_mode_16_64 0
		.amdhsa_float_denorm_mode_32 3
		.amdhsa_float_denorm_mode_16_64 3
		.amdhsa_fp16_overflow 0
		.amdhsa_memory_ordered 1
		.amdhsa_forward_progress 1
		.amdhsa_inst_pref_size 0
		.amdhsa_round_robin_scheduling 0
		.amdhsa_exception_fp_ieee_invalid_op 0
		.amdhsa_exception_fp_denorm_src 0
		.amdhsa_exception_fp_ieee_div_zero 0
		.amdhsa_exception_fp_ieee_overflow 0
		.amdhsa_exception_fp_ieee_underflow 0
		.amdhsa_exception_fp_ieee_inexact 0
		.amdhsa_exception_int_div_zero 0
	.end_amdhsa_kernel
	.section	.text._ZN7rocprim17ROCPRIM_400000_NS6detail17trampoline_kernelINS0_14default_configENS1_21merge_config_selectorINS0_5tupleIJffEEENS0_10empty_typeEEEZNS1_10merge_implIS3_NS0_12zip_iteratorINS5_IJN6thrust23THRUST_200600_302600_NS6detail15normal_iteratorINSC_10device_ptrIKfEEEESI_EEEEESK_NSA_INS5_IJNSE_INSF_IfEEEESM_EEEEEPS7_SP_SP_NSC_11hip_rocprim7__merge17predicate_wrapperIffNSC_7greaterIfEEEEEE10hipError_tPvRmT0_T1_T2_T3_T4_T5_mmT6_P12ihipStream_tbEUlT_E0_NS1_11comp_targetILNS1_3genE9ELNS1_11target_archE1100ELNS1_3gpuE3ELNS1_3repE0EEENS1_30default_config_static_selectorELNS0_4arch9wavefront6targetE0EEEvS10_,"axG",@progbits,_ZN7rocprim17ROCPRIM_400000_NS6detail17trampoline_kernelINS0_14default_configENS1_21merge_config_selectorINS0_5tupleIJffEEENS0_10empty_typeEEEZNS1_10merge_implIS3_NS0_12zip_iteratorINS5_IJN6thrust23THRUST_200600_302600_NS6detail15normal_iteratorINSC_10device_ptrIKfEEEESI_EEEEESK_NSA_INS5_IJNSE_INSF_IfEEEESM_EEEEEPS7_SP_SP_NSC_11hip_rocprim7__merge17predicate_wrapperIffNSC_7greaterIfEEEEEE10hipError_tPvRmT0_T1_T2_T3_T4_T5_mmT6_P12ihipStream_tbEUlT_E0_NS1_11comp_targetILNS1_3genE9ELNS1_11target_archE1100ELNS1_3gpuE3ELNS1_3repE0EEENS1_30default_config_static_selectorELNS0_4arch9wavefront6targetE0EEEvS10_,comdat
.Lfunc_end351:
	.size	_ZN7rocprim17ROCPRIM_400000_NS6detail17trampoline_kernelINS0_14default_configENS1_21merge_config_selectorINS0_5tupleIJffEEENS0_10empty_typeEEEZNS1_10merge_implIS3_NS0_12zip_iteratorINS5_IJN6thrust23THRUST_200600_302600_NS6detail15normal_iteratorINSC_10device_ptrIKfEEEESI_EEEEESK_NSA_INS5_IJNSE_INSF_IfEEEESM_EEEEEPS7_SP_SP_NSC_11hip_rocprim7__merge17predicate_wrapperIffNSC_7greaterIfEEEEEE10hipError_tPvRmT0_T1_T2_T3_T4_T5_mmT6_P12ihipStream_tbEUlT_E0_NS1_11comp_targetILNS1_3genE9ELNS1_11target_archE1100ELNS1_3gpuE3ELNS1_3repE0EEENS1_30default_config_static_selectorELNS0_4arch9wavefront6targetE0EEEvS10_, .Lfunc_end351-_ZN7rocprim17ROCPRIM_400000_NS6detail17trampoline_kernelINS0_14default_configENS1_21merge_config_selectorINS0_5tupleIJffEEENS0_10empty_typeEEEZNS1_10merge_implIS3_NS0_12zip_iteratorINS5_IJN6thrust23THRUST_200600_302600_NS6detail15normal_iteratorINSC_10device_ptrIKfEEEESI_EEEEESK_NSA_INS5_IJNSE_INSF_IfEEEESM_EEEEEPS7_SP_SP_NSC_11hip_rocprim7__merge17predicate_wrapperIffNSC_7greaterIfEEEEEE10hipError_tPvRmT0_T1_T2_T3_T4_T5_mmT6_P12ihipStream_tbEUlT_E0_NS1_11comp_targetILNS1_3genE9ELNS1_11target_archE1100ELNS1_3gpuE3ELNS1_3repE0EEENS1_30default_config_static_selectorELNS0_4arch9wavefront6targetE0EEEvS10_
                                        ; -- End function
	.set _ZN7rocprim17ROCPRIM_400000_NS6detail17trampoline_kernelINS0_14default_configENS1_21merge_config_selectorINS0_5tupleIJffEEENS0_10empty_typeEEEZNS1_10merge_implIS3_NS0_12zip_iteratorINS5_IJN6thrust23THRUST_200600_302600_NS6detail15normal_iteratorINSC_10device_ptrIKfEEEESI_EEEEESK_NSA_INS5_IJNSE_INSF_IfEEEESM_EEEEEPS7_SP_SP_NSC_11hip_rocprim7__merge17predicate_wrapperIffNSC_7greaterIfEEEEEE10hipError_tPvRmT0_T1_T2_T3_T4_T5_mmT6_P12ihipStream_tbEUlT_E0_NS1_11comp_targetILNS1_3genE9ELNS1_11target_archE1100ELNS1_3gpuE3ELNS1_3repE0EEENS1_30default_config_static_selectorELNS0_4arch9wavefront6targetE0EEEvS10_.num_vgpr, 0
	.set _ZN7rocprim17ROCPRIM_400000_NS6detail17trampoline_kernelINS0_14default_configENS1_21merge_config_selectorINS0_5tupleIJffEEENS0_10empty_typeEEEZNS1_10merge_implIS3_NS0_12zip_iteratorINS5_IJN6thrust23THRUST_200600_302600_NS6detail15normal_iteratorINSC_10device_ptrIKfEEEESI_EEEEESK_NSA_INS5_IJNSE_INSF_IfEEEESM_EEEEEPS7_SP_SP_NSC_11hip_rocprim7__merge17predicate_wrapperIffNSC_7greaterIfEEEEEE10hipError_tPvRmT0_T1_T2_T3_T4_T5_mmT6_P12ihipStream_tbEUlT_E0_NS1_11comp_targetILNS1_3genE9ELNS1_11target_archE1100ELNS1_3gpuE3ELNS1_3repE0EEENS1_30default_config_static_selectorELNS0_4arch9wavefront6targetE0EEEvS10_.num_agpr, 0
	.set _ZN7rocprim17ROCPRIM_400000_NS6detail17trampoline_kernelINS0_14default_configENS1_21merge_config_selectorINS0_5tupleIJffEEENS0_10empty_typeEEEZNS1_10merge_implIS3_NS0_12zip_iteratorINS5_IJN6thrust23THRUST_200600_302600_NS6detail15normal_iteratorINSC_10device_ptrIKfEEEESI_EEEEESK_NSA_INS5_IJNSE_INSF_IfEEEESM_EEEEEPS7_SP_SP_NSC_11hip_rocprim7__merge17predicate_wrapperIffNSC_7greaterIfEEEEEE10hipError_tPvRmT0_T1_T2_T3_T4_T5_mmT6_P12ihipStream_tbEUlT_E0_NS1_11comp_targetILNS1_3genE9ELNS1_11target_archE1100ELNS1_3gpuE3ELNS1_3repE0EEENS1_30default_config_static_selectorELNS0_4arch9wavefront6targetE0EEEvS10_.numbered_sgpr, 0
	.set _ZN7rocprim17ROCPRIM_400000_NS6detail17trampoline_kernelINS0_14default_configENS1_21merge_config_selectorINS0_5tupleIJffEEENS0_10empty_typeEEEZNS1_10merge_implIS3_NS0_12zip_iteratorINS5_IJN6thrust23THRUST_200600_302600_NS6detail15normal_iteratorINSC_10device_ptrIKfEEEESI_EEEEESK_NSA_INS5_IJNSE_INSF_IfEEEESM_EEEEEPS7_SP_SP_NSC_11hip_rocprim7__merge17predicate_wrapperIffNSC_7greaterIfEEEEEE10hipError_tPvRmT0_T1_T2_T3_T4_T5_mmT6_P12ihipStream_tbEUlT_E0_NS1_11comp_targetILNS1_3genE9ELNS1_11target_archE1100ELNS1_3gpuE3ELNS1_3repE0EEENS1_30default_config_static_selectorELNS0_4arch9wavefront6targetE0EEEvS10_.num_named_barrier, 0
	.set _ZN7rocprim17ROCPRIM_400000_NS6detail17trampoline_kernelINS0_14default_configENS1_21merge_config_selectorINS0_5tupleIJffEEENS0_10empty_typeEEEZNS1_10merge_implIS3_NS0_12zip_iteratorINS5_IJN6thrust23THRUST_200600_302600_NS6detail15normal_iteratorINSC_10device_ptrIKfEEEESI_EEEEESK_NSA_INS5_IJNSE_INSF_IfEEEESM_EEEEEPS7_SP_SP_NSC_11hip_rocprim7__merge17predicate_wrapperIffNSC_7greaterIfEEEEEE10hipError_tPvRmT0_T1_T2_T3_T4_T5_mmT6_P12ihipStream_tbEUlT_E0_NS1_11comp_targetILNS1_3genE9ELNS1_11target_archE1100ELNS1_3gpuE3ELNS1_3repE0EEENS1_30default_config_static_selectorELNS0_4arch9wavefront6targetE0EEEvS10_.private_seg_size, 0
	.set _ZN7rocprim17ROCPRIM_400000_NS6detail17trampoline_kernelINS0_14default_configENS1_21merge_config_selectorINS0_5tupleIJffEEENS0_10empty_typeEEEZNS1_10merge_implIS3_NS0_12zip_iteratorINS5_IJN6thrust23THRUST_200600_302600_NS6detail15normal_iteratorINSC_10device_ptrIKfEEEESI_EEEEESK_NSA_INS5_IJNSE_INSF_IfEEEESM_EEEEEPS7_SP_SP_NSC_11hip_rocprim7__merge17predicate_wrapperIffNSC_7greaterIfEEEEEE10hipError_tPvRmT0_T1_T2_T3_T4_T5_mmT6_P12ihipStream_tbEUlT_E0_NS1_11comp_targetILNS1_3genE9ELNS1_11target_archE1100ELNS1_3gpuE3ELNS1_3repE0EEENS1_30default_config_static_selectorELNS0_4arch9wavefront6targetE0EEEvS10_.uses_vcc, 0
	.set _ZN7rocprim17ROCPRIM_400000_NS6detail17trampoline_kernelINS0_14default_configENS1_21merge_config_selectorINS0_5tupleIJffEEENS0_10empty_typeEEEZNS1_10merge_implIS3_NS0_12zip_iteratorINS5_IJN6thrust23THRUST_200600_302600_NS6detail15normal_iteratorINSC_10device_ptrIKfEEEESI_EEEEESK_NSA_INS5_IJNSE_INSF_IfEEEESM_EEEEEPS7_SP_SP_NSC_11hip_rocprim7__merge17predicate_wrapperIffNSC_7greaterIfEEEEEE10hipError_tPvRmT0_T1_T2_T3_T4_T5_mmT6_P12ihipStream_tbEUlT_E0_NS1_11comp_targetILNS1_3genE9ELNS1_11target_archE1100ELNS1_3gpuE3ELNS1_3repE0EEENS1_30default_config_static_selectorELNS0_4arch9wavefront6targetE0EEEvS10_.uses_flat_scratch, 0
	.set _ZN7rocprim17ROCPRIM_400000_NS6detail17trampoline_kernelINS0_14default_configENS1_21merge_config_selectorINS0_5tupleIJffEEENS0_10empty_typeEEEZNS1_10merge_implIS3_NS0_12zip_iteratorINS5_IJN6thrust23THRUST_200600_302600_NS6detail15normal_iteratorINSC_10device_ptrIKfEEEESI_EEEEESK_NSA_INS5_IJNSE_INSF_IfEEEESM_EEEEEPS7_SP_SP_NSC_11hip_rocprim7__merge17predicate_wrapperIffNSC_7greaterIfEEEEEE10hipError_tPvRmT0_T1_T2_T3_T4_T5_mmT6_P12ihipStream_tbEUlT_E0_NS1_11comp_targetILNS1_3genE9ELNS1_11target_archE1100ELNS1_3gpuE3ELNS1_3repE0EEENS1_30default_config_static_selectorELNS0_4arch9wavefront6targetE0EEEvS10_.has_dyn_sized_stack, 0
	.set _ZN7rocprim17ROCPRIM_400000_NS6detail17trampoline_kernelINS0_14default_configENS1_21merge_config_selectorINS0_5tupleIJffEEENS0_10empty_typeEEEZNS1_10merge_implIS3_NS0_12zip_iteratorINS5_IJN6thrust23THRUST_200600_302600_NS6detail15normal_iteratorINSC_10device_ptrIKfEEEESI_EEEEESK_NSA_INS5_IJNSE_INSF_IfEEEESM_EEEEEPS7_SP_SP_NSC_11hip_rocprim7__merge17predicate_wrapperIffNSC_7greaterIfEEEEEE10hipError_tPvRmT0_T1_T2_T3_T4_T5_mmT6_P12ihipStream_tbEUlT_E0_NS1_11comp_targetILNS1_3genE9ELNS1_11target_archE1100ELNS1_3gpuE3ELNS1_3repE0EEENS1_30default_config_static_selectorELNS0_4arch9wavefront6targetE0EEEvS10_.has_recursion, 0
	.set _ZN7rocprim17ROCPRIM_400000_NS6detail17trampoline_kernelINS0_14default_configENS1_21merge_config_selectorINS0_5tupleIJffEEENS0_10empty_typeEEEZNS1_10merge_implIS3_NS0_12zip_iteratorINS5_IJN6thrust23THRUST_200600_302600_NS6detail15normal_iteratorINSC_10device_ptrIKfEEEESI_EEEEESK_NSA_INS5_IJNSE_INSF_IfEEEESM_EEEEEPS7_SP_SP_NSC_11hip_rocprim7__merge17predicate_wrapperIffNSC_7greaterIfEEEEEE10hipError_tPvRmT0_T1_T2_T3_T4_T5_mmT6_P12ihipStream_tbEUlT_E0_NS1_11comp_targetILNS1_3genE9ELNS1_11target_archE1100ELNS1_3gpuE3ELNS1_3repE0EEENS1_30default_config_static_selectorELNS0_4arch9wavefront6targetE0EEEvS10_.has_indirect_call, 0
	.section	.AMDGPU.csdata,"",@progbits
; Kernel info:
; codeLenInByte = 0
; TotalNumSgprs: 0
; NumVgprs: 0
; ScratchSize: 0
; MemoryBound: 0
; FloatMode: 240
; IeeeMode: 1
; LDSByteSize: 0 bytes/workgroup (compile time only)
; SGPRBlocks: 0
; VGPRBlocks: 0
; NumSGPRsForWavesPerEU: 1
; NumVGPRsForWavesPerEU: 1
; NamedBarCnt: 0
; Occupancy: 16
; WaveLimiterHint : 0
; COMPUTE_PGM_RSRC2:SCRATCH_EN: 0
; COMPUTE_PGM_RSRC2:USER_SGPR: 2
; COMPUTE_PGM_RSRC2:TRAP_HANDLER: 0
; COMPUTE_PGM_RSRC2:TGID_X_EN: 1
; COMPUTE_PGM_RSRC2:TGID_Y_EN: 0
; COMPUTE_PGM_RSRC2:TGID_Z_EN: 0
; COMPUTE_PGM_RSRC2:TIDIG_COMP_CNT: 0
	.section	.text._ZN7rocprim17ROCPRIM_400000_NS6detail17trampoline_kernelINS0_14default_configENS1_21merge_config_selectorINS0_5tupleIJffEEENS0_10empty_typeEEEZNS1_10merge_implIS3_NS0_12zip_iteratorINS5_IJN6thrust23THRUST_200600_302600_NS6detail15normal_iteratorINSC_10device_ptrIKfEEEESI_EEEEESK_NSA_INS5_IJNSE_INSF_IfEEEESM_EEEEEPS7_SP_SP_NSC_11hip_rocprim7__merge17predicate_wrapperIffNSC_7greaterIfEEEEEE10hipError_tPvRmT0_T1_T2_T3_T4_T5_mmT6_P12ihipStream_tbEUlT_E0_NS1_11comp_targetILNS1_3genE8ELNS1_11target_archE1030ELNS1_3gpuE2ELNS1_3repE0EEENS1_30default_config_static_selectorELNS0_4arch9wavefront6targetE0EEEvS10_,"axG",@progbits,_ZN7rocprim17ROCPRIM_400000_NS6detail17trampoline_kernelINS0_14default_configENS1_21merge_config_selectorINS0_5tupleIJffEEENS0_10empty_typeEEEZNS1_10merge_implIS3_NS0_12zip_iteratorINS5_IJN6thrust23THRUST_200600_302600_NS6detail15normal_iteratorINSC_10device_ptrIKfEEEESI_EEEEESK_NSA_INS5_IJNSE_INSF_IfEEEESM_EEEEEPS7_SP_SP_NSC_11hip_rocprim7__merge17predicate_wrapperIffNSC_7greaterIfEEEEEE10hipError_tPvRmT0_T1_T2_T3_T4_T5_mmT6_P12ihipStream_tbEUlT_E0_NS1_11comp_targetILNS1_3genE8ELNS1_11target_archE1030ELNS1_3gpuE2ELNS1_3repE0EEENS1_30default_config_static_selectorELNS0_4arch9wavefront6targetE0EEEvS10_,comdat
	.protected	_ZN7rocprim17ROCPRIM_400000_NS6detail17trampoline_kernelINS0_14default_configENS1_21merge_config_selectorINS0_5tupleIJffEEENS0_10empty_typeEEEZNS1_10merge_implIS3_NS0_12zip_iteratorINS5_IJN6thrust23THRUST_200600_302600_NS6detail15normal_iteratorINSC_10device_ptrIKfEEEESI_EEEEESK_NSA_INS5_IJNSE_INSF_IfEEEESM_EEEEEPS7_SP_SP_NSC_11hip_rocprim7__merge17predicate_wrapperIffNSC_7greaterIfEEEEEE10hipError_tPvRmT0_T1_T2_T3_T4_T5_mmT6_P12ihipStream_tbEUlT_E0_NS1_11comp_targetILNS1_3genE8ELNS1_11target_archE1030ELNS1_3gpuE2ELNS1_3repE0EEENS1_30default_config_static_selectorELNS0_4arch9wavefront6targetE0EEEvS10_ ; -- Begin function _ZN7rocprim17ROCPRIM_400000_NS6detail17trampoline_kernelINS0_14default_configENS1_21merge_config_selectorINS0_5tupleIJffEEENS0_10empty_typeEEEZNS1_10merge_implIS3_NS0_12zip_iteratorINS5_IJN6thrust23THRUST_200600_302600_NS6detail15normal_iteratorINSC_10device_ptrIKfEEEESI_EEEEESK_NSA_INS5_IJNSE_INSF_IfEEEESM_EEEEEPS7_SP_SP_NSC_11hip_rocprim7__merge17predicate_wrapperIffNSC_7greaterIfEEEEEE10hipError_tPvRmT0_T1_T2_T3_T4_T5_mmT6_P12ihipStream_tbEUlT_E0_NS1_11comp_targetILNS1_3genE8ELNS1_11target_archE1030ELNS1_3gpuE2ELNS1_3repE0EEENS1_30default_config_static_selectorELNS0_4arch9wavefront6targetE0EEEvS10_
	.globl	_ZN7rocprim17ROCPRIM_400000_NS6detail17trampoline_kernelINS0_14default_configENS1_21merge_config_selectorINS0_5tupleIJffEEENS0_10empty_typeEEEZNS1_10merge_implIS3_NS0_12zip_iteratorINS5_IJN6thrust23THRUST_200600_302600_NS6detail15normal_iteratorINSC_10device_ptrIKfEEEESI_EEEEESK_NSA_INS5_IJNSE_INSF_IfEEEESM_EEEEEPS7_SP_SP_NSC_11hip_rocprim7__merge17predicate_wrapperIffNSC_7greaterIfEEEEEE10hipError_tPvRmT0_T1_T2_T3_T4_T5_mmT6_P12ihipStream_tbEUlT_E0_NS1_11comp_targetILNS1_3genE8ELNS1_11target_archE1030ELNS1_3gpuE2ELNS1_3repE0EEENS1_30default_config_static_selectorELNS0_4arch9wavefront6targetE0EEEvS10_
	.p2align	8
	.type	_ZN7rocprim17ROCPRIM_400000_NS6detail17trampoline_kernelINS0_14default_configENS1_21merge_config_selectorINS0_5tupleIJffEEENS0_10empty_typeEEEZNS1_10merge_implIS3_NS0_12zip_iteratorINS5_IJN6thrust23THRUST_200600_302600_NS6detail15normal_iteratorINSC_10device_ptrIKfEEEESI_EEEEESK_NSA_INS5_IJNSE_INSF_IfEEEESM_EEEEEPS7_SP_SP_NSC_11hip_rocprim7__merge17predicate_wrapperIffNSC_7greaterIfEEEEEE10hipError_tPvRmT0_T1_T2_T3_T4_T5_mmT6_P12ihipStream_tbEUlT_E0_NS1_11comp_targetILNS1_3genE8ELNS1_11target_archE1030ELNS1_3gpuE2ELNS1_3repE0EEENS1_30default_config_static_selectorELNS0_4arch9wavefront6targetE0EEEvS10_,@function
_ZN7rocprim17ROCPRIM_400000_NS6detail17trampoline_kernelINS0_14default_configENS1_21merge_config_selectorINS0_5tupleIJffEEENS0_10empty_typeEEEZNS1_10merge_implIS3_NS0_12zip_iteratorINS5_IJN6thrust23THRUST_200600_302600_NS6detail15normal_iteratorINSC_10device_ptrIKfEEEESI_EEEEESK_NSA_INS5_IJNSE_INSF_IfEEEESM_EEEEEPS7_SP_SP_NSC_11hip_rocprim7__merge17predicate_wrapperIffNSC_7greaterIfEEEEEE10hipError_tPvRmT0_T1_T2_T3_T4_T5_mmT6_P12ihipStream_tbEUlT_E0_NS1_11comp_targetILNS1_3genE8ELNS1_11target_archE1030ELNS1_3gpuE2ELNS1_3repE0EEENS1_30default_config_static_selectorELNS0_4arch9wavefront6targetE0EEEvS10_: ; @_ZN7rocprim17ROCPRIM_400000_NS6detail17trampoline_kernelINS0_14default_configENS1_21merge_config_selectorINS0_5tupleIJffEEENS0_10empty_typeEEEZNS1_10merge_implIS3_NS0_12zip_iteratorINS5_IJN6thrust23THRUST_200600_302600_NS6detail15normal_iteratorINSC_10device_ptrIKfEEEESI_EEEEESK_NSA_INS5_IJNSE_INSF_IfEEEESM_EEEEEPS7_SP_SP_NSC_11hip_rocprim7__merge17predicate_wrapperIffNSC_7greaterIfEEEEEE10hipError_tPvRmT0_T1_T2_T3_T4_T5_mmT6_P12ihipStream_tbEUlT_E0_NS1_11comp_targetILNS1_3genE8ELNS1_11target_archE1030ELNS1_3gpuE2ELNS1_3repE0EEENS1_30default_config_static_selectorELNS0_4arch9wavefront6targetE0EEEvS10_
; %bb.0:
	.section	.rodata,"a",@progbits
	.p2align	6, 0x0
	.amdhsa_kernel _ZN7rocprim17ROCPRIM_400000_NS6detail17trampoline_kernelINS0_14default_configENS1_21merge_config_selectorINS0_5tupleIJffEEENS0_10empty_typeEEEZNS1_10merge_implIS3_NS0_12zip_iteratorINS5_IJN6thrust23THRUST_200600_302600_NS6detail15normal_iteratorINSC_10device_ptrIKfEEEESI_EEEEESK_NSA_INS5_IJNSE_INSF_IfEEEESM_EEEEEPS7_SP_SP_NSC_11hip_rocprim7__merge17predicate_wrapperIffNSC_7greaterIfEEEEEE10hipError_tPvRmT0_T1_T2_T3_T4_T5_mmT6_P12ihipStream_tbEUlT_E0_NS1_11comp_targetILNS1_3genE8ELNS1_11target_archE1030ELNS1_3gpuE2ELNS1_3repE0EEENS1_30default_config_static_selectorELNS0_4arch9wavefront6targetE0EEEvS10_
		.amdhsa_group_segment_fixed_size 0
		.amdhsa_private_segment_fixed_size 0
		.amdhsa_kernarg_size 112
		.amdhsa_user_sgpr_count 2
		.amdhsa_user_sgpr_dispatch_ptr 0
		.amdhsa_user_sgpr_queue_ptr 0
		.amdhsa_user_sgpr_kernarg_segment_ptr 1
		.amdhsa_user_sgpr_dispatch_id 0
		.amdhsa_user_sgpr_kernarg_preload_length 0
		.amdhsa_user_sgpr_kernarg_preload_offset 0
		.amdhsa_user_sgpr_private_segment_size 0
		.amdhsa_wavefront_size32 1
		.amdhsa_uses_dynamic_stack 0
		.amdhsa_enable_private_segment 0
		.amdhsa_system_sgpr_workgroup_id_x 1
		.amdhsa_system_sgpr_workgroup_id_y 0
		.amdhsa_system_sgpr_workgroup_id_z 0
		.amdhsa_system_sgpr_workgroup_info 0
		.amdhsa_system_vgpr_workitem_id 0
		.amdhsa_next_free_vgpr 1
		.amdhsa_next_free_sgpr 1
		.amdhsa_named_barrier_count 0
		.amdhsa_reserve_vcc 0
		.amdhsa_float_round_mode_32 0
		.amdhsa_float_round_mode_16_64 0
		.amdhsa_float_denorm_mode_32 3
		.amdhsa_float_denorm_mode_16_64 3
		.amdhsa_fp16_overflow 0
		.amdhsa_memory_ordered 1
		.amdhsa_forward_progress 1
		.amdhsa_inst_pref_size 0
		.amdhsa_round_robin_scheduling 0
		.amdhsa_exception_fp_ieee_invalid_op 0
		.amdhsa_exception_fp_denorm_src 0
		.amdhsa_exception_fp_ieee_div_zero 0
		.amdhsa_exception_fp_ieee_overflow 0
		.amdhsa_exception_fp_ieee_underflow 0
		.amdhsa_exception_fp_ieee_inexact 0
		.amdhsa_exception_int_div_zero 0
	.end_amdhsa_kernel
	.section	.text._ZN7rocprim17ROCPRIM_400000_NS6detail17trampoline_kernelINS0_14default_configENS1_21merge_config_selectorINS0_5tupleIJffEEENS0_10empty_typeEEEZNS1_10merge_implIS3_NS0_12zip_iteratorINS5_IJN6thrust23THRUST_200600_302600_NS6detail15normal_iteratorINSC_10device_ptrIKfEEEESI_EEEEESK_NSA_INS5_IJNSE_INSF_IfEEEESM_EEEEEPS7_SP_SP_NSC_11hip_rocprim7__merge17predicate_wrapperIffNSC_7greaterIfEEEEEE10hipError_tPvRmT0_T1_T2_T3_T4_T5_mmT6_P12ihipStream_tbEUlT_E0_NS1_11comp_targetILNS1_3genE8ELNS1_11target_archE1030ELNS1_3gpuE2ELNS1_3repE0EEENS1_30default_config_static_selectorELNS0_4arch9wavefront6targetE0EEEvS10_,"axG",@progbits,_ZN7rocprim17ROCPRIM_400000_NS6detail17trampoline_kernelINS0_14default_configENS1_21merge_config_selectorINS0_5tupleIJffEEENS0_10empty_typeEEEZNS1_10merge_implIS3_NS0_12zip_iteratorINS5_IJN6thrust23THRUST_200600_302600_NS6detail15normal_iteratorINSC_10device_ptrIKfEEEESI_EEEEESK_NSA_INS5_IJNSE_INSF_IfEEEESM_EEEEEPS7_SP_SP_NSC_11hip_rocprim7__merge17predicate_wrapperIffNSC_7greaterIfEEEEEE10hipError_tPvRmT0_T1_T2_T3_T4_T5_mmT6_P12ihipStream_tbEUlT_E0_NS1_11comp_targetILNS1_3genE8ELNS1_11target_archE1030ELNS1_3gpuE2ELNS1_3repE0EEENS1_30default_config_static_selectorELNS0_4arch9wavefront6targetE0EEEvS10_,comdat
.Lfunc_end352:
	.size	_ZN7rocprim17ROCPRIM_400000_NS6detail17trampoline_kernelINS0_14default_configENS1_21merge_config_selectorINS0_5tupleIJffEEENS0_10empty_typeEEEZNS1_10merge_implIS3_NS0_12zip_iteratorINS5_IJN6thrust23THRUST_200600_302600_NS6detail15normal_iteratorINSC_10device_ptrIKfEEEESI_EEEEESK_NSA_INS5_IJNSE_INSF_IfEEEESM_EEEEEPS7_SP_SP_NSC_11hip_rocprim7__merge17predicate_wrapperIffNSC_7greaterIfEEEEEE10hipError_tPvRmT0_T1_T2_T3_T4_T5_mmT6_P12ihipStream_tbEUlT_E0_NS1_11comp_targetILNS1_3genE8ELNS1_11target_archE1030ELNS1_3gpuE2ELNS1_3repE0EEENS1_30default_config_static_selectorELNS0_4arch9wavefront6targetE0EEEvS10_, .Lfunc_end352-_ZN7rocprim17ROCPRIM_400000_NS6detail17trampoline_kernelINS0_14default_configENS1_21merge_config_selectorINS0_5tupleIJffEEENS0_10empty_typeEEEZNS1_10merge_implIS3_NS0_12zip_iteratorINS5_IJN6thrust23THRUST_200600_302600_NS6detail15normal_iteratorINSC_10device_ptrIKfEEEESI_EEEEESK_NSA_INS5_IJNSE_INSF_IfEEEESM_EEEEEPS7_SP_SP_NSC_11hip_rocprim7__merge17predicate_wrapperIffNSC_7greaterIfEEEEEE10hipError_tPvRmT0_T1_T2_T3_T4_T5_mmT6_P12ihipStream_tbEUlT_E0_NS1_11comp_targetILNS1_3genE8ELNS1_11target_archE1030ELNS1_3gpuE2ELNS1_3repE0EEENS1_30default_config_static_selectorELNS0_4arch9wavefront6targetE0EEEvS10_
                                        ; -- End function
	.set _ZN7rocprim17ROCPRIM_400000_NS6detail17trampoline_kernelINS0_14default_configENS1_21merge_config_selectorINS0_5tupleIJffEEENS0_10empty_typeEEEZNS1_10merge_implIS3_NS0_12zip_iteratorINS5_IJN6thrust23THRUST_200600_302600_NS6detail15normal_iteratorINSC_10device_ptrIKfEEEESI_EEEEESK_NSA_INS5_IJNSE_INSF_IfEEEESM_EEEEEPS7_SP_SP_NSC_11hip_rocprim7__merge17predicate_wrapperIffNSC_7greaterIfEEEEEE10hipError_tPvRmT0_T1_T2_T3_T4_T5_mmT6_P12ihipStream_tbEUlT_E0_NS1_11comp_targetILNS1_3genE8ELNS1_11target_archE1030ELNS1_3gpuE2ELNS1_3repE0EEENS1_30default_config_static_selectorELNS0_4arch9wavefront6targetE0EEEvS10_.num_vgpr, 0
	.set _ZN7rocprim17ROCPRIM_400000_NS6detail17trampoline_kernelINS0_14default_configENS1_21merge_config_selectorINS0_5tupleIJffEEENS0_10empty_typeEEEZNS1_10merge_implIS3_NS0_12zip_iteratorINS5_IJN6thrust23THRUST_200600_302600_NS6detail15normal_iteratorINSC_10device_ptrIKfEEEESI_EEEEESK_NSA_INS5_IJNSE_INSF_IfEEEESM_EEEEEPS7_SP_SP_NSC_11hip_rocprim7__merge17predicate_wrapperIffNSC_7greaterIfEEEEEE10hipError_tPvRmT0_T1_T2_T3_T4_T5_mmT6_P12ihipStream_tbEUlT_E0_NS1_11comp_targetILNS1_3genE8ELNS1_11target_archE1030ELNS1_3gpuE2ELNS1_3repE0EEENS1_30default_config_static_selectorELNS0_4arch9wavefront6targetE0EEEvS10_.num_agpr, 0
	.set _ZN7rocprim17ROCPRIM_400000_NS6detail17trampoline_kernelINS0_14default_configENS1_21merge_config_selectorINS0_5tupleIJffEEENS0_10empty_typeEEEZNS1_10merge_implIS3_NS0_12zip_iteratorINS5_IJN6thrust23THRUST_200600_302600_NS6detail15normal_iteratorINSC_10device_ptrIKfEEEESI_EEEEESK_NSA_INS5_IJNSE_INSF_IfEEEESM_EEEEEPS7_SP_SP_NSC_11hip_rocprim7__merge17predicate_wrapperIffNSC_7greaterIfEEEEEE10hipError_tPvRmT0_T1_T2_T3_T4_T5_mmT6_P12ihipStream_tbEUlT_E0_NS1_11comp_targetILNS1_3genE8ELNS1_11target_archE1030ELNS1_3gpuE2ELNS1_3repE0EEENS1_30default_config_static_selectorELNS0_4arch9wavefront6targetE0EEEvS10_.numbered_sgpr, 0
	.set _ZN7rocprim17ROCPRIM_400000_NS6detail17trampoline_kernelINS0_14default_configENS1_21merge_config_selectorINS0_5tupleIJffEEENS0_10empty_typeEEEZNS1_10merge_implIS3_NS0_12zip_iteratorINS5_IJN6thrust23THRUST_200600_302600_NS6detail15normal_iteratorINSC_10device_ptrIKfEEEESI_EEEEESK_NSA_INS5_IJNSE_INSF_IfEEEESM_EEEEEPS7_SP_SP_NSC_11hip_rocprim7__merge17predicate_wrapperIffNSC_7greaterIfEEEEEE10hipError_tPvRmT0_T1_T2_T3_T4_T5_mmT6_P12ihipStream_tbEUlT_E0_NS1_11comp_targetILNS1_3genE8ELNS1_11target_archE1030ELNS1_3gpuE2ELNS1_3repE0EEENS1_30default_config_static_selectorELNS0_4arch9wavefront6targetE0EEEvS10_.num_named_barrier, 0
	.set _ZN7rocprim17ROCPRIM_400000_NS6detail17trampoline_kernelINS0_14default_configENS1_21merge_config_selectorINS0_5tupleIJffEEENS0_10empty_typeEEEZNS1_10merge_implIS3_NS0_12zip_iteratorINS5_IJN6thrust23THRUST_200600_302600_NS6detail15normal_iteratorINSC_10device_ptrIKfEEEESI_EEEEESK_NSA_INS5_IJNSE_INSF_IfEEEESM_EEEEEPS7_SP_SP_NSC_11hip_rocprim7__merge17predicate_wrapperIffNSC_7greaterIfEEEEEE10hipError_tPvRmT0_T1_T2_T3_T4_T5_mmT6_P12ihipStream_tbEUlT_E0_NS1_11comp_targetILNS1_3genE8ELNS1_11target_archE1030ELNS1_3gpuE2ELNS1_3repE0EEENS1_30default_config_static_selectorELNS0_4arch9wavefront6targetE0EEEvS10_.private_seg_size, 0
	.set _ZN7rocprim17ROCPRIM_400000_NS6detail17trampoline_kernelINS0_14default_configENS1_21merge_config_selectorINS0_5tupleIJffEEENS0_10empty_typeEEEZNS1_10merge_implIS3_NS0_12zip_iteratorINS5_IJN6thrust23THRUST_200600_302600_NS6detail15normal_iteratorINSC_10device_ptrIKfEEEESI_EEEEESK_NSA_INS5_IJNSE_INSF_IfEEEESM_EEEEEPS7_SP_SP_NSC_11hip_rocprim7__merge17predicate_wrapperIffNSC_7greaterIfEEEEEE10hipError_tPvRmT0_T1_T2_T3_T4_T5_mmT6_P12ihipStream_tbEUlT_E0_NS1_11comp_targetILNS1_3genE8ELNS1_11target_archE1030ELNS1_3gpuE2ELNS1_3repE0EEENS1_30default_config_static_selectorELNS0_4arch9wavefront6targetE0EEEvS10_.uses_vcc, 0
	.set _ZN7rocprim17ROCPRIM_400000_NS6detail17trampoline_kernelINS0_14default_configENS1_21merge_config_selectorINS0_5tupleIJffEEENS0_10empty_typeEEEZNS1_10merge_implIS3_NS0_12zip_iteratorINS5_IJN6thrust23THRUST_200600_302600_NS6detail15normal_iteratorINSC_10device_ptrIKfEEEESI_EEEEESK_NSA_INS5_IJNSE_INSF_IfEEEESM_EEEEEPS7_SP_SP_NSC_11hip_rocprim7__merge17predicate_wrapperIffNSC_7greaterIfEEEEEE10hipError_tPvRmT0_T1_T2_T3_T4_T5_mmT6_P12ihipStream_tbEUlT_E0_NS1_11comp_targetILNS1_3genE8ELNS1_11target_archE1030ELNS1_3gpuE2ELNS1_3repE0EEENS1_30default_config_static_selectorELNS0_4arch9wavefront6targetE0EEEvS10_.uses_flat_scratch, 0
	.set _ZN7rocprim17ROCPRIM_400000_NS6detail17trampoline_kernelINS0_14default_configENS1_21merge_config_selectorINS0_5tupleIJffEEENS0_10empty_typeEEEZNS1_10merge_implIS3_NS0_12zip_iteratorINS5_IJN6thrust23THRUST_200600_302600_NS6detail15normal_iteratorINSC_10device_ptrIKfEEEESI_EEEEESK_NSA_INS5_IJNSE_INSF_IfEEEESM_EEEEEPS7_SP_SP_NSC_11hip_rocprim7__merge17predicate_wrapperIffNSC_7greaterIfEEEEEE10hipError_tPvRmT0_T1_T2_T3_T4_T5_mmT6_P12ihipStream_tbEUlT_E0_NS1_11comp_targetILNS1_3genE8ELNS1_11target_archE1030ELNS1_3gpuE2ELNS1_3repE0EEENS1_30default_config_static_selectorELNS0_4arch9wavefront6targetE0EEEvS10_.has_dyn_sized_stack, 0
	.set _ZN7rocprim17ROCPRIM_400000_NS6detail17trampoline_kernelINS0_14default_configENS1_21merge_config_selectorINS0_5tupleIJffEEENS0_10empty_typeEEEZNS1_10merge_implIS3_NS0_12zip_iteratorINS5_IJN6thrust23THRUST_200600_302600_NS6detail15normal_iteratorINSC_10device_ptrIKfEEEESI_EEEEESK_NSA_INS5_IJNSE_INSF_IfEEEESM_EEEEEPS7_SP_SP_NSC_11hip_rocprim7__merge17predicate_wrapperIffNSC_7greaterIfEEEEEE10hipError_tPvRmT0_T1_T2_T3_T4_T5_mmT6_P12ihipStream_tbEUlT_E0_NS1_11comp_targetILNS1_3genE8ELNS1_11target_archE1030ELNS1_3gpuE2ELNS1_3repE0EEENS1_30default_config_static_selectorELNS0_4arch9wavefront6targetE0EEEvS10_.has_recursion, 0
	.set _ZN7rocprim17ROCPRIM_400000_NS6detail17trampoline_kernelINS0_14default_configENS1_21merge_config_selectorINS0_5tupleIJffEEENS0_10empty_typeEEEZNS1_10merge_implIS3_NS0_12zip_iteratorINS5_IJN6thrust23THRUST_200600_302600_NS6detail15normal_iteratorINSC_10device_ptrIKfEEEESI_EEEEESK_NSA_INS5_IJNSE_INSF_IfEEEESM_EEEEEPS7_SP_SP_NSC_11hip_rocprim7__merge17predicate_wrapperIffNSC_7greaterIfEEEEEE10hipError_tPvRmT0_T1_T2_T3_T4_T5_mmT6_P12ihipStream_tbEUlT_E0_NS1_11comp_targetILNS1_3genE8ELNS1_11target_archE1030ELNS1_3gpuE2ELNS1_3repE0EEENS1_30default_config_static_selectorELNS0_4arch9wavefront6targetE0EEEvS10_.has_indirect_call, 0
	.section	.AMDGPU.csdata,"",@progbits
; Kernel info:
; codeLenInByte = 0
; TotalNumSgprs: 0
; NumVgprs: 0
; ScratchSize: 0
; MemoryBound: 0
; FloatMode: 240
; IeeeMode: 1
; LDSByteSize: 0 bytes/workgroup (compile time only)
; SGPRBlocks: 0
; VGPRBlocks: 0
; NumSGPRsForWavesPerEU: 1
; NumVGPRsForWavesPerEU: 1
; NamedBarCnt: 0
; Occupancy: 16
; WaveLimiterHint : 0
; COMPUTE_PGM_RSRC2:SCRATCH_EN: 0
; COMPUTE_PGM_RSRC2:USER_SGPR: 2
; COMPUTE_PGM_RSRC2:TRAP_HANDLER: 0
; COMPUTE_PGM_RSRC2:TGID_X_EN: 1
; COMPUTE_PGM_RSRC2:TGID_Y_EN: 0
; COMPUTE_PGM_RSRC2:TGID_Z_EN: 0
; COMPUTE_PGM_RSRC2:TIDIG_COMP_CNT: 0
	.section	.text._ZN7rocprim17ROCPRIM_400000_NS6detail17trampoline_kernelINS0_14default_configENS1_21merge_config_selectorINS0_5tupleIJyyEEENS0_10empty_typeEEEZNS1_10merge_implIS3_NS0_12zip_iteratorINS5_IJN6thrust23THRUST_200600_302600_NS6detail15normal_iteratorINSC_10device_ptrIKyEEEESI_EEEEESK_NSA_INS5_IJNSE_INSF_IyEEEESM_EEEEEPS7_SP_SP_NSC_11hip_rocprim7__merge17predicate_wrapperIyyNSC_7greaterImEEEEEE10hipError_tPvRmT0_T1_T2_T3_T4_T5_mmT6_P12ihipStream_tbEUlT_E_NS1_11comp_targetILNS1_3genE0ELNS1_11target_archE4294967295ELNS1_3gpuE0ELNS1_3repE0EEENS1_30default_config_static_selectorELNS0_4arch9wavefront6targetE0EEEvS10_,"axG",@progbits,_ZN7rocprim17ROCPRIM_400000_NS6detail17trampoline_kernelINS0_14default_configENS1_21merge_config_selectorINS0_5tupleIJyyEEENS0_10empty_typeEEEZNS1_10merge_implIS3_NS0_12zip_iteratorINS5_IJN6thrust23THRUST_200600_302600_NS6detail15normal_iteratorINSC_10device_ptrIKyEEEESI_EEEEESK_NSA_INS5_IJNSE_INSF_IyEEEESM_EEEEEPS7_SP_SP_NSC_11hip_rocprim7__merge17predicate_wrapperIyyNSC_7greaterImEEEEEE10hipError_tPvRmT0_T1_T2_T3_T4_T5_mmT6_P12ihipStream_tbEUlT_E_NS1_11comp_targetILNS1_3genE0ELNS1_11target_archE4294967295ELNS1_3gpuE0ELNS1_3repE0EEENS1_30default_config_static_selectorELNS0_4arch9wavefront6targetE0EEEvS10_,comdat
	.protected	_ZN7rocprim17ROCPRIM_400000_NS6detail17trampoline_kernelINS0_14default_configENS1_21merge_config_selectorINS0_5tupleIJyyEEENS0_10empty_typeEEEZNS1_10merge_implIS3_NS0_12zip_iteratorINS5_IJN6thrust23THRUST_200600_302600_NS6detail15normal_iteratorINSC_10device_ptrIKyEEEESI_EEEEESK_NSA_INS5_IJNSE_INSF_IyEEEESM_EEEEEPS7_SP_SP_NSC_11hip_rocprim7__merge17predicate_wrapperIyyNSC_7greaterImEEEEEE10hipError_tPvRmT0_T1_T2_T3_T4_T5_mmT6_P12ihipStream_tbEUlT_E_NS1_11comp_targetILNS1_3genE0ELNS1_11target_archE4294967295ELNS1_3gpuE0ELNS1_3repE0EEENS1_30default_config_static_selectorELNS0_4arch9wavefront6targetE0EEEvS10_ ; -- Begin function _ZN7rocprim17ROCPRIM_400000_NS6detail17trampoline_kernelINS0_14default_configENS1_21merge_config_selectorINS0_5tupleIJyyEEENS0_10empty_typeEEEZNS1_10merge_implIS3_NS0_12zip_iteratorINS5_IJN6thrust23THRUST_200600_302600_NS6detail15normal_iteratorINSC_10device_ptrIKyEEEESI_EEEEESK_NSA_INS5_IJNSE_INSF_IyEEEESM_EEEEEPS7_SP_SP_NSC_11hip_rocprim7__merge17predicate_wrapperIyyNSC_7greaterImEEEEEE10hipError_tPvRmT0_T1_T2_T3_T4_T5_mmT6_P12ihipStream_tbEUlT_E_NS1_11comp_targetILNS1_3genE0ELNS1_11target_archE4294967295ELNS1_3gpuE0ELNS1_3repE0EEENS1_30default_config_static_selectorELNS0_4arch9wavefront6targetE0EEEvS10_
	.globl	_ZN7rocprim17ROCPRIM_400000_NS6detail17trampoline_kernelINS0_14default_configENS1_21merge_config_selectorINS0_5tupleIJyyEEENS0_10empty_typeEEEZNS1_10merge_implIS3_NS0_12zip_iteratorINS5_IJN6thrust23THRUST_200600_302600_NS6detail15normal_iteratorINSC_10device_ptrIKyEEEESI_EEEEESK_NSA_INS5_IJNSE_INSF_IyEEEESM_EEEEEPS7_SP_SP_NSC_11hip_rocprim7__merge17predicate_wrapperIyyNSC_7greaterImEEEEEE10hipError_tPvRmT0_T1_T2_T3_T4_T5_mmT6_P12ihipStream_tbEUlT_E_NS1_11comp_targetILNS1_3genE0ELNS1_11target_archE4294967295ELNS1_3gpuE0ELNS1_3repE0EEENS1_30default_config_static_selectorELNS0_4arch9wavefront6targetE0EEEvS10_
	.p2align	8
	.type	_ZN7rocprim17ROCPRIM_400000_NS6detail17trampoline_kernelINS0_14default_configENS1_21merge_config_selectorINS0_5tupleIJyyEEENS0_10empty_typeEEEZNS1_10merge_implIS3_NS0_12zip_iteratorINS5_IJN6thrust23THRUST_200600_302600_NS6detail15normal_iteratorINSC_10device_ptrIKyEEEESI_EEEEESK_NSA_INS5_IJNSE_INSF_IyEEEESM_EEEEEPS7_SP_SP_NSC_11hip_rocprim7__merge17predicate_wrapperIyyNSC_7greaterImEEEEEE10hipError_tPvRmT0_T1_T2_T3_T4_T5_mmT6_P12ihipStream_tbEUlT_E_NS1_11comp_targetILNS1_3genE0ELNS1_11target_archE4294967295ELNS1_3gpuE0ELNS1_3repE0EEENS1_30default_config_static_selectorELNS0_4arch9wavefront6targetE0EEEvS10_,@function
_ZN7rocprim17ROCPRIM_400000_NS6detail17trampoline_kernelINS0_14default_configENS1_21merge_config_selectorINS0_5tupleIJyyEEENS0_10empty_typeEEEZNS1_10merge_implIS3_NS0_12zip_iteratorINS5_IJN6thrust23THRUST_200600_302600_NS6detail15normal_iteratorINSC_10device_ptrIKyEEEESI_EEEEESK_NSA_INS5_IJNSE_INSF_IyEEEESM_EEEEEPS7_SP_SP_NSC_11hip_rocprim7__merge17predicate_wrapperIyyNSC_7greaterImEEEEEE10hipError_tPvRmT0_T1_T2_T3_T4_T5_mmT6_P12ihipStream_tbEUlT_E_NS1_11comp_targetILNS1_3genE0ELNS1_11target_archE4294967295ELNS1_3gpuE0ELNS1_3repE0EEENS1_30default_config_static_selectorELNS0_4arch9wavefront6targetE0EEEvS10_: ; @_ZN7rocprim17ROCPRIM_400000_NS6detail17trampoline_kernelINS0_14default_configENS1_21merge_config_selectorINS0_5tupleIJyyEEENS0_10empty_typeEEEZNS1_10merge_implIS3_NS0_12zip_iteratorINS5_IJN6thrust23THRUST_200600_302600_NS6detail15normal_iteratorINSC_10device_ptrIKyEEEESI_EEEEESK_NSA_INS5_IJNSE_INSF_IyEEEESM_EEEEEPS7_SP_SP_NSC_11hip_rocprim7__merge17predicate_wrapperIyyNSC_7greaterImEEEEEE10hipError_tPvRmT0_T1_T2_T3_T4_T5_mmT6_P12ihipStream_tbEUlT_E_NS1_11comp_targetILNS1_3genE0ELNS1_11target_archE4294967295ELNS1_3gpuE0ELNS1_3repE0EEENS1_30default_config_static_selectorELNS0_4arch9wavefront6targetE0EEEvS10_
; %bb.0:
	s_clause 0x2
	s_load_b32 s4, s[0:1], 0x38
	s_load_b32 s2, s[0:1], 0x4c
	s_load_b128 s[8:11], s[0:1], 0x28
	s_getreg_b32 s7, hwreg(HW_REG_IB_STS2, 6, 4)
	s_wait_kmcnt 0x0
	s_cvt_f32_u32 s3, s4
	s_and_b32 s6, s2, 0xffff
	s_and_b32 s2, ttmp6, 15
	s_delay_alu instid0(SALU_CYCLE_1) | instskip(SKIP_1) | instid1(SALU_CYCLE_1)
	v_rcp_iflag_f32_e32 v1, s3
	s_bfe_u32 s3, ttmp6, 0x4000c
	s_add_co_i32 s3, s3, 1
	s_delay_alu instid0(SALU_CYCLE_1) | instskip(NEXT) | instid1(SALU_CYCLE_1)
	s_mul_i32 s3, ttmp9, s3
	s_add_co_i32 s2, s2, s3
	v_nop
	s_delay_alu instid0(TRANS32_DEP_1)
	v_readfirstlane_b32 s5, v1
	s_cmp_eq_u32 s7, 0
	s_cselect_b32 s7, ttmp9, s2
	s_sub_co_i32 s12, 0, s4
	s_mul_f32 s5, s5, 0x4f7ffffe
	s_add_nc_u64 s[2:3], s[10:11], s[8:9]
	v_mad_u32 v6, s7, s6, v0
	s_add_co_i32 s13, s4, s2
	s_cvt_u32_f32 s5, s5
	s_add_co_i32 s13, s13, -1
	s_delay_alu instid0(SALU_CYCLE_2) | instskip(NEXT) | instid1(SALU_CYCLE_1)
	s_mul_i32 s12, s12, s5
	s_mul_hi_u32 s12, s5, s12
	s_delay_alu instid0(SALU_CYCLE_1) | instskip(NEXT) | instid1(SALU_CYCLE_1)
	s_add_co_i32 s5, s5, s12
	s_mul_hi_u32 s5, s13, s5
	s_delay_alu instid0(SALU_CYCLE_1) | instskip(SKIP_2) | instid1(SALU_CYCLE_1)
	s_mul_i32 s12, s5, s4
	s_add_co_i32 s7, s5, 1
	s_sub_co_i32 s6, s13, s12
	s_sub_co_i32 s12, s6, s4
	s_cmp_ge_u32 s6, s4
	s_cselect_b32 s5, s7, s5
	s_cselect_b32 s6, s12, s6
	s_add_co_i32 s7, s5, 1
	s_cmp_ge_u32 s6, s4
	s_cselect_b32 s5, s7, s5
	s_delay_alu instid0(SALU_CYCLE_1)
	v_cmp_ge_u32_e32 vcc_lo, s5, v6
	s_and_saveexec_b32 s5, vcc_lo
	s_cbranch_execz .LBB353_6
; %bb.1:
	v_mul_lo_u32 v0, v6, s4
	v_mov_b32_e32 v1, 0
	s_load_b128 s[4:7], s[0:1], 0x0
	s_delay_alu instid0(VALU_DEP_1) | instskip(SKIP_1) | instid1(VALU_DEP_1)
	v_min_u64 v[4:5], v[0:1], s[2:3]
	s_mov_b32 s2, exec_lo
	v_max_u64 v[0:1], v[4:5], s[10:11]
	v_min_u64 v[2:3], v[4:5], s[8:9]
	s_delay_alu instid0(VALU_DEP_2) | instskip(NEXT) | instid1(VALU_DEP_1)
	v_sub_nc_u64_e64 v[0:1], v[0:1], s[10:11]
	v_cmpx_lt_u64_e64 v[0:1], v[2:3]
	s_cbranch_execz .LBB353_5
; %bb.2:
	s_wait_xcnt 0x0
	s_load_b64 s[0:1], s[0:1], 0x18
	s_wait_kmcnt 0x0
	v_lshl_add_u64 v[4:5], v[4:5], 3, s[0:1]
	s_mov_b32 s0, 0
.LBB353_3:                              ; =>This Inner Loop Header: Depth=1
	v_add_nc_u64_e32 v[8:9], v[2:3], v[0:1]
	s_delay_alu instid0(VALU_DEP_1) | instskip(NEXT) | instid1(VALU_DEP_1)
	v_lshrrev_b64 v[8:9], 1, v[8:9]
	v_lshlrev_b64_e32 v[10:11], 3, v[8:9]
	s_delay_alu instid0(VALU_DEP_1) | instskip(NEXT) | instid1(VALU_DEP_2)
	v_xor_b32_e32 v13, -1, v11
	v_xor_b32_e32 v12, -8, v10
	v_add_nc_u64_e32 v[10:11], s[6:7], v[10:11]
	s_delay_alu instid0(VALU_DEP_2)
	v_add_nc_u64_e32 v[12:13], v[4:5], v[12:13]
	global_load_b64 v[14:15], v[10:11], off
	global_load_b64 v[16:17], v[12:13], off
	s_wait_xcnt 0x1
	v_add_nc_u64_e32 v[10:11], 1, v[8:9]
	s_wait_loadcnt 0x0
	v_cmp_gt_u64_e32 vcc_lo, v[16:17], v[14:15]
	v_dual_cndmask_b32 v3, v3, v9 :: v_dual_cndmask_b32 v2, v2, v8
	s_delay_alu instid0(VALU_DEP_3) | instskip(NEXT) | instid1(VALU_DEP_1)
	v_dual_cndmask_b32 v1, v11, v1 :: v_dual_cndmask_b32 v0, v10, v0
	v_cmp_ge_u64_e32 vcc_lo, v[0:1], v[2:3]
	s_or_b32 s0, vcc_lo, s0
	s_delay_alu instid0(SALU_CYCLE_1)
	s_and_not1_b32 exec_lo, exec_lo, s0
	s_cbranch_execnz .LBB353_3
; %bb.4:
	s_or_b32 exec_lo, exec_lo, s0
.LBB353_5:
	s_delay_alu instid0(SALU_CYCLE_1)
	s_or_b32 exec_lo, exec_lo, s2
	s_wait_kmcnt 0x0
	global_store_b32 v6, v0, s[4:5] scale_offset
.LBB353_6:
	s_endpgm
	.section	.rodata,"a",@progbits
	.p2align	6, 0x0
	.amdhsa_kernel _ZN7rocprim17ROCPRIM_400000_NS6detail17trampoline_kernelINS0_14default_configENS1_21merge_config_selectorINS0_5tupleIJyyEEENS0_10empty_typeEEEZNS1_10merge_implIS3_NS0_12zip_iteratorINS5_IJN6thrust23THRUST_200600_302600_NS6detail15normal_iteratorINSC_10device_ptrIKyEEEESI_EEEEESK_NSA_INS5_IJNSE_INSF_IyEEEESM_EEEEEPS7_SP_SP_NSC_11hip_rocprim7__merge17predicate_wrapperIyyNSC_7greaterImEEEEEE10hipError_tPvRmT0_T1_T2_T3_T4_T5_mmT6_P12ihipStream_tbEUlT_E_NS1_11comp_targetILNS1_3genE0ELNS1_11target_archE4294967295ELNS1_3gpuE0ELNS1_3repE0EEENS1_30default_config_static_selectorELNS0_4arch9wavefront6targetE0EEEvS10_
		.amdhsa_group_segment_fixed_size 0
		.amdhsa_private_segment_fixed_size 0
		.amdhsa_kernarg_size 320
		.amdhsa_user_sgpr_count 2
		.amdhsa_user_sgpr_dispatch_ptr 0
		.amdhsa_user_sgpr_queue_ptr 0
		.amdhsa_user_sgpr_kernarg_segment_ptr 1
		.amdhsa_user_sgpr_dispatch_id 0
		.amdhsa_user_sgpr_kernarg_preload_length 0
		.amdhsa_user_sgpr_kernarg_preload_offset 0
		.amdhsa_user_sgpr_private_segment_size 0
		.amdhsa_wavefront_size32 1
		.amdhsa_uses_dynamic_stack 0
		.amdhsa_enable_private_segment 0
		.amdhsa_system_sgpr_workgroup_id_x 1
		.amdhsa_system_sgpr_workgroup_id_y 0
		.amdhsa_system_sgpr_workgroup_id_z 0
		.amdhsa_system_sgpr_workgroup_info 0
		.amdhsa_system_vgpr_workitem_id 0
		.amdhsa_next_free_vgpr 18
		.amdhsa_next_free_sgpr 14
		.amdhsa_named_barrier_count 0
		.amdhsa_reserve_vcc 1
		.amdhsa_float_round_mode_32 0
		.amdhsa_float_round_mode_16_64 0
		.amdhsa_float_denorm_mode_32 3
		.amdhsa_float_denorm_mode_16_64 3
		.amdhsa_fp16_overflow 0
		.amdhsa_memory_ordered 1
		.amdhsa_forward_progress 1
		.amdhsa_inst_pref_size 4
		.amdhsa_round_robin_scheduling 0
		.amdhsa_exception_fp_ieee_invalid_op 0
		.amdhsa_exception_fp_denorm_src 0
		.amdhsa_exception_fp_ieee_div_zero 0
		.amdhsa_exception_fp_ieee_overflow 0
		.amdhsa_exception_fp_ieee_underflow 0
		.amdhsa_exception_fp_ieee_inexact 0
		.amdhsa_exception_int_div_zero 0
	.end_amdhsa_kernel
	.section	.text._ZN7rocprim17ROCPRIM_400000_NS6detail17trampoline_kernelINS0_14default_configENS1_21merge_config_selectorINS0_5tupleIJyyEEENS0_10empty_typeEEEZNS1_10merge_implIS3_NS0_12zip_iteratorINS5_IJN6thrust23THRUST_200600_302600_NS6detail15normal_iteratorINSC_10device_ptrIKyEEEESI_EEEEESK_NSA_INS5_IJNSE_INSF_IyEEEESM_EEEEEPS7_SP_SP_NSC_11hip_rocprim7__merge17predicate_wrapperIyyNSC_7greaterImEEEEEE10hipError_tPvRmT0_T1_T2_T3_T4_T5_mmT6_P12ihipStream_tbEUlT_E_NS1_11comp_targetILNS1_3genE0ELNS1_11target_archE4294967295ELNS1_3gpuE0ELNS1_3repE0EEENS1_30default_config_static_selectorELNS0_4arch9wavefront6targetE0EEEvS10_,"axG",@progbits,_ZN7rocprim17ROCPRIM_400000_NS6detail17trampoline_kernelINS0_14default_configENS1_21merge_config_selectorINS0_5tupleIJyyEEENS0_10empty_typeEEEZNS1_10merge_implIS3_NS0_12zip_iteratorINS5_IJN6thrust23THRUST_200600_302600_NS6detail15normal_iteratorINSC_10device_ptrIKyEEEESI_EEEEESK_NSA_INS5_IJNSE_INSF_IyEEEESM_EEEEEPS7_SP_SP_NSC_11hip_rocprim7__merge17predicate_wrapperIyyNSC_7greaterImEEEEEE10hipError_tPvRmT0_T1_T2_T3_T4_T5_mmT6_P12ihipStream_tbEUlT_E_NS1_11comp_targetILNS1_3genE0ELNS1_11target_archE4294967295ELNS1_3gpuE0ELNS1_3repE0EEENS1_30default_config_static_selectorELNS0_4arch9wavefront6targetE0EEEvS10_,comdat
.Lfunc_end353:
	.size	_ZN7rocprim17ROCPRIM_400000_NS6detail17trampoline_kernelINS0_14default_configENS1_21merge_config_selectorINS0_5tupleIJyyEEENS0_10empty_typeEEEZNS1_10merge_implIS3_NS0_12zip_iteratorINS5_IJN6thrust23THRUST_200600_302600_NS6detail15normal_iteratorINSC_10device_ptrIKyEEEESI_EEEEESK_NSA_INS5_IJNSE_INSF_IyEEEESM_EEEEEPS7_SP_SP_NSC_11hip_rocprim7__merge17predicate_wrapperIyyNSC_7greaterImEEEEEE10hipError_tPvRmT0_T1_T2_T3_T4_T5_mmT6_P12ihipStream_tbEUlT_E_NS1_11comp_targetILNS1_3genE0ELNS1_11target_archE4294967295ELNS1_3gpuE0ELNS1_3repE0EEENS1_30default_config_static_selectorELNS0_4arch9wavefront6targetE0EEEvS10_, .Lfunc_end353-_ZN7rocprim17ROCPRIM_400000_NS6detail17trampoline_kernelINS0_14default_configENS1_21merge_config_selectorINS0_5tupleIJyyEEENS0_10empty_typeEEEZNS1_10merge_implIS3_NS0_12zip_iteratorINS5_IJN6thrust23THRUST_200600_302600_NS6detail15normal_iteratorINSC_10device_ptrIKyEEEESI_EEEEESK_NSA_INS5_IJNSE_INSF_IyEEEESM_EEEEEPS7_SP_SP_NSC_11hip_rocprim7__merge17predicate_wrapperIyyNSC_7greaterImEEEEEE10hipError_tPvRmT0_T1_T2_T3_T4_T5_mmT6_P12ihipStream_tbEUlT_E_NS1_11comp_targetILNS1_3genE0ELNS1_11target_archE4294967295ELNS1_3gpuE0ELNS1_3repE0EEENS1_30default_config_static_selectorELNS0_4arch9wavefront6targetE0EEEvS10_
                                        ; -- End function
	.set _ZN7rocprim17ROCPRIM_400000_NS6detail17trampoline_kernelINS0_14default_configENS1_21merge_config_selectorINS0_5tupleIJyyEEENS0_10empty_typeEEEZNS1_10merge_implIS3_NS0_12zip_iteratorINS5_IJN6thrust23THRUST_200600_302600_NS6detail15normal_iteratorINSC_10device_ptrIKyEEEESI_EEEEESK_NSA_INS5_IJNSE_INSF_IyEEEESM_EEEEEPS7_SP_SP_NSC_11hip_rocprim7__merge17predicate_wrapperIyyNSC_7greaterImEEEEEE10hipError_tPvRmT0_T1_T2_T3_T4_T5_mmT6_P12ihipStream_tbEUlT_E_NS1_11comp_targetILNS1_3genE0ELNS1_11target_archE4294967295ELNS1_3gpuE0ELNS1_3repE0EEENS1_30default_config_static_selectorELNS0_4arch9wavefront6targetE0EEEvS10_.num_vgpr, 18
	.set _ZN7rocprim17ROCPRIM_400000_NS6detail17trampoline_kernelINS0_14default_configENS1_21merge_config_selectorINS0_5tupleIJyyEEENS0_10empty_typeEEEZNS1_10merge_implIS3_NS0_12zip_iteratorINS5_IJN6thrust23THRUST_200600_302600_NS6detail15normal_iteratorINSC_10device_ptrIKyEEEESI_EEEEESK_NSA_INS5_IJNSE_INSF_IyEEEESM_EEEEEPS7_SP_SP_NSC_11hip_rocprim7__merge17predicate_wrapperIyyNSC_7greaterImEEEEEE10hipError_tPvRmT0_T1_T2_T3_T4_T5_mmT6_P12ihipStream_tbEUlT_E_NS1_11comp_targetILNS1_3genE0ELNS1_11target_archE4294967295ELNS1_3gpuE0ELNS1_3repE0EEENS1_30default_config_static_selectorELNS0_4arch9wavefront6targetE0EEEvS10_.num_agpr, 0
	.set _ZN7rocprim17ROCPRIM_400000_NS6detail17trampoline_kernelINS0_14default_configENS1_21merge_config_selectorINS0_5tupleIJyyEEENS0_10empty_typeEEEZNS1_10merge_implIS3_NS0_12zip_iteratorINS5_IJN6thrust23THRUST_200600_302600_NS6detail15normal_iteratorINSC_10device_ptrIKyEEEESI_EEEEESK_NSA_INS5_IJNSE_INSF_IyEEEESM_EEEEEPS7_SP_SP_NSC_11hip_rocprim7__merge17predicate_wrapperIyyNSC_7greaterImEEEEEE10hipError_tPvRmT0_T1_T2_T3_T4_T5_mmT6_P12ihipStream_tbEUlT_E_NS1_11comp_targetILNS1_3genE0ELNS1_11target_archE4294967295ELNS1_3gpuE0ELNS1_3repE0EEENS1_30default_config_static_selectorELNS0_4arch9wavefront6targetE0EEEvS10_.numbered_sgpr, 14
	.set _ZN7rocprim17ROCPRIM_400000_NS6detail17trampoline_kernelINS0_14default_configENS1_21merge_config_selectorINS0_5tupleIJyyEEENS0_10empty_typeEEEZNS1_10merge_implIS3_NS0_12zip_iteratorINS5_IJN6thrust23THRUST_200600_302600_NS6detail15normal_iteratorINSC_10device_ptrIKyEEEESI_EEEEESK_NSA_INS5_IJNSE_INSF_IyEEEESM_EEEEEPS7_SP_SP_NSC_11hip_rocprim7__merge17predicate_wrapperIyyNSC_7greaterImEEEEEE10hipError_tPvRmT0_T1_T2_T3_T4_T5_mmT6_P12ihipStream_tbEUlT_E_NS1_11comp_targetILNS1_3genE0ELNS1_11target_archE4294967295ELNS1_3gpuE0ELNS1_3repE0EEENS1_30default_config_static_selectorELNS0_4arch9wavefront6targetE0EEEvS10_.num_named_barrier, 0
	.set _ZN7rocprim17ROCPRIM_400000_NS6detail17trampoline_kernelINS0_14default_configENS1_21merge_config_selectorINS0_5tupleIJyyEEENS0_10empty_typeEEEZNS1_10merge_implIS3_NS0_12zip_iteratorINS5_IJN6thrust23THRUST_200600_302600_NS6detail15normal_iteratorINSC_10device_ptrIKyEEEESI_EEEEESK_NSA_INS5_IJNSE_INSF_IyEEEESM_EEEEEPS7_SP_SP_NSC_11hip_rocprim7__merge17predicate_wrapperIyyNSC_7greaterImEEEEEE10hipError_tPvRmT0_T1_T2_T3_T4_T5_mmT6_P12ihipStream_tbEUlT_E_NS1_11comp_targetILNS1_3genE0ELNS1_11target_archE4294967295ELNS1_3gpuE0ELNS1_3repE0EEENS1_30default_config_static_selectorELNS0_4arch9wavefront6targetE0EEEvS10_.private_seg_size, 0
	.set _ZN7rocprim17ROCPRIM_400000_NS6detail17trampoline_kernelINS0_14default_configENS1_21merge_config_selectorINS0_5tupleIJyyEEENS0_10empty_typeEEEZNS1_10merge_implIS3_NS0_12zip_iteratorINS5_IJN6thrust23THRUST_200600_302600_NS6detail15normal_iteratorINSC_10device_ptrIKyEEEESI_EEEEESK_NSA_INS5_IJNSE_INSF_IyEEEESM_EEEEEPS7_SP_SP_NSC_11hip_rocprim7__merge17predicate_wrapperIyyNSC_7greaterImEEEEEE10hipError_tPvRmT0_T1_T2_T3_T4_T5_mmT6_P12ihipStream_tbEUlT_E_NS1_11comp_targetILNS1_3genE0ELNS1_11target_archE4294967295ELNS1_3gpuE0ELNS1_3repE0EEENS1_30default_config_static_selectorELNS0_4arch9wavefront6targetE0EEEvS10_.uses_vcc, 1
	.set _ZN7rocprim17ROCPRIM_400000_NS6detail17trampoline_kernelINS0_14default_configENS1_21merge_config_selectorINS0_5tupleIJyyEEENS0_10empty_typeEEEZNS1_10merge_implIS3_NS0_12zip_iteratorINS5_IJN6thrust23THRUST_200600_302600_NS6detail15normal_iteratorINSC_10device_ptrIKyEEEESI_EEEEESK_NSA_INS5_IJNSE_INSF_IyEEEESM_EEEEEPS7_SP_SP_NSC_11hip_rocprim7__merge17predicate_wrapperIyyNSC_7greaterImEEEEEE10hipError_tPvRmT0_T1_T2_T3_T4_T5_mmT6_P12ihipStream_tbEUlT_E_NS1_11comp_targetILNS1_3genE0ELNS1_11target_archE4294967295ELNS1_3gpuE0ELNS1_3repE0EEENS1_30default_config_static_selectorELNS0_4arch9wavefront6targetE0EEEvS10_.uses_flat_scratch, 0
	.set _ZN7rocprim17ROCPRIM_400000_NS6detail17trampoline_kernelINS0_14default_configENS1_21merge_config_selectorINS0_5tupleIJyyEEENS0_10empty_typeEEEZNS1_10merge_implIS3_NS0_12zip_iteratorINS5_IJN6thrust23THRUST_200600_302600_NS6detail15normal_iteratorINSC_10device_ptrIKyEEEESI_EEEEESK_NSA_INS5_IJNSE_INSF_IyEEEESM_EEEEEPS7_SP_SP_NSC_11hip_rocprim7__merge17predicate_wrapperIyyNSC_7greaterImEEEEEE10hipError_tPvRmT0_T1_T2_T3_T4_T5_mmT6_P12ihipStream_tbEUlT_E_NS1_11comp_targetILNS1_3genE0ELNS1_11target_archE4294967295ELNS1_3gpuE0ELNS1_3repE0EEENS1_30default_config_static_selectorELNS0_4arch9wavefront6targetE0EEEvS10_.has_dyn_sized_stack, 0
	.set _ZN7rocprim17ROCPRIM_400000_NS6detail17trampoline_kernelINS0_14default_configENS1_21merge_config_selectorINS0_5tupleIJyyEEENS0_10empty_typeEEEZNS1_10merge_implIS3_NS0_12zip_iteratorINS5_IJN6thrust23THRUST_200600_302600_NS6detail15normal_iteratorINSC_10device_ptrIKyEEEESI_EEEEESK_NSA_INS5_IJNSE_INSF_IyEEEESM_EEEEEPS7_SP_SP_NSC_11hip_rocprim7__merge17predicate_wrapperIyyNSC_7greaterImEEEEEE10hipError_tPvRmT0_T1_T2_T3_T4_T5_mmT6_P12ihipStream_tbEUlT_E_NS1_11comp_targetILNS1_3genE0ELNS1_11target_archE4294967295ELNS1_3gpuE0ELNS1_3repE0EEENS1_30default_config_static_selectorELNS0_4arch9wavefront6targetE0EEEvS10_.has_recursion, 0
	.set _ZN7rocprim17ROCPRIM_400000_NS6detail17trampoline_kernelINS0_14default_configENS1_21merge_config_selectorINS0_5tupleIJyyEEENS0_10empty_typeEEEZNS1_10merge_implIS3_NS0_12zip_iteratorINS5_IJN6thrust23THRUST_200600_302600_NS6detail15normal_iteratorINSC_10device_ptrIKyEEEESI_EEEEESK_NSA_INS5_IJNSE_INSF_IyEEEESM_EEEEEPS7_SP_SP_NSC_11hip_rocprim7__merge17predicate_wrapperIyyNSC_7greaterImEEEEEE10hipError_tPvRmT0_T1_T2_T3_T4_T5_mmT6_P12ihipStream_tbEUlT_E_NS1_11comp_targetILNS1_3genE0ELNS1_11target_archE4294967295ELNS1_3gpuE0ELNS1_3repE0EEENS1_30default_config_static_selectorELNS0_4arch9wavefront6targetE0EEEvS10_.has_indirect_call, 0
	.section	.AMDGPU.csdata,"",@progbits
; Kernel info:
; codeLenInByte = 484
; TotalNumSgprs: 16
; NumVgprs: 18
; ScratchSize: 0
; MemoryBound: 0
; FloatMode: 240
; IeeeMode: 1
; LDSByteSize: 0 bytes/workgroup (compile time only)
; SGPRBlocks: 0
; VGPRBlocks: 1
; NumSGPRsForWavesPerEU: 16
; NumVGPRsForWavesPerEU: 18
; NamedBarCnt: 0
; Occupancy: 16
; WaveLimiterHint : 0
; COMPUTE_PGM_RSRC2:SCRATCH_EN: 0
; COMPUTE_PGM_RSRC2:USER_SGPR: 2
; COMPUTE_PGM_RSRC2:TRAP_HANDLER: 0
; COMPUTE_PGM_RSRC2:TGID_X_EN: 1
; COMPUTE_PGM_RSRC2:TGID_Y_EN: 0
; COMPUTE_PGM_RSRC2:TGID_Z_EN: 0
; COMPUTE_PGM_RSRC2:TIDIG_COMP_CNT: 0
	.section	.text._ZN7rocprim17ROCPRIM_400000_NS6detail17trampoline_kernelINS0_14default_configENS1_21merge_config_selectorINS0_5tupleIJyyEEENS0_10empty_typeEEEZNS1_10merge_implIS3_NS0_12zip_iteratorINS5_IJN6thrust23THRUST_200600_302600_NS6detail15normal_iteratorINSC_10device_ptrIKyEEEESI_EEEEESK_NSA_INS5_IJNSE_INSF_IyEEEESM_EEEEEPS7_SP_SP_NSC_11hip_rocprim7__merge17predicate_wrapperIyyNSC_7greaterImEEEEEE10hipError_tPvRmT0_T1_T2_T3_T4_T5_mmT6_P12ihipStream_tbEUlT_E_NS1_11comp_targetILNS1_3genE5ELNS1_11target_archE942ELNS1_3gpuE9ELNS1_3repE0EEENS1_30default_config_static_selectorELNS0_4arch9wavefront6targetE0EEEvS10_,"axG",@progbits,_ZN7rocprim17ROCPRIM_400000_NS6detail17trampoline_kernelINS0_14default_configENS1_21merge_config_selectorINS0_5tupleIJyyEEENS0_10empty_typeEEEZNS1_10merge_implIS3_NS0_12zip_iteratorINS5_IJN6thrust23THRUST_200600_302600_NS6detail15normal_iteratorINSC_10device_ptrIKyEEEESI_EEEEESK_NSA_INS5_IJNSE_INSF_IyEEEESM_EEEEEPS7_SP_SP_NSC_11hip_rocprim7__merge17predicate_wrapperIyyNSC_7greaterImEEEEEE10hipError_tPvRmT0_T1_T2_T3_T4_T5_mmT6_P12ihipStream_tbEUlT_E_NS1_11comp_targetILNS1_3genE5ELNS1_11target_archE942ELNS1_3gpuE9ELNS1_3repE0EEENS1_30default_config_static_selectorELNS0_4arch9wavefront6targetE0EEEvS10_,comdat
	.protected	_ZN7rocprim17ROCPRIM_400000_NS6detail17trampoline_kernelINS0_14default_configENS1_21merge_config_selectorINS0_5tupleIJyyEEENS0_10empty_typeEEEZNS1_10merge_implIS3_NS0_12zip_iteratorINS5_IJN6thrust23THRUST_200600_302600_NS6detail15normal_iteratorINSC_10device_ptrIKyEEEESI_EEEEESK_NSA_INS5_IJNSE_INSF_IyEEEESM_EEEEEPS7_SP_SP_NSC_11hip_rocprim7__merge17predicate_wrapperIyyNSC_7greaterImEEEEEE10hipError_tPvRmT0_T1_T2_T3_T4_T5_mmT6_P12ihipStream_tbEUlT_E_NS1_11comp_targetILNS1_3genE5ELNS1_11target_archE942ELNS1_3gpuE9ELNS1_3repE0EEENS1_30default_config_static_selectorELNS0_4arch9wavefront6targetE0EEEvS10_ ; -- Begin function _ZN7rocprim17ROCPRIM_400000_NS6detail17trampoline_kernelINS0_14default_configENS1_21merge_config_selectorINS0_5tupleIJyyEEENS0_10empty_typeEEEZNS1_10merge_implIS3_NS0_12zip_iteratorINS5_IJN6thrust23THRUST_200600_302600_NS6detail15normal_iteratorINSC_10device_ptrIKyEEEESI_EEEEESK_NSA_INS5_IJNSE_INSF_IyEEEESM_EEEEEPS7_SP_SP_NSC_11hip_rocprim7__merge17predicate_wrapperIyyNSC_7greaterImEEEEEE10hipError_tPvRmT0_T1_T2_T3_T4_T5_mmT6_P12ihipStream_tbEUlT_E_NS1_11comp_targetILNS1_3genE5ELNS1_11target_archE942ELNS1_3gpuE9ELNS1_3repE0EEENS1_30default_config_static_selectorELNS0_4arch9wavefront6targetE0EEEvS10_
	.globl	_ZN7rocprim17ROCPRIM_400000_NS6detail17trampoline_kernelINS0_14default_configENS1_21merge_config_selectorINS0_5tupleIJyyEEENS0_10empty_typeEEEZNS1_10merge_implIS3_NS0_12zip_iteratorINS5_IJN6thrust23THRUST_200600_302600_NS6detail15normal_iteratorINSC_10device_ptrIKyEEEESI_EEEEESK_NSA_INS5_IJNSE_INSF_IyEEEESM_EEEEEPS7_SP_SP_NSC_11hip_rocprim7__merge17predicate_wrapperIyyNSC_7greaterImEEEEEE10hipError_tPvRmT0_T1_T2_T3_T4_T5_mmT6_P12ihipStream_tbEUlT_E_NS1_11comp_targetILNS1_3genE5ELNS1_11target_archE942ELNS1_3gpuE9ELNS1_3repE0EEENS1_30default_config_static_selectorELNS0_4arch9wavefront6targetE0EEEvS10_
	.p2align	8
	.type	_ZN7rocprim17ROCPRIM_400000_NS6detail17trampoline_kernelINS0_14default_configENS1_21merge_config_selectorINS0_5tupleIJyyEEENS0_10empty_typeEEEZNS1_10merge_implIS3_NS0_12zip_iteratorINS5_IJN6thrust23THRUST_200600_302600_NS6detail15normal_iteratorINSC_10device_ptrIKyEEEESI_EEEEESK_NSA_INS5_IJNSE_INSF_IyEEEESM_EEEEEPS7_SP_SP_NSC_11hip_rocprim7__merge17predicate_wrapperIyyNSC_7greaterImEEEEEE10hipError_tPvRmT0_T1_T2_T3_T4_T5_mmT6_P12ihipStream_tbEUlT_E_NS1_11comp_targetILNS1_3genE5ELNS1_11target_archE942ELNS1_3gpuE9ELNS1_3repE0EEENS1_30default_config_static_selectorELNS0_4arch9wavefront6targetE0EEEvS10_,@function
_ZN7rocprim17ROCPRIM_400000_NS6detail17trampoline_kernelINS0_14default_configENS1_21merge_config_selectorINS0_5tupleIJyyEEENS0_10empty_typeEEEZNS1_10merge_implIS3_NS0_12zip_iteratorINS5_IJN6thrust23THRUST_200600_302600_NS6detail15normal_iteratorINSC_10device_ptrIKyEEEESI_EEEEESK_NSA_INS5_IJNSE_INSF_IyEEEESM_EEEEEPS7_SP_SP_NSC_11hip_rocprim7__merge17predicate_wrapperIyyNSC_7greaterImEEEEEE10hipError_tPvRmT0_T1_T2_T3_T4_T5_mmT6_P12ihipStream_tbEUlT_E_NS1_11comp_targetILNS1_3genE5ELNS1_11target_archE942ELNS1_3gpuE9ELNS1_3repE0EEENS1_30default_config_static_selectorELNS0_4arch9wavefront6targetE0EEEvS10_: ; @_ZN7rocprim17ROCPRIM_400000_NS6detail17trampoline_kernelINS0_14default_configENS1_21merge_config_selectorINS0_5tupleIJyyEEENS0_10empty_typeEEEZNS1_10merge_implIS3_NS0_12zip_iteratorINS5_IJN6thrust23THRUST_200600_302600_NS6detail15normal_iteratorINSC_10device_ptrIKyEEEESI_EEEEESK_NSA_INS5_IJNSE_INSF_IyEEEESM_EEEEEPS7_SP_SP_NSC_11hip_rocprim7__merge17predicate_wrapperIyyNSC_7greaterImEEEEEE10hipError_tPvRmT0_T1_T2_T3_T4_T5_mmT6_P12ihipStream_tbEUlT_E_NS1_11comp_targetILNS1_3genE5ELNS1_11target_archE942ELNS1_3gpuE9ELNS1_3repE0EEENS1_30default_config_static_selectorELNS0_4arch9wavefront6targetE0EEEvS10_
; %bb.0:
	.section	.rodata,"a",@progbits
	.p2align	6, 0x0
	.amdhsa_kernel _ZN7rocprim17ROCPRIM_400000_NS6detail17trampoline_kernelINS0_14default_configENS1_21merge_config_selectorINS0_5tupleIJyyEEENS0_10empty_typeEEEZNS1_10merge_implIS3_NS0_12zip_iteratorINS5_IJN6thrust23THRUST_200600_302600_NS6detail15normal_iteratorINSC_10device_ptrIKyEEEESI_EEEEESK_NSA_INS5_IJNSE_INSF_IyEEEESM_EEEEEPS7_SP_SP_NSC_11hip_rocprim7__merge17predicate_wrapperIyyNSC_7greaterImEEEEEE10hipError_tPvRmT0_T1_T2_T3_T4_T5_mmT6_P12ihipStream_tbEUlT_E_NS1_11comp_targetILNS1_3genE5ELNS1_11target_archE942ELNS1_3gpuE9ELNS1_3repE0EEENS1_30default_config_static_selectorELNS0_4arch9wavefront6targetE0EEEvS10_
		.amdhsa_group_segment_fixed_size 0
		.amdhsa_private_segment_fixed_size 0
		.amdhsa_kernarg_size 64
		.amdhsa_user_sgpr_count 2
		.amdhsa_user_sgpr_dispatch_ptr 0
		.amdhsa_user_sgpr_queue_ptr 0
		.amdhsa_user_sgpr_kernarg_segment_ptr 1
		.amdhsa_user_sgpr_dispatch_id 0
		.amdhsa_user_sgpr_kernarg_preload_length 0
		.amdhsa_user_sgpr_kernarg_preload_offset 0
		.amdhsa_user_sgpr_private_segment_size 0
		.amdhsa_wavefront_size32 1
		.amdhsa_uses_dynamic_stack 0
		.amdhsa_enable_private_segment 0
		.amdhsa_system_sgpr_workgroup_id_x 1
		.amdhsa_system_sgpr_workgroup_id_y 0
		.amdhsa_system_sgpr_workgroup_id_z 0
		.amdhsa_system_sgpr_workgroup_info 0
		.amdhsa_system_vgpr_workitem_id 0
		.amdhsa_next_free_vgpr 1
		.amdhsa_next_free_sgpr 1
		.amdhsa_named_barrier_count 0
		.amdhsa_reserve_vcc 0
		.amdhsa_float_round_mode_32 0
		.amdhsa_float_round_mode_16_64 0
		.amdhsa_float_denorm_mode_32 3
		.amdhsa_float_denorm_mode_16_64 3
		.amdhsa_fp16_overflow 0
		.amdhsa_memory_ordered 1
		.amdhsa_forward_progress 1
		.amdhsa_inst_pref_size 0
		.amdhsa_round_robin_scheduling 0
		.amdhsa_exception_fp_ieee_invalid_op 0
		.amdhsa_exception_fp_denorm_src 0
		.amdhsa_exception_fp_ieee_div_zero 0
		.amdhsa_exception_fp_ieee_overflow 0
		.amdhsa_exception_fp_ieee_underflow 0
		.amdhsa_exception_fp_ieee_inexact 0
		.amdhsa_exception_int_div_zero 0
	.end_amdhsa_kernel
	.section	.text._ZN7rocprim17ROCPRIM_400000_NS6detail17trampoline_kernelINS0_14default_configENS1_21merge_config_selectorINS0_5tupleIJyyEEENS0_10empty_typeEEEZNS1_10merge_implIS3_NS0_12zip_iteratorINS5_IJN6thrust23THRUST_200600_302600_NS6detail15normal_iteratorINSC_10device_ptrIKyEEEESI_EEEEESK_NSA_INS5_IJNSE_INSF_IyEEEESM_EEEEEPS7_SP_SP_NSC_11hip_rocprim7__merge17predicate_wrapperIyyNSC_7greaterImEEEEEE10hipError_tPvRmT0_T1_T2_T3_T4_T5_mmT6_P12ihipStream_tbEUlT_E_NS1_11comp_targetILNS1_3genE5ELNS1_11target_archE942ELNS1_3gpuE9ELNS1_3repE0EEENS1_30default_config_static_selectorELNS0_4arch9wavefront6targetE0EEEvS10_,"axG",@progbits,_ZN7rocprim17ROCPRIM_400000_NS6detail17trampoline_kernelINS0_14default_configENS1_21merge_config_selectorINS0_5tupleIJyyEEENS0_10empty_typeEEEZNS1_10merge_implIS3_NS0_12zip_iteratorINS5_IJN6thrust23THRUST_200600_302600_NS6detail15normal_iteratorINSC_10device_ptrIKyEEEESI_EEEEESK_NSA_INS5_IJNSE_INSF_IyEEEESM_EEEEEPS7_SP_SP_NSC_11hip_rocprim7__merge17predicate_wrapperIyyNSC_7greaterImEEEEEE10hipError_tPvRmT0_T1_T2_T3_T4_T5_mmT6_P12ihipStream_tbEUlT_E_NS1_11comp_targetILNS1_3genE5ELNS1_11target_archE942ELNS1_3gpuE9ELNS1_3repE0EEENS1_30default_config_static_selectorELNS0_4arch9wavefront6targetE0EEEvS10_,comdat
.Lfunc_end354:
	.size	_ZN7rocprim17ROCPRIM_400000_NS6detail17trampoline_kernelINS0_14default_configENS1_21merge_config_selectorINS0_5tupleIJyyEEENS0_10empty_typeEEEZNS1_10merge_implIS3_NS0_12zip_iteratorINS5_IJN6thrust23THRUST_200600_302600_NS6detail15normal_iteratorINSC_10device_ptrIKyEEEESI_EEEEESK_NSA_INS5_IJNSE_INSF_IyEEEESM_EEEEEPS7_SP_SP_NSC_11hip_rocprim7__merge17predicate_wrapperIyyNSC_7greaterImEEEEEE10hipError_tPvRmT0_T1_T2_T3_T4_T5_mmT6_P12ihipStream_tbEUlT_E_NS1_11comp_targetILNS1_3genE5ELNS1_11target_archE942ELNS1_3gpuE9ELNS1_3repE0EEENS1_30default_config_static_selectorELNS0_4arch9wavefront6targetE0EEEvS10_, .Lfunc_end354-_ZN7rocprim17ROCPRIM_400000_NS6detail17trampoline_kernelINS0_14default_configENS1_21merge_config_selectorINS0_5tupleIJyyEEENS0_10empty_typeEEEZNS1_10merge_implIS3_NS0_12zip_iteratorINS5_IJN6thrust23THRUST_200600_302600_NS6detail15normal_iteratorINSC_10device_ptrIKyEEEESI_EEEEESK_NSA_INS5_IJNSE_INSF_IyEEEESM_EEEEEPS7_SP_SP_NSC_11hip_rocprim7__merge17predicate_wrapperIyyNSC_7greaterImEEEEEE10hipError_tPvRmT0_T1_T2_T3_T4_T5_mmT6_P12ihipStream_tbEUlT_E_NS1_11comp_targetILNS1_3genE5ELNS1_11target_archE942ELNS1_3gpuE9ELNS1_3repE0EEENS1_30default_config_static_selectorELNS0_4arch9wavefront6targetE0EEEvS10_
                                        ; -- End function
	.set _ZN7rocprim17ROCPRIM_400000_NS6detail17trampoline_kernelINS0_14default_configENS1_21merge_config_selectorINS0_5tupleIJyyEEENS0_10empty_typeEEEZNS1_10merge_implIS3_NS0_12zip_iteratorINS5_IJN6thrust23THRUST_200600_302600_NS6detail15normal_iteratorINSC_10device_ptrIKyEEEESI_EEEEESK_NSA_INS5_IJNSE_INSF_IyEEEESM_EEEEEPS7_SP_SP_NSC_11hip_rocprim7__merge17predicate_wrapperIyyNSC_7greaterImEEEEEE10hipError_tPvRmT0_T1_T2_T3_T4_T5_mmT6_P12ihipStream_tbEUlT_E_NS1_11comp_targetILNS1_3genE5ELNS1_11target_archE942ELNS1_3gpuE9ELNS1_3repE0EEENS1_30default_config_static_selectorELNS0_4arch9wavefront6targetE0EEEvS10_.num_vgpr, 0
	.set _ZN7rocprim17ROCPRIM_400000_NS6detail17trampoline_kernelINS0_14default_configENS1_21merge_config_selectorINS0_5tupleIJyyEEENS0_10empty_typeEEEZNS1_10merge_implIS3_NS0_12zip_iteratorINS5_IJN6thrust23THRUST_200600_302600_NS6detail15normal_iteratorINSC_10device_ptrIKyEEEESI_EEEEESK_NSA_INS5_IJNSE_INSF_IyEEEESM_EEEEEPS7_SP_SP_NSC_11hip_rocprim7__merge17predicate_wrapperIyyNSC_7greaterImEEEEEE10hipError_tPvRmT0_T1_T2_T3_T4_T5_mmT6_P12ihipStream_tbEUlT_E_NS1_11comp_targetILNS1_3genE5ELNS1_11target_archE942ELNS1_3gpuE9ELNS1_3repE0EEENS1_30default_config_static_selectorELNS0_4arch9wavefront6targetE0EEEvS10_.num_agpr, 0
	.set _ZN7rocprim17ROCPRIM_400000_NS6detail17trampoline_kernelINS0_14default_configENS1_21merge_config_selectorINS0_5tupleIJyyEEENS0_10empty_typeEEEZNS1_10merge_implIS3_NS0_12zip_iteratorINS5_IJN6thrust23THRUST_200600_302600_NS6detail15normal_iteratorINSC_10device_ptrIKyEEEESI_EEEEESK_NSA_INS5_IJNSE_INSF_IyEEEESM_EEEEEPS7_SP_SP_NSC_11hip_rocprim7__merge17predicate_wrapperIyyNSC_7greaterImEEEEEE10hipError_tPvRmT0_T1_T2_T3_T4_T5_mmT6_P12ihipStream_tbEUlT_E_NS1_11comp_targetILNS1_3genE5ELNS1_11target_archE942ELNS1_3gpuE9ELNS1_3repE0EEENS1_30default_config_static_selectorELNS0_4arch9wavefront6targetE0EEEvS10_.numbered_sgpr, 0
	.set _ZN7rocprim17ROCPRIM_400000_NS6detail17trampoline_kernelINS0_14default_configENS1_21merge_config_selectorINS0_5tupleIJyyEEENS0_10empty_typeEEEZNS1_10merge_implIS3_NS0_12zip_iteratorINS5_IJN6thrust23THRUST_200600_302600_NS6detail15normal_iteratorINSC_10device_ptrIKyEEEESI_EEEEESK_NSA_INS5_IJNSE_INSF_IyEEEESM_EEEEEPS7_SP_SP_NSC_11hip_rocprim7__merge17predicate_wrapperIyyNSC_7greaterImEEEEEE10hipError_tPvRmT0_T1_T2_T3_T4_T5_mmT6_P12ihipStream_tbEUlT_E_NS1_11comp_targetILNS1_3genE5ELNS1_11target_archE942ELNS1_3gpuE9ELNS1_3repE0EEENS1_30default_config_static_selectorELNS0_4arch9wavefront6targetE0EEEvS10_.num_named_barrier, 0
	.set _ZN7rocprim17ROCPRIM_400000_NS6detail17trampoline_kernelINS0_14default_configENS1_21merge_config_selectorINS0_5tupleIJyyEEENS0_10empty_typeEEEZNS1_10merge_implIS3_NS0_12zip_iteratorINS5_IJN6thrust23THRUST_200600_302600_NS6detail15normal_iteratorINSC_10device_ptrIKyEEEESI_EEEEESK_NSA_INS5_IJNSE_INSF_IyEEEESM_EEEEEPS7_SP_SP_NSC_11hip_rocprim7__merge17predicate_wrapperIyyNSC_7greaterImEEEEEE10hipError_tPvRmT0_T1_T2_T3_T4_T5_mmT6_P12ihipStream_tbEUlT_E_NS1_11comp_targetILNS1_3genE5ELNS1_11target_archE942ELNS1_3gpuE9ELNS1_3repE0EEENS1_30default_config_static_selectorELNS0_4arch9wavefront6targetE0EEEvS10_.private_seg_size, 0
	.set _ZN7rocprim17ROCPRIM_400000_NS6detail17trampoline_kernelINS0_14default_configENS1_21merge_config_selectorINS0_5tupleIJyyEEENS0_10empty_typeEEEZNS1_10merge_implIS3_NS0_12zip_iteratorINS5_IJN6thrust23THRUST_200600_302600_NS6detail15normal_iteratorINSC_10device_ptrIKyEEEESI_EEEEESK_NSA_INS5_IJNSE_INSF_IyEEEESM_EEEEEPS7_SP_SP_NSC_11hip_rocprim7__merge17predicate_wrapperIyyNSC_7greaterImEEEEEE10hipError_tPvRmT0_T1_T2_T3_T4_T5_mmT6_P12ihipStream_tbEUlT_E_NS1_11comp_targetILNS1_3genE5ELNS1_11target_archE942ELNS1_3gpuE9ELNS1_3repE0EEENS1_30default_config_static_selectorELNS0_4arch9wavefront6targetE0EEEvS10_.uses_vcc, 0
	.set _ZN7rocprim17ROCPRIM_400000_NS6detail17trampoline_kernelINS0_14default_configENS1_21merge_config_selectorINS0_5tupleIJyyEEENS0_10empty_typeEEEZNS1_10merge_implIS3_NS0_12zip_iteratorINS5_IJN6thrust23THRUST_200600_302600_NS6detail15normal_iteratorINSC_10device_ptrIKyEEEESI_EEEEESK_NSA_INS5_IJNSE_INSF_IyEEEESM_EEEEEPS7_SP_SP_NSC_11hip_rocprim7__merge17predicate_wrapperIyyNSC_7greaterImEEEEEE10hipError_tPvRmT0_T1_T2_T3_T4_T5_mmT6_P12ihipStream_tbEUlT_E_NS1_11comp_targetILNS1_3genE5ELNS1_11target_archE942ELNS1_3gpuE9ELNS1_3repE0EEENS1_30default_config_static_selectorELNS0_4arch9wavefront6targetE0EEEvS10_.uses_flat_scratch, 0
	.set _ZN7rocprim17ROCPRIM_400000_NS6detail17trampoline_kernelINS0_14default_configENS1_21merge_config_selectorINS0_5tupleIJyyEEENS0_10empty_typeEEEZNS1_10merge_implIS3_NS0_12zip_iteratorINS5_IJN6thrust23THRUST_200600_302600_NS6detail15normal_iteratorINSC_10device_ptrIKyEEEESI_EEEEESK_NSA_INS5_IJNSE_INSF_IyEEEESM_EEEEEPS7_SP_SP_NSC_11hip_rocprim7__merge17predicate_wrapperIyyNSC_7greaterImEEEEEE10hipError_tPvRmT0_T1_T2_T3_T4_T5_mmT6_P12ihipStream_tbEUlT_E_NS1_11comp_targetILNS1_3genE5ELNS1_11target_archE942ELNS1_3gpuE9ELNS1_3repE0EEENS1_30default_config_static_selectorELNS0_4arch9wavefront6targetE0EEEvS10_.has_dyn_sized_stack, 0
	.set _ZN7rocprim17ROCPRIM_400000_NS6detail17trampoline_kernelINS0_14default_configENS1_21merge_config_selectorINS0_5tupleIJyyEEENS0_10empty_typeEEEZNS1_10merge_implIS3_NS0_12zip_iteratorINS5_IJN6thrust23THRUST_200600_302600_NS6detail15normal_iteratorINSC_10device_ptrIKyEEEESI_EEEEESK_NSA_INS5_IJNSE_INSF_IyEEEESM_EEEEEPS7_SP_SP_NSC_11hip_rocprim7__merge17predicate_wrapperIyyNSC_7greaterImEEEEEE10hipError_tPvRmT0_T1_T2_T3_T4_T5_mmT6_P12ihipStream_tbEUlT_E_NS1_11comp_targetILNS1_3genE5ELNS1_11target_archE942ELNS1_3gpuE9ELNS1_3repE0EEENS1_30default_config_static_selectorELNS0_4arch9wavefront6targetE0EEEvS10_.has_recursion, 0
	.set _ZN7rocprim17ROCPRIM_400000_NS6detail17trampoline_kernelINS0_14default_configENS1_21merge_config_selectorINS0_5tupleIJyyEEENS0_10empty_typeEEEZNS1_10merge_implIS3_NS0_12zip_iteratorINS5_IJN6thrust23THRUST_200600_302600_NS6detail15normal_iteratorINSC_10device_ptrIKyEEEESI_EEEEESK_NSA_INS5_IJNSE_INSF_IyEEEESM_EEEEEPS7_SP_SP_NSC_11hip_rocprim7__merge17predicate_wrapperIyyNSC_7greaterImEEEEEE10hipError_tPvRmT0_T1_T2_T3_T4_T5_mmT6_P12ihipStream_tbEUlT_E_NS1_11comp_targetILNS1_3genE5ELNS1_11target_archE942ELNS1_3gpuE9ELNS1_3repE0EEENS1_30default_config_static_selectorELNS0_4arch9wavefront6targetE0EEEvS10_.has_indirect_call, 0
	.section	.AMDGPU.csdata,"",@progbits
; Kernel info:
; codeLenInByte = 0
; TotalNumSgprs: 0
; NumVgprs: 0
; ScratchSize: 0
; MemoryBound: 0
; FloatMode: 240
; IeeeMode: 1
; LDSByteSize: 0 bytes/workgroup (compile time only)
; SGPRBlocks: 0
; VGPRBlocks: 0
; NumSGPRsForWavesPerEU: 1
; NumVGPRsForWavesPerEU: 1
; NamedBarCnt: 0
; Occupancy: 16
; WaveLimiterHint : 0
; COMPUTE_PGM_RSRC2:SCRATCH_EN: 0
; COMPUTE_PGM_RSRC2:USER_SGPR: 2
; COMPUTE_PGM_RSRC2:TRAP_HANDLER: 0
; COMPUTE_PGM_RSRC2:TGID_X_EN: 1
; COMPUTE_PGM_RSRC2:TGID_Y_EN: 0
; COMPUTE_PGM_RSRC2:TGID_Z_EN: 0
; COMPUTE_PGM_RSRC2:TIDIG_COMP_CNT: 0
	.section	.text._ZN7rocprim17ROCPRIM_400000_NS6detail17trampoline_kernelINS0_14default_configENS1_21merge_config_selectorINS0_5tupleIJyyEEENS0_10empty_typeEEEZNS1_10merge_implIS3_NS0_12zip_iteratorINS5_IJN6thrust23THRUST_200600_302600_NS6detail15normal_iteratorINSC_10device_ptrIKyEEEESI_EEEEESK_NSA_INS5_IJNSE_INSF_IyEEEESM_EEEEEPS7_SP_SP_NSC_11hip_rocprim7__merge17predicate_wrapperIyyNSC_7greaterImEEEEEE10hipError_tPvRmT0_T1_T2_T3_T4_T5_mmT6_P12ihipStream_tbEUlT_E_NS1_11comp_targetILNS1_3genE4ELNS1_11target_archE910ELNS1_3gpuE8ELNS1_3repE0EEENS1_30default_config_static_selectorELNS0_4arch9wavefront6targetE0EEEvS10_,"axG",@progbits,_ZN7rocprim17ROCPRIM_400000_NS6detail17trampoline_kernelINS0_14default_configENS1_21merge_config_selectorINS0_5tupleIJyyEEENS0_10empty_typeEEEZNS1_10merge_implIS3_NS0_12zip_iteratorINS5_IJN6thrust23THRUST_200600_302600_NS6detail15normal_iteratorINSC_10device_ptrIKyEEEESI_EEEEESK_NSA_INS5_IJNSE_INSF_IyEEEESM_EEEEEPS7_SP_SP_NSC_11hip_rocprim7__merge17predicate_wrapperIyyNSC_7greaterImEEEEEE10hipError_tPvRmT0_T1_T2_T3_T4_T5_mmT6_P12ihipStream_tbEUlT_E_NS1_11comp_targetILNS1_3genE4ELNS1_11target_archE910ELNS1_3gpuE8ELNS1_3repE0EEENS1_30default_config_static_selectorELNS0_4arch9wavefront6targetE0EEEvS10_,comdat
	.protected	_ZN7rocprim17ROCPRIM_400000_NS6detail17trampoline_kernelINS0_14default_configENS1_21merge_config_selectorINS0_5tupleIJyyEEENS0_10empty_typeEEEZNS1_10merge_implIS3_NS0_12zip_iteratorINS5_IJN6thrust23THRUST_200600_302600_NS6detail15normal_iteratorINSC_10device_ptrIKyEEEESI_EEEEESK_NSA_INS5_IJNSE_INSF_IyEEEESM_EEEEEPS7_SP_SP_NSC_11hip_rocprim7__merge17predicate_wrapperIyyNSC_7greaterImEEEEEE10hipError_tPvRmT0_T1_T2_T3_T4_T5_mmT6_P12ihipStream_tbEUlT_E_NS1_11comp_targetILNS1_3genE4ELNS1_11target_archE910ELNS1_3gpuE8ELNS1_3repE0EEENS1_30default_config_static_selectorELNS0_4arch9wavefront6targetE0EEEvS10_ ; -- Begin function _ZN7rocprim17ROCPRIM_400000_NS6detail17trampoline_kernelINS0_14default_configENS1_21merge_config_selectorINS0_5tupleIJyyEEENS0_10empty_typeEEEZNS1_10merge_implIS3_NS0_12zip_iteratorINS5_IJN6thrust23THRUST_200600_302600_NS6detail15normal_iteratorINSC_10device_ptrIKyEEEESI_EEEEESK_NSA_INS5_IJNSE_INSF_IyEEEESM_EEEEEPS7_SP_SP_NSC_11hip_rocprim7__merge17predicate_wrapperIyyNSC_7greaterImEEEEEE10hipError_tPvRmT0_T1_T2_T3_T4_T5_mmT6_P12ihipStream_tbEUlT_E_NS1_11comp_targetILNS1_3genE4ELNS1_11target_archE910ELNS1_3gpuE8ELNS1_3repE0EEENS1_30default_config_static_selectorELNS0_4arch9wavefront6targetE0EEEvS10_
	.globl	_ZN7rocprim17ROCPRIM_400000_NS6detail17trampoline_kernelINS0_14default_configENS1_21merge_config_selectorINS0_5tupleIJyyEEENS0_10empty_typeEEEZNS1_10merge_implIS3_NS0_12zip_iteratorINS5_IJN6thrust23THRUST_200600_302600_NS6detail15normal_iteratorINSC_10device_ptrIKyEEEESI_EEEEESK_NSA_INS5_IJNSE_INSF_IyEEEESM_EEEEEPS7_SP_SP_NSC_11hip_rocprim7__merge17predicate_wrapperIyyNSC_7greaterImEEEEEE10hipError_tPvRmT0_T1_T2_T3_T4_T5_mmT6_P12ihipStream_tbEUlT_E_NS1_11comp_targetILNS1_3genE4ELNS1_11target_archE910ELNS1_3gpuE8ELNS1_3repE0EEENS1_30default_config_static_selectorELNS0_4arch9wavefront6targetE0EEEvS10_
	.p2align	8
	.type	_ZN7rocprim17ROCPRIM_400000_NS6detail17trampoline_kernelINS0_14default_configENS1_21merge_config_selectorINS0_5tupleIJyyEEENS0_10empty_typeEEEZNS1_10merge_implIS3_NS0_12zip_iteratorINS5_IJN6thrust23THRUST_200600_302600_NS6detail15normal_iteratorINSC_10device_ptrIKyEEEESI_EEEEESK_NSA_INS5_IJNSE_INSF_IyEEEESM_EEEEEPS7_SP_SP_NSC_11hip_rocprim7__merge17predicate_wrapperIyyNSC_7greaterImEEEEEE10hipError_tPvRmT0_T1_T2_T3_T4_T5_mmT6_P12ihipStream_tbEUlT_E_NS1_11comp_targetILNS1_3genE4ELNS1_11target_archE910ELNS1_3gpuE8ELNS1_3repE0EEENS1_30default_config_static_selectorELNS0_4arch9wavefront6targetE0EEEvS10_,@function
_ZN7rocprim17ROCPRIM_400000_NS6detail17trampoline_kernelINS0_14default_configENS1_21merge_config_selectorINS0_5tupleIJyyEEENS0_10empty_typeEEEZNS1_10merge_implIS3_NS0_12zip_iteratorINS5_IJN6thrust23THRUST_200600_302600_NS6detail15normal_iteratorINSC_10device_ptrIKyEEEESI_EEEEESK_NSA_INS5_IJNSE_INSF_IyEEEESM_EEEEEPS7_SP_SP_NSC_11hip_rocprim7__merge17predicate_wrapperIyyNSC_7greaterImEEEEEE10hipError_tPvRmT0_T1_T2_T3_T4_T5_mmT6_P12ihipStream_tbEUlT_E_NS1_11comp_targetILNS1_3genE4ELNS1_11target_archE910ELNS1_3gpuE8ELNS1_3repE0EEENS1_30default_config_static_selectorELNS0_4arch9wavefront6targetE0EEEvS10_: ; @_ZN7rocprim17ROCPRIM_400000_NS6detail17trampoline_kernelINS0_14default_configENS1_21merge_config_selectorINS0_5tupleIJyyEEENS0_10empty_typeEEEZNS1_10merge_implIS3_NS0_12zip_iteratorINS5_IJN6thrust23THRUST_200600_302600_NS6detail15normal_iteratorINSC_10device_ptrIKyEEEESI_EEEEESK_NSA_INS5_IJNSE_INSF_IyEEEESM_EEEEEPS7_SP_SP_NSC_11hip_rocprim7__merge17predicate_wrapperIyyNSC_7greaterImEEEEEE10hipError_tPvRmT0_T1_T2_T3_T4_T5_mmT6_P12ihipStream_tbEUlT_E_NS1_11comp_targetILNS1_3genE4ELNS1_11target_archE910ELNS1_3gpuE8ELNS1_3repE0EEENS1_30default_config_static_selectorELNS0_4arch9wavefront6targetE0EEEvS10_
; %bb.0:
	.section	.rodata,"a",@progbits
	.p2align	6, 0x0
	.amdhsa_kernel _ZN7rocprim17ROCPRIM_400000_NS6detail17trampoline_kernelINS0_14default_configENS1_21merge_config_selectorINS0_5tupleIJyyEEENS0_10empty_typeEEEZNS1_10merge_implIS3_NS0_12zip_iteratorINS5_IJN6thrust23THRUST_200600_302600_NS6detail15normal_iteratorINSC_10device_ptrIKyEEEESI_EEEEESK_NSA_INS5_IJNSE_INSF_IyEEEESM_EEEEEPS7_SP_SP_NSC_11hip_rocprim7__merge17predicate_wrapperIyyNSC_7greaterImEEEEEE10hipError_tPvRmT0_T1_T2_T3_T4_T5_mmT6_P12ihipStream_tbEUlT_E_NS1_11comp_targetILNS1_3genE4ELNS1_11target_archE910ELNS1_3gpuE8ELNS1_3repE0EEENS1_30default_config_static_selectorELNS0_4arch9wavefront6targetE0EEEvS10_
		.amdhsa_group_segment_fixed_size 0
		.amdhsa_private_segment_fixed_size 0
		.amdhsa_kernarg_size 64
		.amdhsa_user_sgpr_count 2
		.amdhsa_user_sgpr_dispatch_ptr 0
		.amdhsa_user_sgpr_queue_ptr 0
		.amdhsa_user_sgpr_kernarg_segment_ptr 1
		.amdhsa_user_sgpr_dispatch_id 0
		.amdhsa_user_sgpr_kernarg_preload_length 0
		.amdhsa_user_sgpr_kernarg_preload_offset 0
		.amdhsa_user_sgpr_private_segment_size 0
		.amdhsa_wavefront_size32 1
		.amdhsa_uses_dynamic_stack 0
		.amdhsa_enable_private_segment 0
		.amdhsa_system_sgpr_workgroup_id_x 1
		.amdhsa_system_sgpr_workgroup_id_y 0
		.amdhsa_system_sgpr_workgroup_id_z 0
		.amdhsa_system_sgpr_workgroup_info 0
		.amdhsa_system_vgpr_workitem_id 0
		.amdhsa_next_free_vgpr 1
		.amdhsa_next_free_sgpr 1
		.amdhsa_named_barrier_count 0
		.amdhsa_reserve_vcc 0
		.amdhsa_float_round_mode_32 0
		.amdhsa_float_round_mode_16_64 0
		.amdhsa_float_denorm_mode_32 3
		.amdhsa_float_denorm_mode_16_64 3
		.amdhsa_fp16_overflow 0
		.amdhsa_memory_ordered 1
		.amdhsa_forward_progress 1
		.amdhsa_inst_pref_size 0
		.amdhsa_round_robin_scheduling 0
		.amdhsa_exception_fp_ieee_invalid_op 0
		.amdhsa_exception_fp_denorm_src 0
		.amdhsa_exception_fp_ieee_div_zero 0
		.amdhsa_exception_fp_ieee_overflow 0
		.amdhsa_exception_fp_ieee_underflow 0
		.amdhsa_exception_fp_ieee_inexact 0
		.amdhsa_exception_int_div_zero 0
	.end_amdhsa_kernel
	.section	.text._ZN7rocprim17ROCPRIM_400000_NS6detail17trampoline_kernelINS0_14default_configENS1_21merge_config_selectorINS0_5tupleIJyyEEENS0_10empty_typeEEEZNS1_10merge_implIS3_NS0_12zip_iteratorINS5_IJN6thrust23THRUST_200600_302600_NS6detail15normal_iteratorINSC_10device_ptrIKyEEEESI_EEEEESK_NSA_INS5_IJNSE_INSF_IyEEEESM_EEEEEPS7_SP_SP_NSC_11hip_rocprim7__merge17predicate_wrapperIyyNSC_7greaterImEEEEEE10hipError_tPvRmT0_T1_T2_T3_T4_T5_mmT6_P12ihipStream_tbEUlT_E_NS1_11comp_targetILNS1_3genE4ELNS1_11target_archE910ELNS1_3gpuE8ELNS1_3repE0EEENS1_30default_config_static_selectorELNS0_4arch9wavefront6targetE0EEEvS10_,"axG",@progbits,_ZN7rocprim17ROCPRIM_400000_NS6detail17trampoline_kernelINS0_14default_configENS1_21merge_config_selectorINS0_5tupleIJyyEEENS0_10empty_typeEEEZNS1_10merge_implIS3_NS0_12zip_iteratorINS5_IJN6thrust23THRUST_200600_302600_NS6detail15normal_iteratorINSC_10device_ptrIKyEEEESI_EEEEESK_NSA_INS5_IJNSE_INSF_IyEEEESM_EEEEEPS7_SP_SP_NSC_11hip_rocprim7__merge17predicate_wrapperIyyNSC_7greaterImEEEEEE10hipError_tPvRmT0_T1_T2_T3_T4_T5_mmT6_P12ihipStream_tbEUlT_E_NS1_11comp_targetILNS1_3genE4ELNS1_11target_archE910ELNS1_3gpuE8ELNS1_3repE0EEENS1_30default_config_static_selectorELNS0_4arch9wavefront6targetE0EEEvS10_,comdat
.Lfunc_end355:
	.size	_ZN7rocprim17ROCPRIM_400000_NS6detail17trampoline_kernelINS0_14default_configENS1_21merge_config_selectorINS0_5tupleIJyyEEENS0_10empty_typeEEEZNS1_10merge_implIS3_NS0_12zip_iteratorINS5_IJN6thrust23THRUST_200600_302600_NS6detail15normal_iteratorINSC_10device_ptrIKyEEEESI_EEEEESK_NSA_INS5_IJNSE_INSF_IyEEEESM_EEEEEPS7_SP_SP_NSC_11hip_rocprim7__merge17predicate_wrapperIyyNSC_7greaterImEEEEEE10hipError_tPvRmT0_T1_T2_T3_T4_T5_mmT6_P12ihipStream_tbEUlT_E_NS1_11comp_targetILNS1_3genE4ELNS1_11target_archE910ELNS1_3gpuE8ELNS1_3repE0EEENS1_30default_config_static_selectorELNS0_4arch9wavefront6targetE0EEEvS10_, .Lfunc_end355-_ZN7rocprim17ROCPRIM_400000_NS6detail17trampoline_kernelINS0_14default_configENS1_21merge_config_selectorINS0_5tupleIJyyEEENS0_10empty_typeEEEZNS1_10merge_implIS3_NS0_12zip_iteratorINS5_IJN6thrust23THRUST_200600_302600_NS6detail15normal_iteratorINSC_10device_ptrIKyEEEESI_EEEEESK_NSA_INS5_IJNSE_INSF_IyEEEESM_EEEEEPS7_SP_SP_NSC_11hip_rocprim7__merge17predicate_wrapperIyyNSC_7greaterImEEEEEE10hipError_tPvRmT0_T1_T2_T3_T4_T5_mmT6_P12ihipStream_tbEUlT_E_NS1_11comp_targetILNS1_3genE4ELNS1_11target_archE910ELNS1_3gpuE8ELNS1_3repE0EEENS1_30default_config_static_selectorELNS0_4arch9wavefront6targetE0EEEvS10_
                                        ; -- End function
	.set _ZN7rocprim17ROCPRIM_400000_NS6detail17trampoline_kernelINS0_14default_configENS1_21merge_config_selectorINS0_5tupleIJyyEEENS0_10empty_typeEEEZNS1_10merge_implIS3_NS0_12zip_iteratorINS5_IJN6thrust23THRUST_200600_302600_NS6detail15normal_iteratorINSC_10device_ptrIKyEEEESI_EEEEESK_NSA_INS5_IJNSE_INSF_IyEEEESM_EEEEEPS7_SP_SP_NSC_11hip_rocprim7__merge17predicate_wrapperIyyNSC_7greaterImEEEEEE10hipError_tPvRmT0_T1_T2_T3_T4_T5_mmT6_P12ihipStream_tbEUlT_E_NS1_11comp_targetILNS1_3genE4ELNS1_11target_archE910ELNS1_3gpuE8ELNS1_3repE0EEENS1_30default_config_static_selectorELNS0_4arch9wavefront6targetE0EEEvS10_.num_vgpr, 0
	.set _ZN7rocprim17ROCPRIM_400000_NS6detail17trampoline_kernelINS0_14default_configENS1_21merge_config_selectorINS0_5tupleIJyyEEENS0_10empty_typeEEEZNS1_10merge_implIS3_NS0_12zip_iteratorINS5_IJN6thrust23THRUST_200600_302600_NS6detail15normal_iteratorINSC_10device_ptrIKyEEEESI_EEEEESK_NSA_INS5_IJNSE_INSF_IyEEEESM_EEEEEPS7_SP_SP_NSC_11hip_rocprim7__merge17predicate_wrapperIyyNSC_7greaterImEEEEEE10hipError_tPvRmT0_T1_T2_T3_T4_T5_mmT6_P12ihipStream_tbEUlT_E_NS1_11comp_targetILNS1_3genE4ELNS1_11target_archE910ELNS1_3gpuE8ELNS1_3repE0EEENS1_30default_config_static_selectorELNS0_4arch9wavefront6targetE0EEEvS10_.num_agpr, 0
	.set _ZN7rocprim17ROCPRIM_400000_NS6detail17trampoline_kernelINS0_14default_configENS1_21merge_config_selectorINS0_5tupleIJyyEEENS0_10empty_typeEEEZNS1_10merge_implIS3_NS0_12zip_iteratorINS5_IJN6thrust23THRUST_200600_302600_NS6detail15normal_iteratorINSC_10device_ptrIKyEEEESI_EEEEESK_NSA_INS5_IJNSE_INSF_IyEEEESM_EEEEEPS7_SP_SP_NSC_11hip_rocprim7__merge17predicate_wrapperIyyNSC_7greaterImEEEEEE10hipError_tPvRmT0_T1_T2_T3_T4_T5_mmT6_P12ihipStream_tbEUlT_E_NS1_11comp_targetILNS1_3genE4ELNS1_11target_archE910ELNS1_3gpuE8ELNS1_3repE0EEENS1_30default_config_static_selectorELNS0_4arch9wavefront6targetE0EEEvS10_.numbered_sgpr, 0
	.set _ZN7rocprim17ROCPRIM_400000_NS6detail17trampoline_kernelINS0_14default_configENS1_21merge_config_selectorINS0_5tupleIJyyEEENS0_10empty_typeEEEZNS1_10merge_implIS3_NS0_12zip_iteratorINS5_IJN6thrust23THRUST_200600_302600_NS6detail15normal_iteratorINSC_10device_ptrIKyEEEESI_EEEEESK_NSA_INS5_IJNSE_INSF_IyEEEESM_EEEEEPS7_SP_SP_NSC_11hip_rocprim7__merge17predicate_wrapperIyyNSC_7greaterImEEEEEE10hipError_tPvRmT0_T1_T2_T3_T4_T5_mmT6_P12ihipStream_tbEUlT_E_NS1_11comp_targetILNS1_3genE4ELNS1_11target_archE910ELNS1_3gpuE8ELNS1_3repE0EEENS1_30default_config_static_selectorELNS0_4arch9wavefront6targetE0EEEvS10_.num_named_barrier, 0
	.set _ZN7rocprim17ROCPRIM_400000_NS6detail17trampoline_kernelINS0_14default_configENS1_21merge_config_selectorINS0_5tupleIJyyEEENS0_10empty_typeEEEZNS1_10merge_implIS3_NS0_12zip_iteratorINS5_IJN6thrust23THRUST_200600_302600_NS6detail15normal_iteratorINSC_10device_ptrIKyEEEESI_EEEEESK_NSA_INS5_IJNSE_INSF_IyEEEESM_EEEEEPS7_SP_SP_NSC_11hip_rocprim7__merge17predicate_wrapperIyyNSC_7greaterImEEEEEE10hipError_tPvRmT0_T1_T2_T3_T4_T5_mmT6_P12ihipStream_tbEUlT_E_NS1_11comp_targetILNS1_3genE4ELNS1_11target_archE910ELNS1_3gpuE8ELNS1_3repE0EEENS1_30default_config_static_selectorELNS0_4arch9wavefront6targetE0EEEvS10_.private_seg_size, 0
	.set _ZN7rocprim17ROCPRIM_400000_NS6detail17trampoline_kernelINS0_14default_configENS1_21merge_config_selectorINS0_5tupleIJyyEEENS0_10empty_typeEEEZNS1_10merge_implIS3_NS0_12zip_iteratorINS5_IJN6thrust23THRUST_200600_302600_NS6detail15normal_iteratorINSC_10device_ptrIKyEEEESI_EEEEESK_NSA_INS5_IJNSE_INSF_IyEEEESM_EEEEEPS7_SP_SP_NSC_11hip_rocprim7__merge17predicate_wrapperIyyNSC_7greaterImEEEEEE10hipError_tPvRmT0_T1_T2_T3_T4_T5_mmT6_P12ihipStream_tbEUlT_E_NS1_11comp_targetILNS1_3genE4ELNS1_11target_archE910ELNS1_3gpuE8ELNS1_3repE0EEENS1_30default_config_static_selectorELNS0_4arch9wavefront6targetE0EEEvS10_.uses_vcc, 0
	.set _ZN7rocprim17ROCPRIM_400000_NS6detail17trampoline_kernelINS0_14default_configENS1_21merge_config_selectorINS0_5tupleIJyyEEENS0_10empty_typeEEEZNS1_10merge_implIS3_NS0_12zip_iteratorINS5_IJN6thrust23THRUST_200600_302600_NS6detail15normal_iteratorINSC_10device_ptrIKyEEEESI_EEEEESK_NSA_INS5_IJNSE_INSF_IyEEEESM_EEEEEPS7_SP_SP_NSC_11hip_rocprim7__merge17predicate_wrapperIyyNSC_7greaterImEEEEEE10hipError_tPvRmT0_T1_T2_T3_T4_T5_mmT6_P12ihipStream_tbEUlT_E_NS1_11comp_targetILNS1_3genE4ELNS1_11target_archE910ELNS1_3gpuE8ELNS1_3repE0EEENS1_30default_config_static_selectorELNS0_4arch9wavefront6targetE0EEEvS10_.uses_flat_scratch, 0
	.set _ZN7rocprim17ROCPRIM_400000_NS6detail17trampoline_kernelINS0_14default_configENS1_21merge_config_selectorINS0_5tupleIJyyEEENS0_10empty_typeEEEZNS1_10merge_implIS3_NS0_12zip_iteratorINS5_IJN6thrust23THRUST_200600_302600_NS6detail15normal_iteratorINSC_10device_ptrIKyEEEESI_EEEEESK_NSA_INS5_IJNSE_INSF_IyEEEESM_EEEEEPS7_SP_SP_NSC_11hip_rocprim7__merge17predicate_wrapperIyyNSC_7greaterImEEEEEE10hipError_tPvRmT0_T1_T2_T3_T4_T5_mmT6_P12ihipStream_tbEUlT_E_NS1_11comp_targetILNS1_3genE4ELNS1_11target_archE910ELNS1_3gpuE8ELNS1_3repE0EEENS1_30default_config_static_selectorELNS0_4arch9wavefront6targetE0EEEvS10_.has_dyn_sized_stack, 0
	.set _ZN7rocprim17ROCPRIM_400000_NS6detail17trampoline_kernelINS0_14default_configENS1_21merge_config_selectorINS0_5tupleIJyyEEENS0_10empty_typeEEEZNS1_10merge_implIS3_NS0_12zip_iteratorINS5_IJN6thrust23THRUST_200600_302600_NS6detail15normal_iteratorINSC_10device_ptrIKyEEEESI_EEEEESK_NSA_INS5_IJNSE_INSF_IyEEEESM_EEEEEPS7_SP_SP_NSC_11hip_rocprim7__merge17predicate_wrapperIyyNSC_7greaterImEEEEEE10hipError_tPvRmT0_T1_T2_T3_T4_T5_mmT6_P12ihipStream_tbEUlT_E_NS1_11comp_targetILNS1_3genE4ELNS1_11target_archE910ELNS1_3gpuE8ELNS1_3repE0EEENS1_30default_config_static_selectorELNS0_4arch9wavefront6targetE0EEEvS10_.has_recursion, 0
	.set _ZN7rocprim17ROCPRIM_400000_NS6detail17trampoline_kernelINS0_14default_configENS1_21merge_config_selectorINS0_5tupleIJyyEEENS0_10empty_typeEEEZNS1_10merge_implIS3_NS0_12zip_iteratorINS5_IJN6thrust23THRUST_200600_302600_NS6detail15normal_iteratorINSC_10device_ptrIKyEEEESI_EEEEESK_NSA_INS5_IJNSE_INSF_IyEEEESM_EEEEEPS7_SP_SP_NSC_11hip_rocprim7__merge17predicate_wrapperIyyNSC_7greaterImEEEEEE10hipError_tPvRmT0_T1_T2_T3_T4_T5_mmT6_P12ihipStream_tbEUlT_E_NS1_11comp_targetILNS1_3genE4ELNS1_11target_archE910ELNS1_3gpuE8ELNS1_3repE0EEENS1_30default_config_static_selectorELNS0_4arch9wavefront6targetE0EEEvS10_.has_indirect_call, 0
	.section	.AMDGPU.csdata,"",@progbits
; Kernel info:
; codeLenInByte = 0
; TotalNumSgprs: 0
; NumVgprs: 0
; ScratchSize: 0
; MemoryBound: 0
; FloatMode: 240
; IeeeMode: 1
; LDSByteSize: 0 bytes/workgroup (compile time only)
; SGPRBlocks: 0
; VGPRBlocks: 0
; NumSGPRsForWavesPerEU: 1
; NumVGPRsForWavesPerEU: 1
; NamedBarCnt: 0
; Occupancy: 16
; WaveLimiterHint : 0
; COMPUTE_PGM_RSRC2:SCRATCH_EN: 0
; COMPUTE_PGM_RSRC2:USER_SGPR: 2
; COMPUTE_PGM_RSRC2:TRAP_HANDLER: 0
; COMPUTE_PGM_RSRC2:TGID_X_EN: 1
; COMPUTE_PGM_RSRC2:TGID_Y_EN: 0
; COMPUTE_PGM_RSRC2:TGID_Z_EN: 0
; COMPUTE_PGM_RSRC2:TIDIG_COMP_CNT: 0
	.section	.text._ZN7rocprim17ROCPRIM_400000_NS6detail17trampoline_kernelINS0_14default_configENS1_21merge_config_selectorINS0_5tupleIJyyEEENS0_10empty_typeEEEZNS1_10merge_implIS3_NS0_12zip_iteratorINS5_IJN6thrust23THRUST_200600_302600_NS6detail15normal_iteratorINSC_10device_ptrIKyEEEESI_EEEEESK_NSA_INS5_IJNSE_INSF_IyEEEESM_EEEEEPS7_SP_SP_NSC_11hip_rocprim7__merge17predicate_wrapperIyyNSC_7greaterImEEEEEE10hipError_tPvRmT0_T1_T2_T3_T4_T5_mmT6_P12ihipStream_tbEUlT_E_NS1_11comp_targetILNS1_3genE3ELNS1_11target_archE908ELNS1_3gpuE7ELNS1_3repE0EEENS1_30default_config_static_selectorELNS0_4arch9wavefront6targetE0EEEvS10_,"axG",@progbits,_ZN7rocprim17ROCPRIM_400000_NS6detail17trampoline_kernelINS0_14default_configENS1_21merge_config_selectorINS0_5tupleIJyyEEENS0_10empty_typeEEEZNS1_10merge_implIS3_NS0_12zip_iteratorINS5_IJN6thrust23THRUST_200600_302600_NS6detail15normal_iteratorINSC_10device_ptrIKyEEEESI_EEEEESK_NSA_INS5_IJNSE_INSF_IyEEEESM_EEEEEPS7_SP_SP_NSC_11hip_rocprim7__merge17predicate_wrapperIyyNSC_7greaterImEEEEEE10hipError_tPvRmT0_T1_T2_T3_T4_T5_mmT6_P12ihipStream_tbEUlT_E_NS1_11comp_targetILNS1_3genE3ELNS1_11target_archE908ELNS1_3gpuE7ELNS1_3repE0EEENS1_30default_config_static_selectorELNS0_4arch9wavefront6targetE0EEEvS10_,comdat
	.protected	_ZN7rocprim17ROCPRIM_400000_NS6detail17trampoline_kernelINS0_14default_configENS1_21merge_config_selectorINS0_5tupleIJyyEEENS0_10empty_typeEEEZNS1_10merge_implIS3_NS0_12zip_iteratorINS5_IJN6thrust23THRUST_200600_302600_NS6detail15normal_iteratorINSC_10device_ptrIKyEEEESI_EEEEESK_NSA_INS5_IJNSE_INSF_IyEEEESM_EEEEEPS7_SP_SP_NSC_11hip_rocprim7__merge17predicate_wrapperIyyNSC_7greaterImEEEEEE10hipError_tPvRmT0_T1_T2_T3_T4_T5_mmT6_P12ihipStream_tbEUlT_E_NS1_11comp_targetILNS1_3genE3ELNS1_11target_archE908ELNS1_3gpuE7ELNS1_3repE0EEENS1_30default_config_static_selectorELNS0_4arch9wavefront6targetE0EEEvS10_ ; -- Begin function _ZN7rocprim17ROCPRIM_400000_NS6detail17trampoline_kernelINS0_14default_configENS1_21merge_config_selectorINS0_5tupleIJyyEEENS0_10empty_typeEEEZNS1_10merge_implIS3_NS0_12zip_iteratorINS5_IJN6thrust23THRUST_200600_302600_NS6detail15normal_iteratorINSC_10device_ptrIKyEEEESI_EEEEESK_NSA_INS5_IJNSE_INSF_IyEEEESM_EEEEEPS7_SP_SP_NSC_11hip_rocprim7__merge17predicate_wrapperIyyNSC_7greaterImEEEEEE10hipError_tPvRmT0_T1_T2_T3_T4_T5_mmT6_P12ihipStream_tbEUlT_E_NS1_11comp_targetILNS1_3genE3ELNS1_11target_archE908ELNS1_3gpuE7ELNS1_3repE0EEENS1_30default_config_static_selectorELNS0_4arch9wavefront6targetE0EEEvS10_
	.globl	_ZN7rocprim17ROCPRIM_400000_NS6detail17trampoline_kernelINS0_14default_configENS1_21merge_config_selectorINS0_5tupleIJyyEEENS0_10empty_typeEEEZNS1_10merge_implIS3_NS0_12zip_iteratorINS5_IJN6thrust23THRUST_200600_302600_NS6detail15normal_iteratorINSC_10device_ptrIKyEEEESI_EEEEESK_NSA_INS5_IJNSE_INSF_IyEEEESM_EEEEEPS7_SP_SP_NSC_11hip_rocprim7__merge17predicate_wrapperIyyNSC_7greaterImEEEEEE10hipError_tPvRmT0_T1_T2_T3_T4_T5_mmT6_P12ihipStream_tbEUlT_E_NS1_11comp_targetILNS1_3genE3ELNS1_11target_archE908ELNS1_3gpuE7ELNS1_3repE0EEENS1_30default_config_static_selectorELNS0_4arch9wavefront6targetE0EEEvS10_
	.p2align	8
	.type	_ZN7rocprim17ROCPRIM_400000_NS6detail17trampoline_kernelINS0_14default_configENS1_21merge_config_selectorINS0_5tupleIJyyEEENS0_10empty_typeEEEZNS1_10merge_implIS3_NS0_12zip_iteratorINS5_IJN6thrust23THRUST_200600_302600_NS6detail15normal_iteratorINSC_10device_ptrIKyEEEESI_EEEEESK_NSA_INS5_IJNSE_INSF_IyEEEESM_EEEEEPS7_SP_SP_NSC_11hip_rocprim7__merge17predicate_wrapperIyyNSC_7greaterImEEEEEE10hipError_tPvRmT0_T1_T2_T3_T4_T5_mmT6_P12ihipStream_tbEUlT_E_NS1_11comp_targetILNS1_3genE3ELNS1_11target_archE908ELNS1_3gpuE7ELNS1_3repE0EEENS1_30default_config_static_selectorELNS0_4arch9wavefront6targetE0EEEvS10_,@function
_ZN7rocprim17ROCPRIM_400000_NS6detail17trampoline_kernelINS0_14default_configENS1_21merge_config_selectorINS0_5tupleIJyyEEENS0_10empty_typeEEEZNS1_10merge_implIS3_NS0_12zip_iteratorINS5_IJN6thrust23THRUST_200600_302600_NS6detail15normal_iteratorINSC_10device_ptrIKyEEEESI_EEEEESK_NSA_INS5_IJNSE_INSF_IyEEEESM_EEEEEPS7_SP_SP_NSC_11hip_rocprim7__merge17predicate_wrapperIyyNSC_7greaterImEEEEEE10hipError_tPvRmT0_T1_T2_T3_T4_T5_mmT6_P12ihipStream_tbEUlT_E_NS1_11comp_targetILNS1_3genE3ELNS1_11target_archE908ELNS1_3gpuE7ELNS1_3repE0EEENS1_30default_config_static_selectorELNS0_4arch9wavefront6targetE0EEEvS10_: ; @_ZN7rocprim17ROCPRIM_400000_NS6detail17trampoline_kernelINS0_14default_configENS1_21merge_config_selectorINS0_5tupleIJyyEEENS0_10empty_typeEEEZNS1_10merge_implIS3_NS0_12zip_iteratorINS5_IJN6thrust23THRUST_200600_302600_NS6detail15normal_iteratorINSC_10device_ptrIKyEEEESI_EEEEESK_NSA_INS5_IJNSE_INSF_IyEEEESM_EEEEEPS7_SP_SP_NSC_11hip_rocprim7__merge17predicate_wrapperIyyNSC_7greaterImEEEEEE10hipError_tPvRmT0_T1_T2_T3_T4_T5_mmT6_P12ihipStream_tbEUlT_E_NS1_11comp_targetILNS1_3genE3ELNS1_11target_archE908ELNS1_3gpuE7ELNS1_3repE0EEENS1_30default_config_static_selectorELNS0_4arch9wavefront6targetE0EEEvS10_
; %bb.0:
	.section	.rodata,"a",@progbits
	.p2align	6, 0x0
	.amdhsa_kernel _ZN7rocprim17ROCPRIM_400000_NS6detail17trampoline_kernelINS0_14default_configENS1_21merge_config_selectorINS0_5tupleIJyyEEENS0_10empty_typeEEEZNS1_10merge_implIS3_NS0_12zip_iteratorINS5_IJN6thrust23THRUST_200600_302600_NS6detail15normal_iteratorINSC_10device_ptrIKyEEEESI_EEEEESK_NSA_INS5_IJNSE_INSF_IyEEEESM_EEEEEPS7_SP_SP_NSC_11hip_rocprim7__merge17predicate_wrapperIyyNSC_7greaterImEEEEEE10hipError_tPvRmT0_T1_T2_T3_T4_T5_mmT6_P12ihipStream_tbEUlT_E_NS1_11comp_targetILNS1_3genE3ELNS1_11target_archE908ELNS1_3gpuE7ELNS1_3repE0EEENS1_30default_config_static_selectorELNS0_4arch9wavefront6targetE0EEEvS10_
		.amdhsa_group_segment_fixed_size 0
		.amdhsa_private_segment_fixed_size 0
		.amdhsa_kernarg_size 64
		.amdhsa_user_sgpr_count 2
		.amdhsa_user_sgpr_dispatch_ptr 0
		.amdhsa_user_sgpr_queue_ptr 0
		.amdhsa_user_sgpr_kernarg_segment_ptr 1
		.amdhsa_user_sgpr_dispatch_id 0
		.amdhsa_user_sgpr_kernarg_preload_length 0
		.amdhsa_user_sgpr_kernarg_preload_offset 0
		.amdhsa_user_sgpr_private_segment_size 0
		.amdhsa_wavefront_size32 1
		.amdhsa_uses_dynamic_stack 0
		.amdhsa_enable_private_segment 0
		.amdhsa_system_sgpr_workgroup_id_x 1
		.amdhsa_system_sgpr_workgroup_id_y 0
		.amdhsa_system_sgpr_workgroup_id_z 0
		.amdhsa_system_sgpr_workgroup_info 0
		.amdhsa_system_vgpr_workitem_id 0
		.amdhsa_next_free_vgpr 1
		.amdhsa_next_free_sgpr 1
		.amdhsa_named_barrier_count 0
		.amdhsa_reserve_vcc 0
		.amdhsa_float_round_mode_32 0
		.amdhsa_float_round_mode_16_64 0
		.amdhsa_float_denorm_mode_32 3
		.amdhsa_float_denorm_mode_16_64 3
		.amdhsa_fp16_overflow 0
		.amdhsa_memory_ordered 1
		.amdhsa_forward_progress 1
		.amdhsa_inst_pref_size 0
		.amdhsa_round_robin_scheduling 0
		.amdhsa_exception_fp_ieee_invalid_op 0
		.amdhsa_exception_fp_denorm_src 0
		.amdhsa_exception_fp_ieee_div_zero 0
		.amdhsa_exception_fp_ieee_overflow 0
		.amdhsa_exception_fp_ieee_underflow 0
		.amdhsa_exception_fp_ieee_inexact 0
		.amdhsa_exception_int_div_zero 0
	.end_amdhsa_kernel
	.section	.text._ZN7rocprim17ROCPRIM_400000_NS6detail17trampoline_kernelINS0_14default_configENS1_21merge_config_selectorINS0_5tupleIJyyEEENS0_10empty_typeEEEZNS1_10merge_implIS3_NS0_12zip_iteratorINS5_IJN6thrust23THRUST_200600_302600_NS6detail15normal_iteratorINSC_10device_ptrIKyEEEESI_EEEEESK_NSA_INS5_IJNSE_INSF_IyEEEESM_EEEEEPS7_SP_SP_NSC_11hip_rocprim7__merge17predicate_wrapperIyyNSC_7greaterImEEEEEE10hipError_tPvRmT0_T1_T2_T3_T4_T5_mmT6_P12ihipStream_tbEUlT_E_NS1_11comp_targetILNS1_3genE3ELNS1_11target_archE908ELNS1_3gpuE7ELNS1_3repE0EEENS1_30default_config_static_selectorELNS0_4arch9wavefront6targetE0EEEvS10_,"axG",@progbits,_ZN7rocprim17ROCPRIM_400000_NS6detail17trampoline_kernelINS0_14default_configENS1_21merge_config_selectorINS0_5tupleIJyyEEENS0_10empty_typeEEEZNS1_10merge_implIS3_NS0_12zip_iteratorINS5_IJN6thrust23THRUST_200600_302600_NS6detail15normal_iteratorINSC_10device_ptrIKyEEEESI_EEEEESK_NSA_INS5_IJNSE_INSF_IyEEEESM_EEEEEPS7_SP_SP_NSC_11hip_rocprim7__merge17predicate_wrapperIyyNSC_7greaterImEEEEEE10hipError_tPvRmT0_T1_T2_T3_T4_T5_mmT6_P12ihipStream_tbEUlT_E_NS1_11comp_targetILNS1_3genE3ELNS1_11target_archE908ELNS1_3gpuE7ELNS1_3repE0EEENS1_30default_config_static_selectorELNS0_4arch9wavefront6targetE0EEEvS10_,comdat
.Lfunc_end356:
	.size	_ZN7rocprim17ROCPRIM_400000_NS6detail17trampoline_kernelINS0_14default_configENS1_21merge_config_selectorINS0_5tupleIJyyEEENS0_10empty_typeEEEZNS1_10merge_implIS3_NS0_12zip_iteratorINS5_IJN6thrust23THRUST_200600_302600_NS6detail15normal_iteratorINSC_10device_ptrIKyEEEESI_EEEEESK_NSA_INS5_IJNSE_INSF_IyEEEESM_EEEEEPS7_SP_SP_NSC_11hip_rocprim7__merge17predicate_wrapperIyyNSC_7greaterImEEEEEE10hipError_tPvRmT0_T1_T2_T3_T4_T5_mmT6_P12ihipStream_tbEUlT_E_NS1_11comp_targetILNS1_3genE3ELNS1_11target_archE908ELNS1_3gpuE7ELNS1_3repE0EEENS1_30default_config_static_selectorELNS0_4arch9wavefront6targetE0EEEvS10_, .Lfunc_end356-_ZN7rocprim17ROCPRIM_400000_NS6detail17trampoline_kernelINS0_14default_configENS1_21merge_config_selectorINS0_5tupleIJyyEEENS0_10empty_typeEEEZNS1_10merge_implIS3_NS0_12zip_iteratorINS5_IJN6thrust23THRUST_200600_302600_NS6detail15normal_iteratorINSC_10device_ptrIKyEEEESI_EEEEESK_NSA_INS5_IJNSE_INSF_IyEEEESM_EEEEEPS7_SP_SP_NSC_11hip_rocprim7__merge17predicate_wrapperIyyNSC_7greaterImEEEEEE10hipError_tPvRmT0_T1_T2_T3_T4_T5_mmT6_P12ihipStream_tbEUlT_E_NS1_11comp_targetILNS1_3genE3ELNS1_11target_archE908ELNS1_3gpuE7ELNS1_3repE0EEENS1_30default_config_static_selectorELNS0_4arch9wavefront6targetE0EEEvS10_
                                        ; -- End function
	.set _ZN7rocprim17ROCPRIM_400000_NS6detail17trampoline_kernelINS0_14default_configENS1_21merge_config_selectorINS0_5tupleIJyyEEENS0_10empty_typeEEEZNS1_10merge_implIS3_NS0_12zip_iteratorINS5_IJN6thrust23THRUST_200600_302600_NS6detail15normal_iteratorINSC_10device_ptrIKyEEEESI_EEEEESK_NSA_INS5_IJNSE_INSF_IyEEEESM_EEEEEPS7_SP_SP_NSC_11hip_rocprim7__merge17predicate_wrapperIyyNSC_7greaterImEEEEEE10hipError_tPvRmT0_T1_T2_T3_T4_T5_mmT6_P12ihipStream_tbEUlT_E_NS1_11comp_targetILNS1_3genE3ELNS1_11target_archE908ELNS1_3gpuE7ELNS1_3repE0EEENS1_30default_config_static_selectorELNS0_4arch9wavefront6targetE0EEEvS10_.num_vgpr, 0
	.set _ZN7rocprim17ROCPRIM_400000_NS6detail17trampoline_kernelINS0_14default_configENS1_21merge_config_selectorINS0_5tupleIJyyEEENS0_10empty_typeEEEZNS1_10merge_implIS3_NS0_12zip_iteratorINS5_IJN6thrust23THRUST_200600_302600_NS6detail15normal_iteratorINSC_10device_ptrIKyEEEESI_EEEEESK_NSA_INS5_IJNSE_INSF_IyEEEESM_EEEEEPS7_SP_SP_NSC_11hip_rocprim7__merge17predicate_wrapperIyyNSC_7greaterImEEEEEE10hipError_tPvRmT0_T1_T2_T3_T4_T5_mmT6_P12ihipStream_tbEUlT_E_NS1_11comp_targetILNS1_3genE3ELNS1_11target_archE908ELNS1_3gpuE7ELNS1_3repE0EEENS1_30default_config_static_selectorELNS0_4arch9wavefront6targetE0EEEvS10_.num_agpr, 0
	.set _ZN7rocprim17ROCPRIM_400000_NS6detail17trampoline_kernelINS0_14default_configENS1_21merge_config_selectorINS0_5tupleIJyyEEENS0_10empty_typeEEEZNS1_10merge_implIS3_NS0_12zip_iteratorINS5_IJN6thrust23THRUST_200600_302600_NS6detail15normal_iteratorINSC_10device_ptrIKyEEEESI_EEEEESK_NSA_INS5_IJNSE_INSF_IyEEEESM_EEEEEPS7_SP_SP_NSC_11hip_rocprim7__merge17predicate_wrapperIyyNSC_7greaterImEEEEEE10hipError_tPvRmT0_T1_T2_T3_T4_T5_mmT6_P12ihipStream_tbEUlT_E_NS1_11comp_targetILNS1_3genE3ELNS1_11target_archE908ELNS1_3gpuE7ELNS1_3repE0EEENS1_30default_config_static_selectorELNS0_4arch9wavefront6targetE0EEEvS10_.numbered_sgpr, 0
	.set _ZN7rocprim17ROCPRIM_400000_NS6detail17trampoline_kernelINS0_14default_configENS1_21merge_config_selectorINS0_5tupleIJyyEEENS0_10empty_typeEEEZNS1_10merge_implIS3_NS0_12zip_iteratorINS5_IJN6thrust23THRUST_200600_302600_NS6detail15normal_iteratorINSC_10device_ptrIKyEEEESI_EEEEESK_NSA_INS5_IJNSE_INSF_IyEEEESM_EEEEEPS7_SP_SP_NSC_11hip_rocprim7__merge17predicate_wrapperIyyNSC_7greaterImEEEEEE10hipError_tPvRmT0_T1_T2_T3_T4_T5_mmT6_P12ihipStream_tbEUlT_E_NS1_11comp_targetILNS1_3genE3ELNS1_11target_archE908ELNS1_3gpuE7ELNS1_3repE0EEENS1_30default_config_static_selectorELNS0_4arch9wavefront6targetE0EEEvS10_.num_named_barrier, 0
	.set _ZN7rocprim17ROCPRIM_400000_NS6detail17trampoline_kernelINS0_14default_configENS1_21merge_config_selectorINS0_5tupleIJyyEEENS0_10empty_typeEEEZNS1_10merge_implIS3_NS0_12zip_iteratorINS5_IJN6thrust23THRUST_200600_302600_NS6detail15normal_iteratorINSC_10device_ptrIKyEEEESI_EEEEESK_NSA_INS5_IJNSE_INSF_IyEEEESM_EEEEEPS7_SP_SP_NSC_11hip_rocprim7__merge17predicate_wrapperIyyNSC_7greaterImEEEEEE10hipError_tPvRmT0_T1_T2_T3_T4_T5_mmT6_P12ihipStream_tbEUlT_E_NS1_11comp_targetILNS1_3genE3ELNS1_11target_archE908ELNS1_3gpuE7ELNS1_3repE0EEENS1_30default_config_static_selectorELNS0_4arch9wavefront6targetE0EEEvS10_.private_seg_size, 0
	.set _ZN7rocprim17ROCPRIM_400000_NS6detail17trampoline_kernelINS0_14default_configENS1_21merge_config_selectorINS0_5tupleIJyyEEENS0_10empty_typeEEEZNS1_10merge_implIS3_NS0_12zip_iteratorINS5_IJN6thrust23THRUST_200600_302600_NS6detail15normal_iteratorINSC_10device_ptrIKyEEEESI_EEEEESK_NSA_INS5_IJNSE_INSF_IyEEEESM_EEEEEPS7_SP_SP_NSC_11hip_rocprim7__merge17predicate_wrapperIyyNSC_7greaterImEEEEEE10hipError_tPvRmT0_T1_T2_T3_T4_T5_mmT6_P12ihipStream_tbEUlT_E_NS1_11comp_targetILNS1_3genE3ELNS1_11target_archE908ELNS1_3gpuE7ELNS1_3repE0EEENS1_30default_config_static_selectorELNS0_4arch9wavefront6targetE0EEEvS10_.uses_vcc, 0
	.set _ZN7rocprim17ROCPRIM_400000_NS6detail17trampoline_kernelINS0_14default_configENS1_21merge_config_selectorINS0_5tupleIJyyEEENS0_10empty_typeEEEZNS1_10merge_implIS3_NS0_12zip_iteratorINS5_IJN6thrust23THRUST_200600_302600_NS6detail15normal_iteratorINSC_10device_ptrIKyEEEESI_EEEEESK_NSA_INS5_IJNSE_INSF_IyEEEESM_EEEEEPS7_SP_SP_NSC_11hip_rocprim7__merge17predicate_wrapperIyyNSC_7greaterImEEEEEE10hipError_tPvRmT0_T1_T2_T3_T4_T5_mmT6_P12ihipStream_tbEUlT_E_NS1_11comp_targetILNS1_3genE3ELNS1_11target_archE908ELNS1_3gpuE7ELNS1_3repE0EEENS1_30default_config_static_selectorELNS0_4arch9wavefront6targetE0EEEvS10_.uses_flat_scratch, 0
	.set _ZN7rocprim17ROCPRIM_400000_NS6detail17trampoline_kernelINS0_14default_configENS1_21merge_config_selectorINS0_5tupleIJyyEEENS0_10empty_typeEEEZNS1_10merge_implIS3_NS0_12zip_iteratorINS5_IJN6thrust23THRUST_200600_302600_NS6detail15normal_iteratorINSC_10device_ptrIKyEEEESI_EEEEESK_NSA_INS5_IJNSE_INSF_IyEEEESM_EEEEEPS7_SP_SP_NSC_11hip_rocprim7__merge17predicate_wrapperIyyNSC_7greaterImEEEEEE10hipError_tPvRmT0_T1_T2_T3_T4_T5_mmT6_P12ihipStream_tbEUlT_E_NS1_11comp_targetILNS1_3genE3ELNS1_11target_archE908ELNS1_3gpuE7ELNS1_3repE0EEENS1_30default_config_static_selectorELNS0_4arch9wavefront6targetE0EEEvS10_.has_dyn_sized_stack, 0
	.set _ZN7rocprim17ROCPRIM_400000_NS6detail17trampoline_kernelINS0_14default_configENS1_21merge_config_selectorINS0_5tupleIJyyEEENS0_10empty_typeEEEZNS1_10merge_implIS3_NS0_12zip_iteratorINS5_IJN6thrust23THRUST_200600_302600_NS6detail15normal_iteratorINSC_10device_ptrIKyEEEESI_EEEEESK_NSA_INS5_IJNSE_INSF_IyEEEESM_EEEEEPS7_SP_SP_NSC_11hip_rocprim7__merge17predicate_wrapperIyyNSC_7greaterImEEEEEE10hipError_tPvRmT0_T1_T2_T3_T4_T5_mmT6_P12ihipStream_tbEUlT_E_NS1_11comp_targetILNS1_3genE3ELNS1_11target_archE908ELNS1_3gpuE7ELNS1_3repE0EEENS1_30default_config_static_selectorELNS0_4arch9wavefront6targetE0EEEvS10_.has_recursion, 0
	.set _ZN7rocprim17ROCPRIM_400000_NS6detail17trampoline_kernelINS0_14default_configENS1_21merge_config_selectorINS0_5tupleIJyyEEENS0_10empty_typeEEEZNS1_10merge_implIS3_NS0_12zip_iteratorINS5_IJN6thrust23THRUST_200600_302600_NS6detail15normal_iteratorINSC_10device_ptrIKyEEEESI_EEEEESK_NSA_INS5_IJNSE_INSF_IyEEEESM_EEEEEPS7_SP_SP_NSC_11hip_rocprim7__merge17predicate_wrapperIyyNSC_7greaterImEEEEEE10hipError_tPvRmT0_T1_T2_T3_T4_T5_mmT6_P12ihipStream_tbEUlT_E_NS1_11comp_targetILNS1_3genE3ELNS1_11target_archE908ELNS1_3gpuE7ELNS1_3repE0EEENS1_30default_config_static_selectorELNS0_4arch9wavefront6targetE0EEEvS10_.has_indirect_call, 0
	.section	.AMDGPU.csdata,"",@progbits
; Kernel info:
; codeLenInByte = 0
; TotalNumSgprs: 0
; NumVgprs: 0
; ScratchSize: 0
; MemoryBound: 0
; FloatMode: 240
; IeeeMode: 1
; LDSByteSize: 0 bytes/workgroup (compile time only)
; SGPRBlocks: 0
; VGPRBlocks: 0
; NumSGPRsForWavesPerEU: 1
; NumVGPRsForWavesPerEU: 1
; NamedBarCnt: 0
; Occupancy: 16
; WaveLimiterHint : 0
; COMPUTE_PGM_RSRC2:SCRATCH_EN: 0
; COMPUTE_PGM_RSRC2:USER_SGPR: 2
; COMPUTE_PGM_RSRC2:TRAP_HANDLER: 0
; COMPUTE_PGM_RSRC2:TGID_X_EN: 1
; COMPUTE_PGM_RSRC2:TGID_Y_EN: 0
; COMPUTE_PGM_RSRC2:TGID_Z_EN: 0
; COMPUTE_PGM_RSRC2:TIDIG_COMP_CNT: 0
	.section	.text._ZN7rocprim17ROCPRIM_400000_NS6detail17trampoline_kernelINS0_14default_configENS1_21merge_config_selectorINS0_5tupleIJyyEEENS0_10empty_typeEEEZNS1_10merge_implIS3_NS0_12zip_iteratorINS5_IJN6thrust23THRUST_200600_302600_NS6detail15normal_iteratorINSC_10device_ptrIKyEEEESI_EEEEESK_NSA_INS5_IJNSE_INSF_IyEEEESM_EEEEEPS7_SP_SP_NSC_11hip_rocprim7__merge17predicate_wrapperIyyNSC_7greaterImEEEEEE10hipError_tPvRmT0_T1_T2_T3_T4_T5_mmT6_P12ihipStream_tbEUlT_E_NS1_11comp_targetILNS1_3genE2ELNS1_11target_archE906ELNS1_3gpuE6ELNS1_3repE0EEENS1_30default_config_static_selectorELNS0_4arch9wavefront6targetE0EEEvS10_,"axG",@progbits,_ZN7rocprim17ROCPRIM_400000_NS6detail17trampoline_kernelINS0_14default_configENS1_21merge_config_selectorINS0_5tupleIJyyEEENS0_10empty_typeEEEZNS1_10merge_implIS3_NS0_12zip_iteratorINS5_IJN6thrust23THRUST_200600_302600_NS6detail15normal_iteratorINSC_10device_ptrIKyEEEESI_EEEEESK_NSA_INS5_IJNSE_INSF_IyEEEESM_EEEEEPS7_SP_SP_NSC_11hip_rocprim7__merge17predicate_wrapperIyyNSC_7greaterImEEEEEE10hipError_tPvRmT0_T1_T2_T3_T4_T5_mmT6_P12ihipStream_tbEUlT_E_NS1_11comp_targetILNS1_3genE2ELNS1_11target_archE906ELNS1_3gpuE6ELNS1_3repE0EEENS1_30default_config_static_selectorELNS0_4arch9wavefront6targetE0EEEvS10_,comdat
	.protected	_ZN7rocprim17ROCPRIM_400000_NS6detail17trampoline_kernelINS0_14default_configENS1_21merge_config_selectorINS0_5tupleIJyyEEENS0_10empty_typeEEEZNS1_10merge_implIS3_NS0_12zip_iteratorINS5_IJN6thrust23THRUST_200600_302600_NS6detail15normal_iteratorINSC_10device_ptrIKyEEEESI_EEEEESK_NSA_INS5_IJNSE_INSF_IyEEEESM_EEEEEPS7_SP_SP_NSC_11hip_rocprim7__merge17predicate_wrapperIyyNSC_7greaterImEEEEEE10hipError_tPvRmT0_T1_T2_T3_T4_T5_mmT6_P12ihipStream_tbEUlT_E_NS1_11comp_targetILNS1_3genE2ELNS1_11target_archE906ELNS1_3gpuE6ELNS1_3repE0EEENS1_30default_config_static_selectorELNS0_4arch9wavefront6targetE0EEEvS10_ ; -- Begin function _ZN7rocprim17ROCPRIM_400000_NS6detail17trampoline_kernelINS0_14default_configENS1_21merge_config_selectorINS0_5tupleIJyyEEENS0_10empty_typeEEEZNS1_10merge_implIS3_NS0_12zip_iteratorINS5_IJN6thrust23THRUST_200600_302600_NS6detail15normal_iteratorINSC_10device_ptrIKyEEEESI_EEEEESK_NSA_INS5_IJNSE_INSF_IyEEEESM_EEEEEPS7_SP_SP_NSC_11hip_rocprim7__merge17predicate_wrapperIyyNSC_7greaterImEEEEEE10hipError_tPvRmT0_T1_T2_T3_T4_T5_mmT6_P12ihipStream_tbEUlT_E_NS1_11comp_targetILNS1_3genE2ELNS1_11target_archE906ELNS1_3gpuE6ELNS1_3repE0EEENS1_30default_config_static_selectorELNS0_4arch9wavefront6targetE0EEEvS10_
	.globl	_ZN7rocprim17ROCPRIM_400000_NS6detail17trampoline_kernelINS0_14default_configENS1_21merge_config_selectorINS0_5tupleIJyyEEENS0_10empty_typeEEEZNS1_10merge_implIS3_NS0_12zip_iteratorINS5_IJN6thrust23THRUST_200600_302600_NS6detail15normal_iteratorINSC_10device_ptrIKyEEEESI_EEEEESK_NSA_INS5_IJNSE_INSF_IyEEEESM_EEEEEPS7_SP_SP_NSC_11hip_rocprim7__merge17predicate_wrapperIyyNSC_7greaterImEEEEEE10hipError_tPvRmT0_T1_T2_T3_T4_T5_mmT6_P12ihipStream_tbEUlT_E_NS1_11comp_targetILNS1_3genE2ELNS1_11target_archE906ELNS1_3gpuE6ELNS1_3repE0EEENS1_30default_config_static_selectorELNS0_4arch9wavefront6targetE0EEEvS10_
	.p2align	8
	.type	_ZN7rocprim17ROCPRIM_400000_NS6detail17trampoline_kernelINS0_14default_configENS1_21merge_config_selectorINS0_5tupleIJyyEEENS0_10empty_typeEEEZNS1_10merge_implIS3_NS0_12zip_iteratorINS5_IJN6thrust23THRUST_200600_302600_NS6detail15normal_iteratorINSC_10device_ptrIKyEEEESI_EEEEESK_NSA_INS5_IJNSE_INSF_IyEEEESM_EEEEEPS7_SP_SP_NSC_11hip_rocprim7__merge17predicate_wrapperIyyNSC_7greaterImEEEEEE10hipError_tPvRmT0_T1_T2_T3_T4_T5_mmT6_P12ihipStream_tbEUlT_E_NS1_11comp_targetILNS1_3genE2ELNS1_11target_archE906ELNS1_3gpuE6ELNS1_3repE0EEENS1_30default_config_static_selectorELNS0_4arch9wavefront6targetE0EEEvS10_,@function
_ZN7rocprim17ROCPRIM_400000_NS6detail17trampoline_kernelINS0_14default_configENS1_21merge_config_selectorINS0_5tupleIJyyEEENS0_10empty_typeEEEZNS1_10merge_implIS3_NS0_12zip_iteratorINS5_IJN6thrust23THRUST_200600_302600_NS6detail15normal_iteratorINSC_10device_ptrIKyEEEESI_EEEEESK_NSA_INS5_IJNSE_INSF_IyEEEESM_EEEEEPS7_SP_SP_NSC_11hip_rocprim7__merge17predicate_wrapperIyyNSC_7greaterImEEEEEE10hipError_tPvRmT0_T1_T2_T3_T4_T5_mmT6_P12ihipStream_tbEUlT_E_NS1_11comp_targetILNS1_3genE2ELNS1_11target_archE906ELNS1_3gpuE6ELNS1_3repE0EEENS1_30default_config_static_selectorELNS0_4arch9wavefront6targetE0EEEvS10_: ; @_ZN7rocprim17ROCPRIM_400000_NS6detail17trampoline_kernelINS0_14default_configENS1_21merge_config_selectorINS0_5tupleIJyyEEENS0_10empty_typeEEEZNS1_10merge_implIS3_NS0_12zip_iteratorINS5_IJN6thrust23THRUST_200600_302600_NS6detail15normal_iteratorINSC_10device_ptrIKyEEEESI_EEEEESK_NSA_INS5_IJNSE_INSF_IyEEEESM_EEEEEPS7_SP_SP_NSC_11hip_rocprim7__merge17predicate_wrapperIyyNSC_7greaterImEEEEEE10hipError_tPvRmT0_T1_T2_T3_T4_T5_mmT6_P12ihipStream_tbEUlT_E_NS1_11comp_targetILNS1_3genE2ELNS1_11target_archE906ELNS1_3gpuE6ELNS1_3repE0EEENS1_30default_config_static_selectorELNS0_4arch9wavefront6targetE0EEEvS10_
; %bb.0:
	.section	.rodata,"a",@progbits
	.p2align	6, 0x0
	.amdhsa_kernel _ZN7rocprim17ROCPRIM_400000_NS6detail17trampoline_kernelINS0_14default_configENS1_21merge_config_selectorINS0_5tupleIJyyEEENS0_10empty_typeEEEZNS1_10merge_implIS3_NS0_12zip_iteratorINS5_IJN6thrust23THRUST_200600_302600_NS6detail15normal_iteratorINSC_10device_ptrIKyEEEESI_EEEEESK_NSA_INS5_IJNSE_INSF_IyEEEESM_EEEEEPS7_SP_SP_NSC_11hip_rocprim7__merge17predicate_wrapperIyyNSC_7greaterImEEEEEE10hipError_tPvRmT0_T1_T2_T3_T4_T5_mmT6_P12ihipStream_tbEUlT_E_NS1_11comp_targetILNS1_3genE2ELNS1_11target_archE906ELNS1_3gpuE6ELNS1_3repE0EEENS1_30default_config_static_selectorELNS0_4arch9wavefront6targetE0EEEvS10_
		.amdhsa_group_segment_fixed_size 0
		.amdhsa_private_segment_fixed_size 0
		.amdhsa_kernarg_size 64
		.amdhsa_user_sgpr_count 2
		.amdhsa_user_sgpr_dispatch_ptr 0
		.amdhsa_user_sgpr_queue_ptr 0
		.amdhsa_user_sgpr_kernarg_segment_ptr 1
		.amdhsa_user_sgpr_dispatch_id 0
		.amdhsa_user_sgpr_kernarg_preload_length 0
		.amdhsa_user_sgpr_kernarg_preload_offset 0
		.amdhsa_user_sgpr_private_segment_size 0
		.amdhsa_wavefront_size32 1
		.amdhsa_uses_dynamic_stack 0
		.amdhsa_enable_private_segment 0
		.amdhsa_system_sgpr_workgroup_id_x 1
		.amdhsa_system_sgpr_workgroup_id_y 0
		.amdhsa_system_sgpr_workgroup_id_z 0
		.amdhsa_system_sgpr_workgroup_info 0
		.amdhsa_system_vgpr_workitem_id 0
		.amdhsa_next_free_vgpr 1
		.amdhsa_next_free_sgpr 1
		.amdhsa_named_barrier_count 0
		.amdhsa_reserve_vcc 0
		.amdhsa_float_round_mode_32 0
		.amdhsa_float_round_mode_16_64 0
		.amdhsa_float_denorm_mode_32 3
		.amdhsa_float_denorm_mode_16_64 3
		.amdhsa_fp16_overflow 0
		.amdhsa_memory_ordered 1
		.amdhsa_forward_progress 1
		.amdhsa_inst_pref_size 0
		.amdhsa_round_robin_scheduling 0
		.amdhsa_exception_fp_ieee_invalid_op 0
		.amdhsa_exception_fp_denorm_src 0
		.amdhsa_exception_fp_ieee_div_zero 0
		.amdhsa_exception_fp_ieee_overflow 0
		.amdhsa_exception_fp_ieee_underflow 0
		.amdhsa_exception_fp_ieee_inexact 0
		.amdhsa_exception_int_div_zero 0
	.end_amdhsa_kernel
	.section	.text._ZN7rocprim17ROCPRIM_400000_NS6detail17trampoline_kernelINS0_14default_configENS1_21merge_config_selectorINS0_5tupleIJyyEEENS0_10empty_typeEEEZNS1_10merge_implIS3_NS0_12zip_iteratorINS5_IJN6thrust23THRUST_200600_302600_NS6detail15normal_iteratorINSC_10device_ptrIKyEEEESI_EEEEESK_NSA_INS5_IJNSE_INSF_IyEEEESM_EEEEEPS7_SP_SP_NSC_11hip_rocprim7__merge17predicate_wrapperIyyNSC_7greaterImEEEEEE10hipError_tPvRmT0_T1_T2_T3_T4_T5_mmT6_P12ihipStream_tbEUlT_E_NS1_11comp_targetILNS1_3genE2ELNS1_11target_archE906ELNS1_3gpuE6ELNS1_3repE0EEENS1_30default_config_static_selectorELNS0_4arch9wavefront6targetE0EEEvS10_,"axG",@progbits,_ZN7rocprim17ROCPRIM_400000_NS6detail17trampoline_kernelINS0_14default_configENS1_21merge_config_selectorINS0_5tupleIJyyEEENS0_10empty_typeEEEZNS1_10merge_implIS3_NS0_12zip_iteratorINS5_IJN6thrust23THRUST_200600_302600_NS6detail15normal_iteratorINSC_10device_ptrIKyEEEESI_EEEEESK_NSA_INS5_IJNSE_INSF_IyEEEESM_EEEEEPS7_SP_SP_NSC_11hip_rocprim7__merge17predicate_wrapperIyyNSC_7greaterImEEEEEE10hipError_tPvRmT0_T1_T2_T3_T4_T5_mmT6_P12ihipStream_tbEUlT_E_NS1_11comp_targetILNS1_3genE2ELNS1_11target_archE906ELNS1_3gpuE6ELNS1_3repE0EEENS1_30default_config_static_selectorELNS0_4arch9wavefront6targetE0EEEvS10_,comdat
.Lfunc_end357:
	.size	_ZN7rocprim17ROCPRIM_400000_NS6detail17trampoline_kernelINS0_14default_configENS1_21merge_config_selectorINS0_5tupleIJyyEEENS0_10empty_typeEEEZNS1_10merge_implIS3_NS0_12zip_iteratorINS5_IJN6thrust23THRUST_200600_302600_NS6detail15normal_iteratorINSC_10device_ptrIKyEEEESI_EEEEESK_NSA_INS5_IJNSE_INSF_IyEEEESM_EEEEEPS7_SP_SP_NSC_11hip_rocprim7__merge17predicate_wrapperIyyNSC_7greaterImEEEEEE10hipError_tPvRmT0_T1_T2_T3_T4_T5_mmT6_P12ihipStream_tbEUlT_E_NS1_11comp_targetILNS1_3genE2ELNS1_11target_archE906ELNS1_3gpuE6ELNS1_3repE0EEENS1_30default_config_static_selectorELNS0_4arch9wavefront6targetE0EEEvS10_, .Lfunc_end357-_ZN7rocprim17ROCPRIM_400000_NS6detail17trampoline_kernelINS0_14default_configENS1_21merge_config_selectorINS0_5tupleIJyyEEENS0_10empty_typeEEEZNS1_10merge_implIS3_NS0_12zip_iteratorINS5_IJN6thrust23THRUST_200600_302600_NS6detail15normal_iteratorINSC_10device_ptrIKyEEEESI_EEEEESK_NSA_INS5_IJNSE_INSF_IyEEEESM_EEEEEPS7_SP_SP_NSC_11hip_rocprim7__merge17predicate_wrapperIyyNSC_7greaterImEEEEEE10hipError_tPvRmT0_T1_T2_T3_T4_T5_mmT6_P12ihipStream_tbEUlT_E_NS1_11comp_targetILNS1_3genE2ELNS1_11target_archE906ELNS1_3gpuE6ELNS1_3repE0EEENS1_30default_config_static_selectorELNS0_4arch9wavefront6targetE0EEEvS10_
                                        ; -- End function
	.set _ZN7rocprim17ROCPRIM_400000_NS6detail17trampoline_kernelINS0_14default_configENS1_21merge_config_selectorINS0_5tupleIJyyEEENS0_10empty_typeEEEZNS1_10merge_implIS3_NS0_12zip_iteratorINS5_IJN6thrust23THRUST_200600_302600_NS6detail15normal_iteratorINSC_10device_ptrIKyEEEESI_EEEEESK_NSA_INS5_IJNSE_INSF_IyEEEESM_EEEEEPS7_SP_SP_NSC_11hip_rocprim7__merge17predicate_wrapperIyyNSC_7greaterImEEEEEE10hipError_tPvRmT0_T1_T2_T3_T4_T5_mmT6_P12ihipStream_tbEUlT_E_NS1_11comp_targetILNS1_3genE2ELNS1_11target_archE906ELNS1_3gpuE6ELNS1_3repE0EEENS1_30default_config_static_selectorELNS0_4arch9wavefront6targetE0EEEvS10_.num_vgpr, 0
	.set _ZN7rocprim17ROCPRIM_400000_NS6detail17trampoline_kernelINS0_14default_configENS1_21merge_config_selectorINS0_5tupleIJyyEEENS0_10empty_typeEEEZNS1_10merge_implIS3_NS0_12zip_iteratorINS5_IJN6thrust23THRUST_200600_302600_NS6detail15normal_iteratorINSC_10device_ptrIKyEEEESI_EEEEESK_NSA_INS5_IJNSE_INSF_IyEEEESM_EEEEEPS7_SP_SP_NSC_11hip_rocprim7__merge17predicate_wrapperIyyNSC_7greaterImEEEEEE10hipError_tPvRmT0_T1_T2_T3_T4_T5_mmT6_P12ihipStream_tbEUlT_E_NS1_11comp_targetILNS1_3genE2ELNS1_11target_archE906ELNS1_3gpuE6ELNS1_3repE0EEENS1_30default_config_static_selectorELNS0_4arch9wavefront6targetE0EEEvS10_.num_agpr, 0
	.set _ZN7rocprim17ROCPRIM_400000_NS6detail17trampoline_kernelINS0_14default_configENS1_21merge_config_selectorINS0_5tupleIJyyEEENS0_10empty_typeEEEZNS1_10merge_implIS3_NS0_12zip_iteratorINS5_IJN6thrust23THRUST_200600_302600_NS6detail15normal_iteratorINSC_10device_ptrIKyEEEESI_EEEEESK_NSA_INS5_IJNSE_INSF_IyEEEESM_EEEEEPS7_SP_SP_NSC_11hip_rocprim7__merge17predicate_wrapperIyyNSC_7greaterImEEEEEE10hipError_tPvRmT0_T1_T2_T3_T4_T5_mmT6_P12ihipStream_tbEUlT_E_NS1_11comp_targetILNS1_3genE2ELNS1_11target_archE906ELNS1_3gpuE6ELNS1_3repE0EEENS1_30default_config_static_selectorELNS0_4arch9wavefront6targetE0EEEvS10_.numbered_sgpr, 0
	.set _ZN7rocprim17ROCPRIM_400000_NS6detail17trampoline_kernelINS0_14default_configENS1_21merge_config_selectorINS0_5tupleIJyyEEENS0_10empty_typeEEEZNS1_10merge_implIS3_NS0_12zip_iteratorINS5_IJN6thrust23THRUST_200600_302600_NS6detail15normal_iteratorINSC_10device_ptrIKyEEEESI_EEEEESK_NSA_INS5_IJNSE_INSF_IyEEEESM_EEEEEPS7_SP_SP_NSC_11hip_rocprim7__merge17predicate_wrapperIyyNSC_7greaterImEEEEEE10hipError_tPvRmT0_T1_T2_T3_T4_T5_mmT6_P12ihipStream_tbEUlT_E_NS1_11comp_targetILNS1_3genE2ELNS1_11target_archE906ELNS1_3gpuE6ELNS1_3repE0EEENS1_30default_config_static_selectorELNS0_4arch9wavefront6targetE0EEEvS10_.num_named_barrier, 0
	.set _ZN7rocprim17ROCPRIM_400000_NS6detail17trampoline_kernelINS0_14default_configENS1_21merge_config_selectorINS0_5tupleIJyyEEENS0_10empty_typeEEEZNS1_10merge_implIS3_NS0_12zip_iteratorINS5_IJN6thrust23THRUST_200600_302600_NS6detail15normal_iteratorINSC_10device_ptrIKyEEEESI_EEEEESK_NSA_INS5_IJNSE_INSF_IyEEEESM_EEEEEPS7_SP_SP_NSC_11hip_rocprim7__merge17predicate_wrapperIyyNSC_7greaterImEEEEEE10hipError_tPvRmT0_T1_T2_T3_T4_T5_mmT6_P12ihipStream_tbEUlT_E_NS1_11comp_targetILNS1_3genE2ELNS1_11target_archE906ELNS1_3gpuE6ELNS1_3repE0EEENS1_30default_config_static_selectorELNS0_4arch9wavefront6targetE0EEEvS10_.private_seg_size, 0
	.set _ZN7rocprim17ROCPRIM_400000_NS6detail17trampoline_kernelINS0_14default_configENS1_21merge_config_selectorINS0_5tupleIJyyEEENS0_10empty_typeEEEZNS1_10merge_implIS3_NS0_12zip_iteratorINS5_IJN6thrust23THRUST_200600_302600_NS6detail15normal_iteratorINSC_10device_ptrIKyEEEESI_EEEEESK_NSA_INS5_IJNSE_INSF_IyEEEESM_EEEEEPS7_SP_SP_NSC_11hip_rocprim7__merge17predicate_wrapperIyyNSC_7greaterImEEEEEE10hipError_tPvRmT0_T1_T2_T3_T4_T5_mmT6_P12ihipStream_tbEUlT_E_NS1_11comp_targetILNS1_3genE2ELNS1_11target_archE906ELNS1_3gpuE6ELNS1_3repE0EEENS1_30default_config_static_selectorELNS0_4arch9wavefront6targetE0EEEvS10_.uses_vcc, 0
	.set _ZN7rocprim17ROCPRIM_400000_NS6detail17trampoline_kernelINS0_14default_configENS1_21merge_config_selectorINS0_5tupleIJyyEEENS0_10empty_typeEEEZNS1_10merge_implIS3_NS0_12zip_iteratorINS5_IJN6thrust23THRUST_200600_302600_NS6detail15normal_iteratorINSC_10device_ptrIKyEEEESI_EEEEESK_NSA_INS5_IJNSE_INSF_IyEEEESM_EEEEEPS7_SP_SP_NSC_11hip_rocprim7__merge17predicate_wrapperIyyNSC_7greaterImEEEEEE10hipError_tPvRmT0_T1_T2_T3_T4_T5_mmT6_P12ihipStream_tbEUlT_E_NS1_11comp_targetILNS1_3genE2ELNS1_11target_archE906ELNS1_3gpuE6ELNS1_3repE0EEENS1_30default_config_static_selectorELNS0_4arch9wavefront6targetE0EEEvS10_.uses_flat_scratch, 0
	.set _ZN7rocprim17ROCPRIM_400000_NS6detail17trampoline_kernelINS0_14default_configENS1_21merge_config_selectorINS0_5tupleIJyyEEENS0_10empty_typeEEEZNS1_10merge_implIS3_NS0_12zip_iteratorINS5_IJN6thrust23THRUST_200600_302600_NS6detail15normal_iteratorINSC_10device_ptrIKyEEEESI_EEEEESK_NSA_INS5_IJNSE_INSF_IyEEEESM_EEEEEPS7_SP_SP_NSC_11hip_rocprim7__merge17predicate_wrapperIyyNSC_7greaterImEEEEEE10hipError_tPvRmT0_T1_T2_T3_T4_T5_mmT6_P12ihipStream_tbEUlT_E_NS1_11comp_targetILNS1_3genE2ELNS1_11target_archE906ELNS1_3gpuE6ELNS1_3repE0EEENS1_30default_config_static_selectorELNS0_4arch9wavefront6targetE0EEEvS10_.has_dyn_sized_stack, 0
	.set _ZN7rocprim17ROCPRIM_400000_NS6detail17trampoline_kernelINS0_14default_configENS1_21merge_config_selectorINS0_5tupleIJyyEEENS0_10empty_typeEEEZNS1_10merge_implIS3_NS0_12zip_iteratorINS5_IJN6thrust23THRUST_200600_302600_NS6detail15normal_iteratorINSC_10device_ptrIKyEEEESI_EEEEESK_NSA_INS5_IJNSE_INSF_IyEEEESM_EEEEEPS7_SP_SP_NSC_11hip_rocprim7__merge17predicate_wrapperIyyNSC_7greaterImEEEEEE10hipError_tPvRmT0_T1_T2_T3_T4_T5_mmT6_P12ihipStream_tbEUlT_E_NS1_11comp_targetILNS1_3genE2ELNS1_11target_archE906ELNS1_3gpuE6ELNS1_3repE0EEENS1_30default_config_static_selectorELNS0_4arch9wavefront6targetE0EEEvS10_.has_recursion, 0
	.set _ZN7rocprim17ROCPRIM_400000_NS6detail17trampoline_kernelINS0_14default_configENS1_21merge_config_selectorINS0_5tupleIJyyEEENS0_10empty_typeEEEZNS1_10merge_implIS3_NS0_12zip_iteratorINS5_IJN6thrust23THRUST_200600_302600_NS6detail15normal_iteratorINSC_10device_ptrIKyEEEESI_EEEEESK_NSA_INS5_IJNSE_INSF_IyEEEESM_EEEEEPS7_SP_SP_NSC_11hip_rocprim7__merge17predicate_wrapperIyyNSC_7greaterImEEEEEE10hipError_tPvRmT0_T1_T2_T3_T4_T5_mmT6_P12ihipStream_tbEUlT_E_NS1_11comp_targetILNS1_3genE2ELNS1_11target_archE906ELNS1_3gpuE6ELNS1_3repE0EEENS1_30default_config_static_selectorELNS0_4arch9wavefront6targetE0EEEvS10_.has_indirect_call, 0
	.section	.AMDGPU.csdata,"",@progbits
; Kernel info:
; codeLenInByte = 0
; TotalNumSgprs: 0
; NumVgprs: 0
; ScratchSize: 0
; MemoryBound: 0
; FloatMode: 240
; IeeeMode: 1
; LDSByteSize: 0 bytes/workgroup (compile time only)
; SGPRBlocks: 0
; VGPRBlocks: 0
; NumSGPRsForWavesPerEU: 1
; NumVGPRsForWavesPerEU: 1
; NamedBarCnt: 0
; Occupancy: 16
; WaveLimiterHint : 0
; COMPUTE_PGM_RSRC2:SCRATCH_EN: 0
; COMPUTE_PGM_RSRC2:USER_SGPR: 2
; COMPUTE_PGM_RSRC2:TRAP_HANDLER: 0
; COMPUTE_PGM_RSRC2:TGID_X_EN: 1
; COMPUTE_PGM_RSRC2:TGID_Y_EN: 0
; COMPUTE_PGM_RSRC2:TGID_Z_EN: 0
; COMPUTE_PGM_RSRC2:TIDIG_COMP_CNT: 0
	.section	.text._ZN7rocprim17ROCPRIM_400000_NS6detail17trampoline_kernelINS0_14default_configENS1_21merge_config_selectorINS0_5tupleIJyyEEENS0_10empty_typeEEEZNS1_10merge_implIS3_NS0_12zip_iteratorINS5_IJN6thrust23THRUST_200600_302600_NS6detail15normal_iteratorINSC_10device_ptrIKyEEEESI_EEEEESK_NSA_INS5_IJNSE_INSF_IyEEEESM_EEEEEPS7_SP_SP_NSC_11hip_rocprim7__merge17predicate_wrapperIyyNSC_7greaterImEEEEEE10hipError_tPvRmT0_T1_T2_T3_T4_T5_mmT6_P12ihipStream_tbEUlT_E_NS1_11comp_targetILNS1_3genE10ELNS1_11target_archE1201ELNS1_3gpuE5ELNS1_3repE0EEENS1_30default_config_static_selectorELNS0_4arch9wavefront6targetE0EEEvS10_,"axG",@progbits,_ZN7rocprim17ROCPRIM_400000_NS6detail17trampoline_kernelINS0_14default_configENS1_21merge_config_selectorINS0_5tupleIJyyEEENS0_10empty_typeEEEZNS1_10merge_implIS3_NS0_12zip_iteratorINS5_IJN6thrust23THRUST_200600_302600_NS6detail15normal_iteratorINSC_10device_ptrIKyEEEESI_EEEEESK_NSA_INS5_IJNSE_INSF_IyEEEESM_EEEEEPS7_SP_SP_NSC_11hip_rocprim7__merge17predicate_wrapperIyyNSC_7greaterImEEEEEE10hipError_tPvRmT0_T1_T2_T3_T4_T5_mmT6_P12ihipStream_tbEUlT_E_NS1_11comp_targetILNS1_3genE10ELNS1_11target_archE1201ELNS1_3gpuE5ELNS1_3repE0EEENS1_30default_config_static_selectorELNS0_4arch9wavefront6targetE0EEEvS10_,comdat
	.protected	_ZN7rocprim17ROCPRIM_400000_NS6detail17trampoline_kernelINS0_14default_configENS1_21merge_config_selectorINS0_5tupleIJyyEEENS0_10empty_typeEEEZNS1_10merge_implIS3_NS0_12zip_iteratorINS5_IJN6thrust23THRUST_200600_302600_NS6detail15normal_iteratorINSC_10device_ptrIKyEEEESI_EEEEESK_NSA_INS5_IJNSE_INSF_IyEEEESM_EEEEEPS7_SP_SP_NSC_11hip_rocprim7__merge17predicate_wrapperIyyNSC_7greaterImEEEEEE10hipError_tPvRmT0_T1_T2_T3_T4_T5_mmT6_P12ihipStream_tbEUlT_E_NS1_11comp_targetILNS1_3genE10ELNS1_11target_archE1201ELNS1_3gpuE5ELNS1_3repE0EEENS1_30default_config_static_selectorELNS0_4arch9wavefront6targetE0EEEvS10_ ; -- Begin function _ZN7rocprim17ROCPRIM_400000_NS6detail17trampoline_kernelINS0_14default_configENS1_21merge_config_selectorINS0_5tupleIJyyEEENS0_10empty_typeEEEZNS1_10merge_implIS3_NS0_12zip_iteratorINS5_IJN6thrust23THRUST_200600_302600_NS6detail15normal_iteratorINSC_10device_ptrIKyEEEESI_EEEEESK_NSA_INS5_IJNSE_INSF_IyEEEESM_EEEEEPS7_SP_SP_NSC_11hip_rocprim7__merge17predicate_wrapperIyyNSC_7greaterImEEEEEE10hipError_tPvRmT0_T1_T2_T3_T4_T5_mmT6_P12ihipStream_tbEUlT_E_NS1_11comp_targetILNS1_3genE10ELNS1_11target_archE1201ELNS1_3gpuE5ELNS1_3repE0EEENS1_30default_config_static_selectorELNS0_4arch9wavefront6targetE0EEEvS10_
	.globl	_ZN7rocprim17ROCPRIM_400000_NS6detail17trampoline_kernelINS0_14default_configENS1_21merge_config_selectorINS0_5tupleIJyyEEENS0_10empty_typeEEEZNS1_10merge_implIS3_NS0_12zip_iteratorINS5_IJN6thrust23THRUST_200600_302600_NS6detail15normal_iteratorINSC_10device_ptrIKyEEEESI_EEEEESK_NSA_INS5_IJNSE_INSF_IyEEEESM_EEEEEPS7_SP_SP_NSC_11hip_rocprim7__merge17predicate_wrapperIyyNSC_7greaterImEEEEEE10hipError_tPvRmT0_T1_T2_T3_T4_T5_mmT6_P12ihipStream_tbEUlT_E_NS1_11comp_targetILNS1_3genE10ELNS1_11target_archE1201ELNS1_3gpuE5ELNS1_3repE0EEENS1_30default_config_static_selectorELNS0_4arch9wavefront6targetE0EEEvS10_
	.p2align	8
	.type	_ZN7rocprim17ROCPRIM_400000_NS6detail17trampoline_kernelINS0_14default_configENS1_21merge_config_selectorINS0_5tupleIJyyEEENS0_10empty_typeEEEZNS1_10merge_implIS3_NS0_12zip_iteratorINS5_IJN6thrust23THRUST_200600_302600_NS6detail15normal_iteratorINSC_10device_ptrIKyEEEESI_EEEEESK_NSA_INS5_IJNSE_INSF_IyEEEESM_EEEEEPS7_SP_SP_NSC_11hip_rocprim7__merge17predicate_wrapperIyyNSC_7greaterImEEEEEE10hipError_tPvRmT0_T1_T2_T3_T4_T5_mmT6_P12ihipStream_tbEUlT_E_NS1_11comp_targetILNS1_3genE10ELNS1_11target_archE1201ELNS1_3gpuE5ELNS1_3repE0EEENS1_30default_config_static_selectorELNS0_4arch9wavefront6targetE0EEEvS10_,@function
_ZN7rocprim17ROCPRIM_400000_NS6detail17trampoline_kernelINS0_14default_configENS1_21merge_config_selectorINS0_5tupleIJyyEEENS0_10empty_typeEEEZNS1_10merge_implIS3_NS0_12zip_iteratorINS5_IJN6thrust23THRUST_200600_302600_NS6detail15normal_iteratorINSC_10device_ptrIKyEEEESI_EEEEESK_NSA_INS5_IJNSE_INSF_IyEEEESM_EEEEEPS7_SP_SP_NSC_11hip_rocprim7__merge17predicate_wrapperIyyNSC_7greaterImEEEEEE10hipError_tPvRmT0_T1_T2_T3_T4_T5_mmT6_P12ihipStream_tbEUlT_E_NS1_11comp_targetILNS1_3genE10ELNS1_11target_archE1201ELNS1_3gpuE5ELNS1_3repE0EEENS1_30default_config_static_selectorELNS0_4arch9wavefront6targetE0EEEvS10_: ; @_ZN7rocprim17ROCPRIM_400000_NS6detail17trampoline_kernelINS0_14default_configENS1_21merge_config_selectorINS0_5tupleIJyyEEENS0_10empty_typeEEEZNS1_10merge_implIS3_NS0_12zip_iteratorINS5_IJN6thrust23THRUST_200600_302600_NS6detail15normal_iteratorINSC_10device_ptrIKyEEEESI_EEEEESK_NSA_INS5_IJNSE_INSF_IyEEEESM_EEEEEPS7_SP_SP_NSC_11hip_rocprim7__merge17predicate_wrapperIyyNSC_7greaterImEEEEEE10hipError_tPvRmT0_T1_T2_T3_T4_T5_mmT6_P12ihipStream_tbEUlT_E_NS1_11comp_targetILNS1_3genE10ELNS1_11target_archE1201ELNS1_3gpuE5ELNS1_3repE0EEENS1_30default_config_static_selectorELNS0_4arch9wavefront6targetE0EEEvS10_
; %bb.0:
	.section	.rodata,"a",@progbits
	.p2align	6, 0x0
	.amdhsa_kernel _ZN7rocprim17ROCPRIM_400000_NS6detail17trampoline_kernelINS0_14default_configENS1_21merge_config_selectorINS0_5tupleIJyyEEENS0_10empty_typeEEEZNS1_10merge_implIS3_NS0_12zip_iteratorINS5_IJN6thrust23THRUST_200600_302600_NS6detail15normal_iteratorINSC_10device_ptrIKyEEEESI_EEEEESK_NSA_INS5_IJNSE_INSF_IyEEEESM_EEEEEPS7_SP_SP_NSC_11hip_rocprim7__merge17predicate_wrapperIyyNSC_7greaterImEEEEEE10hipError_tPvRmT0_T1_T2_T3_T4_T5_mmT6_P12ihipStream_tbEUlT_E_NS1_11comp_targetILNS1_3genE10ELNS1_11target_archE1201ELNS1_3gpuE5ELNS1_3repE0EEENS1_30default_config_static_selectorELNS0_4arch9wavefront6targetE0EEEvS10_
		.amdhsa_group_segment_fixed_size 0
		.amdhsa_private_segment_fixed_size 0
		.amdhsa_kernarg_size 64
		.amdhsa_user_sgpr_count 2
		.amdhsa_user_sgpr_dispatch_ptr 0
		.amdhsa_user_sgpr_queue_ptr 0
		.amdhsa_user_sgpr_kernarg_segment_ptr 1
		.amdhsa_user_sgpr_dispatch_id 0
		.amdhsa_user_sgpr_kernarg_preload_length 0
		.amdhsa_user_sgpr_kernarg_preload_offset 0
		.amdhsa_user_sgpr_private_segment_size 0
		.amdhsa_wavefront_size32 1
		.amdhsa_uses_dynamic_stack 0
		.amdhsa_enable_private_segment 0
		.amdhsa_system_sgpr_workgroup_id_x 1
		.amdhsa_system_sgpr_workgroup_id_y 0
		.amdhsa_system_sgpr_workgroup_id_z 0
		.amdhsa_system_sgpr_workgroup_info 0
		.amdhsa_system_vgpr_workitem_id 0
		.amdhsa_next_free_vgpr 1
		.amdhsa_next_free_sgpr 1
		.amdhsa_named_barrier_count 0
		.amdhsa_reserve_vcc 0
		.amdhsa_float_round_mode_32 0
		.amdhsa_float_round_mode_16_64 0
		.amdhsa_float_denorm_mode_32 3
		.amdhsa_float_denorm_mode_16_64 3
		.amdhsa_fp16_overflow 0
		.amdhsa_memory_ordered 1
		.amdhsa_forward_progress 1
		.amdhsa_inst_pref_size 0
		.amdhsa_round_robin_scheduling 0
		.amdhsa_exception_fp_ieee_invalid_op 0
		.amdhsa_exception_fp_denorm_src 0
		.amdhsa_exception_fp_ieee_div_zero 0
		.amdhsa_exception_fp_ieee_overflow 0
		.amdhsa_exception_fp_ieee_underflow 0
		.amdhsa_exception_fp_ieee_inexact 0
		.amdhsa_exception_int_div_zero 0
	.end_amdhsa_kernel
	.section	.text._ZN7rocprim17ROCPRIM_400000_NS6detail17trampoline_kernelINS0_14default_configENS1_21merge_config_selectorINS0_5tupleIJyyEEENS0_10empty_typeEEEZNS1_10merge_implIS3_NS0_12zip_iteratorINS5_IJN6thrust23THRUST_200600_302600_NS6detail15normal_iteratorINSC_10device_ptrIKyEEEESI_EEEEESK_NSA_INS5_IJNSE_INSF_IyEEEESM_EEEEEPS7_SP_SP_NSC_11hip_rocprim7__merge17predicate_wrapperIyyNSC_7greaterImEEEEEE10hipError_tPvRmT0_T1_T2_T3_T4_T5_mmT6_P12ihipStream_tbEUlT_E_NS1_11comp_targetILNS1_3genE10ELNS1_11target_archE1201ELNS1_3gpuE5ELNS1_3repE0EEENS1_30default_config_static_selectorELNS0_4arch9wavefront6targetE0EEEvS10_,"axG",@progbits,_ZN7rocprim17ROCPRIM_400000_NS6detail17trampoline_kernelINS0_14default_configENS1_21merge_config_selectorINS0_5tupleIJyyEEENS0_10empty_typeEEEZNS1_10merge_implIS3_NS0_12zip_iteratorINS5_IJN6thrust23THRUST_200600_302600_NS6detail15normal_iteratorINSC_10device_ptrIKyEEEESI_EEEEESK_NSA_INS5_IJNSE_INSF_IyEEEESM_EEEEEPS7_SP_SP_NSC_11hip_rocprim7__merge17predicate_wrapperIyyNSC_7greaterImEEEEEE10hipError_tPvRmT0_T1_T2_T3_T4_T5_mmT6_P12ihipStream_tbEUlT_E_NS1_11comp_targetILNS1_3genE10ELNS1_11target_archE1201ELNS1_3gpuE5ELNS1_3repE0EEENS1_30default_config_static_selectorELNS0_4arch9wavefront6targetE0EEEvS10_,comdat
.Lfunc_end358:
	.size	_ZN7rocprim17ROCPRIM_400000_NS6detail17trampoline_kernelINS0_14default_configENS1_21merge_config_selectorINS0_5tupleIJyyEEENS0_10empty_typeEEEZNS1_10merge_implIS3_NS0_12zip_iteratorINS5_IJN6thrust23THRUST_200600_302600_NS6detail15normal_iteratorINSC_10device_ptrIKyEEEESI_EEEEESK_NSA_INS5_IJNSE_INSF_IyEEEESM_EEEEEPS7_SP_SP_NSC_11hip_rocprim7__merge17predicate_wrapperIyyNSC_7greaterImEEEEEE10hipError_tPvRmT0_T1_T2_T3_T4_T5_mmT6_P12ihipStream_tbEUlT_E_NS1_11comp_targetILNS1_3genE10ELNS1_11target_archE1201ELNS1_3gpuE5ELNS1_3repE0EEENS1_30default_config_static_selectorELNS0_4arch9wavefront6targetE0EEEvS10_, .Lfunc_end358-_ZN7rocprim17ROCPRIM_400000_NS6detail17trampoline_kernelINS0_14default_configENS1_21merge_config_selectorINS0_5tupleIJyyEEENS0_10empty_typeEEEZNS1_10merge_implIS3_NS0_12zip_iteratorINS5_IJN6thrust23THRUST_200600_302600_NS6detail15normal_iteratorINSC_10device_ptrIKyEEEESI_EEEEESK_NSA_INS5_IJNSE_INSF_IyEEEESM_EEEEEPS7_SP_SP_NSC_11hip_rocprim7__merge17predicate_wrapperIyyNSC_7greaterImEEEEEE10hipError_tPvRmT0_T1_T2_T3_T4_T5_mmT6_P12ihipStream_tbEUlT_E_NS1_11comp_targetILNS1_3genE10ELNS1_11target_archE1201ELNS1_3gpuE5ELNS1_3repE0EEENS1_30default_config_static_selectorELNS0_4arch9wavefront6targetE0EEEvS10_
                                        ; -- End function
	.set _ZN7rocprim17ROCPRIM_400000_NS6detail17trampoline_kernelINS0_14default_configENS1_21merge_config_selectorINS0_5tupleIJyyEEENS0_10empty_typeEEEZNS1_10merge_implIS3_NS0_12zip_iteratorINS5_IJN6thrust23THRUST_200600_302600_NS6detail15normal_iteratorINSC_10device_ptrIKyEEEESI_EEEEESK_NSA_INS5_IJNSE_INSF_IyEEEESM_EEEEEPS7_SP_SP_NSC_11hip_rocprim7__merge17predicate_wrapperIyyNSC_7greaterImEEEEEE10hipError_tPvRmT0_T1_T2_T3_T4_T5_mmT6_P12ihipStream_tbEUlT_E_NS1_11comp_targetILNS1_3genE10ELNS1_11target_archE1201ELNS1_3gpuE5ELNS1_3repE0EEENS1_30default_config_static_selectorELNS0_4arch9wavefront6targetE0EEEvS10_.num_vgpr, 0
	.set _ZN7rocprim17ROCPRIM_400000_NS6detail17trampoline_kernelINS0_14default_configENS1_21merge_config_selectorINS0_5tupleIJyyEEENS0_10empty_typeEEEZNS1_10merge_implIS3_NS0_12zip_iteratorINS5_IJN6thrust23THRUST_200600_302600_NS6detail15normal_iteratorINSC_10device_ptrIKyEEEESI_EEEEESK_NSA_INS5_IJNSE_INSF_IyEEEESM_EEEEEPS7_SP_SP_NSC_11hip_rocprim7__merge17predicate_wrapperIyyNSC_7greaterImEEEEEE10hipError_tPvRmT0_T1_T2_T3_T4_T5_mmT6_P12ihipStream_tbEUlT_E_NS1_11comp_targetILNS1_3genE10ELNS1_11target_archE1201ELNS1_3gpuE5ELNS1_3repE0EEENS1_30default_config_static_selectorELNS0_4arch9wavefront6targetE0EEEvS10_.num_agpr, 0
	.set _ZN7rocprim17ROCPRIM_400000_NS6detail17trampoline_kernelINS0_14default_configENS1_21merge_config_selectorINS0_5tupleIJyyEEENS0_10empty_typeEEEZNS1_10merge_implIS3_NS0_12zip_iteratorINS5_IJN6thrust23THRUST_200600_302600_NS6detail15normal_iteratorINSC_10device_ptrIKyEEEESI_EEEEESK_NSA_INS5_IJNSE_INSF_IyEEEESM_EEEEEPS7_SP_SP_NSC_11hip_rocprim7__merge17predicate_wrapperIyyNSC_7greaterImEEEEEE10hipError_tPvRmT0_T1_T2_T3_T4_T5_mmT6_P12ihipStream_tbEUlT_E_NS1_11comp_targetILNS1_3genE10ELNS1_11target_archE1201ELNS1_3gpuE5ELNS1_3repE0EEENS1_30default_config_static_selectorELNS0_4arch9wavefront6targetE0EEEvS10_.numbered_sgpr, 0
	.set _ZN7rocprim17ROCPRIM_400000_NS6detail17trampoline_kernelINS0_14default_configENS1_21merge_config_selectorINS0_5tupleIJyyEEENS0_10empty_typeEEEZNS1_10merge_implIS3_NS0_12zip_iteratorINS5_IJN6thrust23THRUST_200600_302600_NS6detail15normal_iteratorINSC_10device_ptrIKyEEEESI_EEEEESK_NSA_INS5_IJNSE_INSF_IyEEEESM_EEEEEPS7_SP_SP_NSC_11hip_rocprim7__merge17predicate_wrapperIyyNSC_7greaterImEEEEEE10hipError_tPvRmT0_T1_T2_T3_T4_T5_mmT6_P12ihipStream_tbEUlT_E_NS1_11comp_targetILNS1_3genE10ELNS1_11target_archE1201ELNS1_3gpuE5ELNS1_3repE0EEENS1_30default_config_static_selectorELNS0_4arch9wavefront6targetE0EEEvS10_.num_named_barrier, 0
	.set _ZN7rocprim17ROCPRIM_400000_NS6detail17trampoline_kernelINS0_14default_configENS1_21merge_config_selectorINS0_5tupleIJyyEEENS0_10empty_typeEEEZNS1_10merge_implIS3_NS0_12zip_iteratorINS5_IJN6thrust23THRUST_200600_302600_NS6detail15normal_iteratorINSC_10device_ptrIKyEEEESI_EEEEESK_NSA_INS5_IJNSE_INSF_IyEEEESM_EEEEEPS7_SP_SP_NSC_11hip_rocprim7__merge17predicate_wrapperIyyNSC_7greaterImEEEEEE10hipError_tPvRmT0_T1_T2_T3_T4_T5_mmT6_P12ihipStream_tbEUlT_E_NS1_11comp_targetILNS1_3genE10ELNS1_11target_archE1201ELNS1_3gpuE5ELNS1_3repE0EEENS1_30default_config_static_selectorELNS0_4arch9wavefront6targetE0EEEvS10_.private_seg_size, 0
	.set _ZN7rocprim17ROCPRIM_400000_NS6detail17trampoline_kernelINS0_14default_configENS1_21merge_config_selectorINS0_5tupleIJyyEEENS0_10empty_typeEEEZNS1_10merge_implIS3_NS0_12zip_iteratorINS5_IJN6thrust23THRUST_200600_302600_NS6detail15normal_iteratorINSC_10device_ptrIKyEEEESI_EEEEESK_NSA_INS5_IJNSE_INSF_IyEEEESM_EEEEEPS7_SP_SP_NSC_11hip_rocprim7__merge17predicate_wrapperIyyNSC_7greaterImEEEEEE10hipError_tPvRmT0_T1_T2_T3_T4_T5_mmT6_P12ihipStream_tbEUlT_E_NS1_11comp_targetILNS1_3genE10ELNS1_11target_archE1201ELNS1_3gpuE5ELNS1_3repE0EEENS1_30default_config_static_selectorELNS0_4arch9wavefront6targetE0EEEvS10_.uses_vcc, 0
	.set _ZN7rocprim17ROCPRIM_400000_NS6detail17trampoline_kernelINS0_14default_configENS1_21merge_config_selectorINS0_5tupleIJyyEEENS0_10empty_typeEEEZNS1_10merge_implIS3_NS0_12zip_iteratorINS5_IJN6thrust23THRUST_200600_302600_NS6detail15normal_iteratorINSC_10device_ptrIKyEEEESI_EEEEESK_NSA_INS5_IJNSE_INSF_IyEEEESM_EEEEEPS7_SP_SP_NSC_11hip_rocprim7__merge17predicate_wrapperIyyNSC_7greaterImEEEEEE10hipError_tPvRmT0_T1_T2_T3_T4_T5_mmT6_P12ihipStream_tbEUlT_E_NS1_11comp_targetILNS1_3genE10ELNS1_11target_archE1201ELNS1_3gpuE5ELNS1_3repE0EEENS1_30default_config_static_selectorELNS0_4arch9wavefront6targetE0EEEvS10_.uses_flat_scratch, 0
	.set _ZN7rocprim17ROCPRIM_400000_NS6detail17trampoline_kernelINS0_14default_configENS1_21merge_config_selectorINS0_5tupleIJyyEEENS0_10empty_typeEEEZNS1_10merge_implIS3_NS0_12zip_iteratorINS5_IJN6thrust23THRUST_200600_302600_NS6detail15normal_iteratorINSC_10device_ptrIKyEEEESI_EEEEESK_NSA_INS5_IJNSE_INSF_IyEEEESM_EEEEEPS7_SP_SP_NSC_11hip_rocprim7__merge17predicate_wrapperIyyNSC_7greaterImEEEEEE10hipError_tPvRmT0_T1_T2_T3_T4_T5_mmT6_P12ihipStream_tbEUlT_E_NS1_11comp_targetILNS1_3genE10ELNS1_11target_archE1201ELNS1_3gpuE5ELNS1_3repE0EEENS1_30default_config_static_selectorELNS0_4arch9wavefront6targetE0EEEvS10_.has_dyn_sized_stack, 0
	.set _ZN7rocprim17ROCPRIM_400000_NS6detail17trampoline_kernelINS0_14default_configENS1_21merge_config_selectorINS0_5tupleIJyyEEENS0_10empty_typeEEEZNS1_10merge_implIS3_NS0_12zip_iteratorINS5_IJN6thrust23THRUST_200600_302600_NS6detail15normal_iteratorINSC_10device_ptrIKyEEEESI_EEEEESK_NSA_INS5_IJNSE_INSF_IyEEEESM_EEEEEPS7_SP_SP_NSC_11hip_rocprim7__merge17predicate_wrapperIyyNSC_7greaterImEEEEEE10hipError_tPvRmT0_T1_T2_T3_T4_T5_mmT6_P12ihipStream_tbEUlT_E_NS1_11comp_targetILNS1_3genE10ELNS1_11target_archE1201ELNS1_3gpuE5ELNS1_3repE0EEENS1_30default_config_static_selectorELNS0_4arch9wavefront6targetE0EEEvS10_.has_recursion, 0
	.set _ZN7rocprim17ROCPRIM_400000_NS6detail17trampoline_kernelINS0_14default_configENS1_21merge_config_selectorINS0_5tupleIJyyEEENS0_10empty_typeEEEZNS1_10merge_implIS3_NS0_12zip_iteratorINS5_IJN6thrust23THRUST_200600_302600_NS6detail15normal_iteratorINSC_10device_ptrIKyEEEESI_EEEEESK_NSA_INS5_IJNSE_INSF_IyEEEESM_EEEEEPS7_SP_SP_NSC_11hip_rocprim7__merge17predicate_wrapperIyyNSC_7greaterImEEEEEE10hipError_tPvRmT0_T1_T2_T3_T4_T5_mmT6_P12ihipStream_tbEUlT_E_NS1_11comp_targetILNS1_3genE10ELNS1_11target_archE1201ELNS1_3gpuE5ELNS1_3repE0EEENS1_30default_config_static_selectorELNS0_4arch9wavefront6targetE0EEEvS10_.has_indirect_call, 0
	.section	.AMDGPU.csdata,"",@progbits
; Kernel info:
; codeLenInByte = 0
; TotalNumSgprs: 0
; NumVgprs: 0
; ScratchSize: 0
; MemoryBound: 0
; FloatMode: 240
; IeeeMode: 1
; LDSByteSize: 0 bytes/workgroup (compile time only)
; SGPRBlocks: 0
; VGPRBlocks: 0
; NumSGPRsForWavesPerEU: 1
; NumVGPRsForWavesPerEU: 1
; NamedBarCnt: 0
; Occupancy: 16
; WaveLimiterHint : 0
; COMPUTE_PGM_RSRC2:SCRATCH_EN: 0
; COMPUTE_PGM_RSRC2:USER_SGPR: 2
; COMPUTE_PGM_RSRC2:TRAP_HANDLER: 0
; COMPUTE_PGM_RSRC2:TGID_X_EN: 1
; COMPUTE_PGM_RSRC2:TGID_Y_EN: 0
; COMPUTE_PGM_RSRC2:TGID_Z_EN: 0
; COMPUTE_PGM_RSRC2:TIDIG_COMP_CNT: 0
	.section	.text._ZN7rocprim17ROCPRIM_400000_NS6detail17trampoline_kernelINS0_14default_configENS1_21merge_config_selectorINS0_5tupleIJyyEEENS0_10empty_typeEEEZNS1_10merge_implIS3_NS0_12zip_iteratorINS5_IJN6thrust23THRUST_200600_302600_NS6detail15normal_iteratorINSC_10device_ptrIKyEEEESI_EEEEESK_NSA_INS5_IJNSE_INSF_IyEEEESM_EEEEEPS7_SP_SP_NSC_11hip_rocprim7__merge17predicate_wrapperIyyNSC_7greaterImEEEEEE10hipError_tPvRmT0_T1_T2_T3_T4_T5_mmT6_P12ihipStream_tbEUlT_E_NS1_11comp_targetILNS1_3genE10ELNS1_11target_archE1200ELNS1_3gpuE4ELNS1_3repE0EEENS1_30default_config_static_selectorELNS0_4arch9wavefront6targetE0EEEvS10_,"axG",@progbits,_ZN7rocprim17ROCPRIM_400000_NS6detail17trampoline_kernelINS0_14default_configENS1_21merge_config_selectorINS0_5tupleIJyyEEENS0_10empty_typeEEEZNS1_10merge_implIS3_NS0_12zip_iteratorINS5_IJN6thrust23THRUST_200600_302600_NS6detail15normal_iteratorINSC_10device_ptrIKyEEEESI_EEEEESK_NSA_INS5_IJNSE_INSF_IyEEEESM_EEEEEPS7_SP_SP_NSC_11hip_rocprim7__merge17predicate_wrapperIyyNSC_7greaterImEEEEEE10hipError_tPvRmT0_T1_T2_T3_T4_T5_mmT6_P12ihipStream_tbEUlT_E_NS1_11comp_targetILNS1_3genE10ELNS1_11target_archE1200ELNS1_3gpuE4ELNS1_3repE0EEENS1_30default_config_static_selectorELNS0_4arch9wavefront6targetE0EEEvS10_,comdat
	.protected	_ZN7rocprim17ROCPRIM_400000_NS6detail17trampoline_kernelINS0_14default_configENS1_21merge_config_selectorINS0_5tupleIJyyEEENS0_10empty_typeEEEZNS1_10merge_implIS3_NS0_12zip_iteratorINS5_IJN6thrust23THRUST_200600_302600_NS6detail15normal_iteratorINSC_10device_ptrIKyEEEESI_EEEEESK_NSA_INS5_IJNSE_INSF_IyEEEESM_EEEEEPS7_SP_SP_NSC_11hip_rocprim7__merge17predicate_wrapperIyyNSC_7greaterImEEEEEE10hipError_tPvRmT0_T1_T2_T3_T4_T5_mmT6_P12ihipStream_tbEUlT_E_NS1_11comp_targetILNS1_3genE10ELNS1_11target_archE1200ELNS1_3gpuE4ELNS1_3repE0EEENS1_30default_config_static_selectorELNS0_4arch9wavefront6targetE0EEEvS10_ ; -- Begin function _ZN7rocprim17ROCPRIM_400000_NS6detail17trampoline_kernelINS0_14default_configENS1_21merge_config_selectorINS0_5tupleIJyyEEENS0_10empty_typeEEEZNS1_10merge_implIS3_NS0_12zip_iteratorINS5_IJN6thrust23THRUST_200600_302600_NS6detail15normal_iteratorINSC_10device_ptrIKyEEEESI_EEEEESK_NSA_INS5_IJNSE_INSF_IyEEEESM_EEEEEPS7_SP_SP_NSC_11hip_rocprim7__merge17predicate_wrapperIyyNSC_7greaterImEEEEEE10hipError_tPvRmT0_T1_T2_T3_T4_T5_mmT6_P12ihipStream_tbEUlT_E_NS1_11comp_targetILNS1_3genE10ELNS1_11target_archE1200ELNS1_3gpuE4ELNS1_3repE0EEENS1_30default_config_static_selectorELNS0_4arch9wavefront6targetE0EEEvS10_
	.globl	_ZN7rocprim17ROCPRIM_400000_NS6detail17trampoline_kernelINS0_14default_configENS1_21merge_config_selectorINS0_5tupleIJyyEEENS0_10empty_typeEEEZNS1_10merge_implIS3_NS0_12zip_iteratorINS5_IJN6thrust23THRUST_200600_302600_NS6detail15normal_iteratorINSC_10device_ptrIKyEEEESI_EEEEESK_NSA_INS5_IJNSE_INSF_IyEEEESM_EEEEEPS7_SP_SP_NSC_11hip_rocprim7__merge17predicate_wrapperIyyNSC_7greaterImEEEEEE10hipError_tPvRmT0_T1_T2_T3_T4_T5_mmT6_P12ihipStream_tbEUlT_E_NS1_11comp_targetILNS1_3genE10ELNS1_11target_archE1200ELNS1_3gpuE4ELNS1_3repE0EEENS1_30default_config_static_selectorELNS0_4arch9wavefront6targetE0EEEvS10_
	.p2align	8
	.type	_ZN7rocprim17ROCPRIM_400000_NS6detail17trampoline_kernelINS0_14default_configENS1_21merge_config_selectorINS0_5tupleIJyyEEENS0_10empty_typeEEEZNS1_10merge_implIS3_NS0_12zip_iteratorINS5_IJN6thrust23THRUST_200600_302600_NS6detail15normal_iteratorINSC_10device_ptrIKyEEEESI_EEEEESK_NSA_INS5_IJNSE_INSF_IyEEEESM_EEEEEPS7_SP_SP_NSC_11hip_rocprim7__merge17predicate_wrapperIyyNSC_7greaterImEEEEEE10hipError_tPvRmT0_T1_T2_T3_T4_T5_mmT6_P12ihipStream_tbEUlT_E_NS1_11comp_targetILNS1_3genE10ELNS1_11target_archE1200ELNS1_3gpuE4ELNS1_3repE0EEENS1_30default_config_static_selectorELNS0_4arch9wavefront6targetE0EEEvS10_,@function
_ZN7rocprim17ROCPRIM_400000_NS6detail17trampoline_kernelINS0_14default_configENS1_21merge_config_selectorINS0_5tupleIJyyEEENS0_10empty_typeEEEZNS1_10merge_implIS3_NS0_12zip_iteratorINS5_IJN6thrust23THRUST_200600_302600_NS6detail15normal_iteratorINSC_10device_ptrIKyEEEESI_EEEEESK_NSA_INS5_IJNSE_INSF_IyEEEESM_EEEEEPS7_SP_SP_NSC_11hip_rocprim7__merge17predicate_wrapperIyyNSC_7greaterImEEEEEE10hipError_tPvRmT0_T1_T2_T3_T4_T5_mmT6_P12ihipStream_tbEUlT_E_NS1_11comp_targetILNS1_3genE10ELNS1_11target_archE1200ELNS1_3gpuE4ELNS1_3repE0EEENS1_30default_config_static_selectorELNS0_4arch9wavefront6targetE0EEEvS10_: ; @_ZN7rocprim17ROCPRIM_400000_NS6detail17trampoline_kernelINS0_14default_configENS1_21merge_config_selectorINS0_5tupleIJyyEEENS0_10empty_typeEEEZNS1_10merge_implIS3_NS0_12zip_iteratorINS5_IJN6thrust23THRUST_200600_302600_NS6detail15normal_iteratorINSC_10device_ptrIKyEEEESI_EEEEESK_NSA_INS5_IJNSE_INSF_IyEEEESM_EEEEEPS7_SP_SP_NSC_11hip_rocprim7__merge17predicate_wrapperIyyNSC_7greaterImEEEEEE10hipError_tPvRmT0_T1_T2_T3_T4_T5_mmT6_P12ihipStream_tbEUlT_E_NS1_11comp_targetILNS1_3genE10ELNS1_11target_archE1200ELNS1_3gpuE4ELNS1_3repE0EEENS1_30default_config_static_selectorELNS0_4arch9wavefront6targetE0EEEvS10_
; %bb.0:
	.section	.rodata,"a",@progbits
	.p2align	6, 0x0
	.amdhsa_kernel _ZN7rocprim17ROCPRIM_400000_NS6detail17trampoline_kernelINS0_14default_configENS1_21merge_config_selectorINS0_5tupleIJyyEEENS0_10empty_typeEEEZNS1_10merge_implIS3_NS0_12zip_iteratorINS5_IJN6thrust23THRUST_200600_302600_NS6detail15normal_iteratorINSC_10device_ptrIKyEEEESI_EEEEESK_NSA_INS5_IJNSE_INSF_IyEEEESM_EEEEEPS7_SP_SP_NSC_11hip_rocprim7__merge17predicate_wrapperIyyNSC_7greaterImEEEEEE10hipError_tPvRmT0_T1_T2_T3_T4_T5_mmT6_P12ihipStream_tbEUlT_E_NS1_11comp_targetILNS1_3genE10ELNS1_11target_archE1200ELNS1_3gpuE4ELNS1_3repE0EEENS1_30default_config_static_selectorELNS0_4arch9wavefront6targetE0EEEvS10_
		.amdhsa_group_segment_fixed_size 0
		.amdhsa_private_segment_fixed_size 0
		.amdhsa_kernarg_size 64
		.amdhsa_user_sgpr_count 2
		.amdhsa_user_sgpr_dispatch_ptr 0
		.amdhsa_user_sgpr_queue_ptr 0
		.amdhsa_user_sgpr_kernarg_segment_ptr 1
		.amdhsa_user_sgpr_dispatch_id 0
		.amdhsa_user_sgpr_kernarg_preload_length 0
		.amdhsa_user_sgpr_kernarg_preload_offset 0
		.amdhsa_user_sgpr_private_segment_size 0
		.amdhsa_wavefront_size32 1
		.amdhsa_uses_dynamic_stack 0
		.amdhsa_enable_private_segment 0
		.amdhsa_system_sgpr_workgroup_id_x 1
		.amdhsa_system_sgpr_workgroup_id_y 0
		.amdhsa_system_sgpr_workgroup_id_z 0
		.amdhsa_system_sgpr_workgroup_info 0
		.amdhsa_system_vgpr_workitem_id 0
		.amdhsa_next_free_vgpr 1
		.amdhsa_next_free_sgpr 1
		.amdhsa_named_barrier_count 0
		.amdhsa_reserve_vcc 0
		.amdhsa_float_round_mode_32 0
		.amdhsa_float_round_mode_16_64 0
		.amdhsa_float_denorm_mode_32 3
		.amdhsa_float_denorm_mode_16_64 3
		.amdhsa_fp16_overflow 0
		.amdhsa_memory_ordered 1
		.amdhsa_forward_progress 1
		.amdhsa_inst_pref_size 0
		.amdhsa_round_robin_scheduling 0
		.amdhsa_exception_fp_ieee_invalid_op 0
		.amdhsa_exception_fp_denorm_src 0
		.amdhsa_exception_fp_ieee_div_zero 0
		.amdhsa_exception_fp_ieee_overflow 0
		.amdhsa_exception_fp_ieee_underflow 0
		.amdhsa_exception_fp_ieee_inexact 0
		.amdhsa_exception_int_div_zero 0
	.end_amdhsa_kernel
	.section	.text._ZN7rocprim17ROCPRIM_400000_NS6detail17trampoline_kernelINS0_14default_configENS1_21merge_config_selectorINS0_5tupleIJyyEEENS0_10empty_typeEEEZNS1_10merge_implIS3_NS0_12zip_iteratorINS5_IJN6thrust23THRUST_200600_302600_NS6detail15normal_iteratorINSC_10device_ptrIKyEEEESI_EEEEESK_NSA_INS5_IJNSE_INSF_IyEEEESM_EEEEEPS7_SP_SP_NSC_11hip_rocprim7__merge17predicate_wrapperIyyNSC_7greaterImEEEEEE10hipError_tPvRmT0_T1_T2_T3_T4_T5_mmT6_P12ihipStream_tbEUlT_E_NS1_11comp_targetILNS1_3genE10ELNS1_11target_archE1200ELNS1_3gpuE4ELNS1_3repE0EEENS1_30default_config_static_selectorELNS0_4arch9wavefront6targetE0EEEvS10_,"axG",@progbits,_ZN7rocprim17ROCPRIM_400000_NS6detail17trampoline_kernelINS0_14default_configENS1_21merge_config_selectorINS0_5tupleIJyyEEENS0_10empty_typeEEEZNS1_10merge_implIS3_NS0_12zip_iteratorINS5_IJN6thrust23THRUST_200600_302600_NS6detail15normal_iteratorINSC_10device_ptrIKyEEEESI_EEEEESK_NSA_INS5_IJNSE_INSF_IyEEEESM_EEEEEPS7_SP_SP_NSC_11hip_rocprim7__merge17predicate_wrapperIyyNSC_7greaterImEEEEEE10hipError_tPvRmT0_T1_T2_T3_T4_T5_mmT6_P12ihipStream_tbEUlT_E_NS1_11comp_targetILNS1_3genE10ELNS1_11target_archE1200ELNS1_3gpuE4ELNS1_3repE0EEENS1_30default_config_static_selectorELNS0_4arch9wavefront6targetE0EEEvS10_,comdat
.Lfunc_end359:
	.size	_ZN7rocprim17ROCPRIM_400000_NS6detail17trampoline_kernelINS0_14default_configENS1_21merge_config_selectorINS0_5tupleIJyyEEENS0_10empty_typeEEEZNS1_10merge_implIS3_NS0_12zip_iteratorINS5_IJN6thrust23THRUST_200600_302600_NS6detail15normal_iteratorINSC_10device_ptrIKyEEEESI_EEEEESK_NSA_INS5_IJNSE_INSF_IyEEEESM_EEEEEPS7_SP_SP_NSC_11hip_rocprim7__merge17predicate_wrapperIyyNSC_7greaterImEEEEEE10hipError_tPvRmT0_T1_T2_T3_T4_T5_mmT6_P12ihipStream_tbEUlT_E_NS1_11comp_targetILNS1_3genE10ELNS1_11target_archE1200ELNS1_3gpuE4ELNS1_3repE0EEENS1_30default_config_static_selectorELNS0_4arch9wavefront6targetE0EEEvS10_, .Lfunc_end359-_ZN7rocprim17ROCPRIM_400000_NS6detail17trampoline_kernelINS0_14default_configENS1_21merge_config_selectorINS0_5tupleIJyyEEENS0_10empty_typeEEEZNS1_10merge_implIS3_NS0_12zip_iteratorINS5_IJN6thrust23THRUST_200600_302600_NS6detail15normal_iteratorINSC_10device_ptrIKyEEEESI_EEEEESK_NSA_INS5_IJNSE_INSF_IyEEEESM_EEEEEPS7_SP_SP_NSC_11hip_rocprim7__merge17predicate_wrapperIyyNSC_7greaterImEEEEEE10hipError_tPvRmT0_T1_T2_T3_T4_T5_mmT6_P12ihipStream_tbEUlT_E_NS1_11comp_targetILNS1_3genE10ELNS1_11target_archE1200ELNS1_3gpuE4ELNS1_3repE0EEENS1_30default_config_static_selectorELNS0_4arch9wavefront6targetE0EEEvS10_
                                        ; -- End function
	.set _ZN7rocprim17ROCPRIM_400000_NS6detail17trampoline_kernelINS0_14default_configENS1_21merge_config_selectorINS0_5tupleIJyyEEENS0_10empty_typeEEEZNS1_10merge_implIS3_NS0_12zip_iteratorINS5_IJN6thrust23THRUST_200600_302600_NS6detail15normal_iteratorINSC_10device_ptrIKyEEEESI_EEEEESK_NSA_INS5_IJNSE_INSF_IyEEEESM_EEEEEPS7_SP_SP_NSC_11hip_rocprim7__merge17predicate_wrapperIyyNSC_7greaterImEEEEEE10hipError_tPvRmT0_T1_T2_T3_T4_T5_mmT6_P12ihipStream_tbEUlT_E_NS1_11comp_targetILNS1_3genE10ELNS1_11target_archE1200ELNS1_3gpuE4ELNS1_3repE0EEENS1_30default_config_static_selectorELNS0_4arch9wavefront6targetE0EEEvS10_.num_vgpr, 0
	.set _ZN7rocprim17ROCPRIM_400000_NS6detail17trampoline_kernelINS0_14default_configENS1_21merge_config_selectorINS0_5tupleIJyyEEENS0_10empty_typeEEEZNS1_10merge_implIS3_NS0_12zip_iteratorINS5_IJN6thrust23THRUST_200600_302600_NS6detail15normal_iteratorINSC_10device_ptrIKyEEEESI_EEEEESK_NSA_INS5_IJNSE_INSF_IyEEEESM_EEEEEPS7_SP_SP_NSC_11hip_rocprim7__merge17predicate_wrapperIyyNSC_7greaterImEEEEEE10hipError_tPvRmT0_T1_T2_T3_T4_T5_mmT6_P12ihipStream_tbEUlT_E_NS1_11comp_targetILNS1_3genE10ELNS1_11target_archE1200ELNS1_3gpuE4ELNS1_3repE0EEENS1_30default_config_static_selectorELNS0_4arch9wavefront6targetE0EEEvS10_.num_agpr, 0
	.set _ZN7rocprim17ROCPRIM_400000_NS6detail17trampoline_kernelINS0_14default_configENS1_21merge_config_selectorINS0_5tupleIJyyEEENS0_10empty_typeEEEZNS1_10merge_implIS3_NS0_12zip_iteratorINS5_IJN6thrust23THRUST_200600_302600_NS6detail15normal_iteratorINSC_10device_ptrIKyEEEESI_EEEEESK_NSA_INS5_IJNSE_INSF_IyEEEESM_EEEEEPS7_SP_SP_NSC_11hip_rocprim7__merge17predicate_wrapperIyyNSC_7greaterImEEEEEE10hipError_tPvRmT0_T1_T2_T3_T4_T5_mmT6_P12ihipStream_tbEUlT_E_NS1_11comp_targetILNS1_3genE10ELNS1_11target_archE1200ELNS1_3gpuE4ELNS1_3repE0EEENS1_30default_config_static_selectorELNS0_4arch9wavefront6targetE0EEEvS10_.numbered_sgpr, 0
	.set _ZN7rocprim17ROCPRIM_400000_NS6detail17trampoline_kernelINS0_14default_configENS1_21merge_config_selectorINS0_5tupleIJyyEEENS0_10empty_typeEEEZNS1_10merge_implIS3_NS0_12zip_iteratorINS5_IJN6thrust23THRUST_200600_302600_NS6detail15normal_iteratorINSC_10device_ptrIKyEEEESI_EEEEESK_NSA_INS5_IJNSE_INSF_IyEEEESM_EEEEEPS7_SP_SP_NSC_11hip_rocprim7__merge17predicate_wrapperIyyNSC_7greaterImEEEEEE10hipError_tPvRmT0_T1_T2_T3_T4_T5_mmT6_P12ihipStream_tbEUlT_E_NS1_11comp_targetILNS1_3genE10ELNS1_11target_archE1200ELNS1_3gpuE4ELNS1_3repE0EEENS1_30default_config_static_selectorELNS0_4arch9wavefront6targetE0EEEvS10_.num_named_barrier, 0
	.set _ZN7rocprim17ROCPRIM_400000_NS6detail17trampoline_kernelINS0_14default_configENS1_21merge_config_selectorINS0_5tupleIJyyEEENS0_10empty_typeEEEZNS1_10merge_implIS3_NS0_12zip_iteratorINS5_IJN6thrust23THRUST_200600_302600_NS6detail15normal_iteratorINSC_10device_ptrIKyEEEESI_EEEEESK_NSA_INS5_IJNSE_INSF_IyEEEESM_EEEEEPS7_SP_SP_NSC_11hip_rocprim7__merge17predicate_wrapperIyyNSC_7greaterImEEEEEE10hipError_tPvRmT0_T1_T2_T3_T4_T5_mmT6_P12ihipStream_tbEUlT_E_NS1_11comp_targetILNS1_3genE10ELNS1_11target_archE1200ELNS1_3gpuE4ELNS1_3repE0EEENS1_30default_config_static_selectorELNS0_4arch9wavefront6targetE0EEEvS10_.private_seg_size, 0
	.set _ZN7rocprim17ROCPRIM_400000_NS6detail17trampoline_kernelINS0_14default_configENS1_21merge_config_selectorINS0_5tupleIJyyEEENS0_10empty_typeEEEZNS1_10merge_implIS3_NS0_12zip_iteratorINS5_IJN6thrust23THRUST_200600_302600_NS6detail15normal_iteratorINSC_10device_ptrIKyEEEESI_EEEEESK_NSA_INS5_IJNSE_INSF_IyEEEESM_EEEEEPS7_SP_SP_NSC_11hip_rocprim7__merge17predicate_wrapperIyyNSC_7greaterImEEEEEE10hipError_tPvRmT0_T1_T2_T3_T4_T5_mmT6_P12ihipStream_tbEUlT_E_NS1_11comp_targetILNS1_3genE10ELNS1_11target_archE1200ELNS1_3gpuE4ELNS1_3repE0EEENS1_30default_config_static_selectorELNS0_4arch9wavefront6targetE0EEEvS10_.uses_vcc, 0
	.set _ZN7rocprim17ROCPRIM_400000_NS6detail17trampoline_kernelINS0_14default_configENS1_21merge_config_selectorINS0_5tupleIJyyEEENS0_10empty_typeEEEZNS1_10merge_implIS3_NS0_12zip_iteratorINS5_IJN6thrust23THRUST_200600_302600_NS6detail15normal_iteratorINSC_10device_ptrIKyEEEESI_EEEEESK_NSA_INS5_IJNSE_INSF_IyEEEESM_EEEEEPS7_SP_SP_NSC_11hip_rocprim7__merge17predicate_wrapperIyyNSC_7greaterImEEEEEE10hipError_tPvRmT0_T1_T2_T3_T4_T5_mmT6_P12ihipStream_tbEUlT_E_NS1_11comp_targetILNS1_3genE10ELNS1_11target_archE1200ELNS1_3gpuE4ELNS1_3repE0EEENS1_30default_config_static_selectorELNS0_4arch9wavefront6targetE0EEEvS10_.uses_flat_scratch, 0
	.set _ZN7rocprim17ROCPRIM_400000_NS6detail17trampoline_kernelINS0_14default_configENS1_21merge_config_selectorINS0_5tupleIJyyEEENS0_10empty_typeEEEZNS1_10merge_implIS3_NS0_12zip_iteratorINS5_IJN6thrust23THRUST_200600_302600_NS6detail15normal_iteratorINSC_10device_ptrIKyEEEESI_EEEEESK_NSA_INS5_IJNSE_INSF_IyEEEESM_EEEEEPS7_SP_SP_NSC_11hip_rocprim7__merge17predicate_wrapperIyyNSC_7greaterImEEEEEE10hipError_tPvRmT0_T1_T2_T3_T4_T5_mmT6_P12ihipStream_tbEUlT_E_NS1_11comp_targetILNS1_3genE10ELNS1_11target_archE1200ELNS1_3gpuE4ELNS1_3repE0EEENS1_30default_config_static_selectorELNS0_4arch9wavefront6targetE0EEEvS10_.has_dyn_sized_stack, 0
	.set _ZN7rocprim17ROCPRIM_400000_NS6detail17trampoline_kernelINS0_14default_configENS1_21merge_config_selectorINS0_5tupleIJyyEEENS0_10empty_typeEEEZNS1_10merge_implIS3_NS0_12zip_iteratorINS5_IJN6thrust23THRUST_200600_302600_NS6detail15normal_iteratorINSC_10device_ptrIKyEEEESI_EEEEESK_NSA_INS5_IJNSE_INSF_IyEEEESM_EEEEEPS7_SP_SP_NSC_11hip_rocprim7__merge17predicate_wrapperIyyNSC_7greaterImEEEEEE10hipError_tPvRmT0_T1_T2_T3_T4_T5_mmT6_P12ihipStream_tbEUlT_E_NS1_11comp_targetILNS1_3genE10ELNS1_11target_archE1200ELNS1_3gpuE4ELNS1_3repE0EEENS1_30default_config_static_selectorELNS0_4arch9wavefront6targetE0EEEvS10_.has_recursion, 0
	.set _ZN7rocprim17ROCPRIM_400000_NS6detail17trampoline_kernelINS0_14default_configENS1_21merge_config_selectorINS0_5tupleIJyyEEENS0_10empty_typeEEEZNS1_10merge_implIS3_NS0_12zip_iteratorINS5_IJN6thrust23THRUST_200600_302600_NS6detail15normal_iteratorINSC_10device_ptrIKyEEEESI_EEEEESK_NSA_INS5_IJNSE_INSF_IyEEEESM_EEEEEPS7_SP_SP_NSC_11hip_rocprim7__merge17predicate_wrapperIyyNSC_7greaterImEEEEEE10hipError_tPvRmT0_T1_T2_T3_T4_T5_mmT6_P12ihipStream_tbEUlT_E_NS1_11comp_targetILNS1_3genE10ELNS1_11target_archE1200ELNS1_3gpuE4ELNS1_3repE0EEENS1_30default_config_static_selectorELNS0_4arch9wavefront6targetE0EEEvS10_.has_indirect_call, 0
	.section	.AMDGPU.csdata,"",@progbits
; Kernel info:
; codeLenInByte = 0
; TotalNumSgprs: 0
; NumVgprs: 0
; ScratchSize: 0
; MemoryBound: 0
; FloatMode: 240
; IeeeMode: 1
; LDSByteSize: 0 bytes/workgroup (compile time only)
; SGPRBlocks: 0
; VGPRBlocks: 0
; NumSGPRsForWavesPerEU: 1
; NumVGPRsForWavesPerEU: 1
; NamedBarCnt: 0
; Occupancy: 16
; WaveLimiterHint : 0
; COMPUTE_PGM_RSRC2:SCRATCH_EN: 0
; COMPUTE_PGM_RSRC2:USER_SGPR: 2
; COMPUTE_PGM_RSRC2:TRAP_HANDLER: 0
; COMPUTE_PGM_RSRC2:TGID_X_EN: 1
; COMPUTE_PGM_RSRC2:TGID_Y_EN: 0
; COMPUTE_PGM_RSRC2:TGID_Z_EN: 0
; COMPUTE_PGM_RSRC2:TIDIG_COMP_CNT: 0
	.section	.text._ZN7rocprim17ROCPRIM_400000_NS6detail17trampoline_kernelINS0_14default_configENS1_21merge_config_selectorINS0_5tupleIJyyEEENS0_10empty_typeEEEZNS1_10merge_implIS3_NS0_12zip_iteratorINS5_IJN6thrust23THRUST_200600_302600_NS6detail15normal_iteratorINSC_10device_ptrIKyEEEESI_EEEEESK_NSA_INS5_IJNSE_INSF_IyEEEESM_EEEEEPS7_SP_SP_NSC_11hip_rocprim7__merge17predicate_wrapperIyyNSC_7greaterImEEEEEE10hipError_tPvRmT0_T1_T2_T3_T4_T5_mmT6_P12ihipStream_tbEUlT_E_NS1_11comp_targetILNS1_3genE9ELNS1_11target_archE1100ELNS1_3gpuE3ELNS1_3repE0EEENS1_30default_config_static_selectorELNS0_4arch9wavefront6targetE0EEEvS10_,"axG",@progbits,_ZN7rocprim17ROCPRIM_400000_NS6detail17trampoline_kernelINS0_14default_configENS1_21merge_config_selectorINS0_5tupleIJyyEEENS0_10empty_typeEEEZNS1_10merge_implIS3_NS0_12zip_iteratorINS5_IJN6thrust23THRUST_200600_302600_NS6detail15normal_iteratorINSC_10device_ptrIKyEEEESI_EEEEESK_NSA_INS5_IJNSE_INSF_IyEEEESM_EEEEEPS7_SP_SP_NSC_11hip_rocprim7__merge17predicate_wrapperIyyNSC_7greaterImEEEEEE10hipError_tPvRmT0_T1_T2_T3_T4_T5_mmT6_P12ihipStream_tbEUlT_E_NS1_11comp_targetILNS1_3genE9ELNS1_11target_archE1100ELNS1_3gpuE3ELNS1_3repE0EEENS1_30default_config_static_selectorELNS0_4arch9wavefront6targetE0EEEvS10_,comdat
	.protected	_ZN7rocprim17ROCPRIM_400000_NS6detail17trampoline_kernelINS0_14default_configENS1_21merge_config_selectorINS0_5tupleIJyyEEENS0_10empty_typeEEEZNS1_10merge_implIS3_NS0_12zip_iteratorINS5_IJN6thrust23THRUST_200600_302600_NS6detail15normal_iteratorINSC_10device_ptrIKyEEEESI_EEEEESK_NSA_INS5_IJNSE_INSF_IyEEEESM_EEEEEPS7_SP_SP_NSC_11hip_rocprim7__merge17predicate_wrapperIyyNSC_7greaterImEEEEEE10hipError_tPvRmT0_T1_T2_T3_T4_T5_mmT6_P12ihipStream_tbEUlT_E_NS1_11comp_targetILNS1_3genE9ELNS1_11target_archE1100ELNS1_3gpuE3ELNS1_3repE0EEENS1_30default_config_static_selectorELNS0_4arch9wavefront6targetE0EEEvS10_ ; -- Begin function _ZN7rocprim17ROCPRIM_400000_NS6detail17trampoline_kernelINS0_14default_configENS1_21merge_config_selectorINS0_5tupleIJyyEEENS0_10empty_typeEEEZNS1_10merge_implIS3_NS0_12zip_iteratorINS5_IJN6thrust23THRUST_200600_302600_NS6detail15normal_iteratorINSC_10device_ptrIKyEEEESI_EEEEESK_NSA_INS5_IJNSE_INSF_IyEEEESM_EEEEEPS7_SP_SP_NSC_11hip_rocprim7__merge17predicate_wrapperIyyNSC_7greaterImEEEEEE10hipError_tPvRmT0_T1_T2_T3_T4_T5_mmT6_P12ihipStream_tbEUlT_E_NS1_11comp_targetILNS1_3genE9ELNS1_11target_archE1100ELNS1_3gpuE3ELNS1_3repE0EEENS1_30default_config_static_selectorELNS0_4arch9wavefront6targetE0EEEvS10_
	.globl	_ZN7rocprim17ROCPRIM_400000_NS6detail17trampoline_kernelINS0_14default_configENS1_21merge_config_selectorINS0_5tupleIJyyEEENS0_10empty_typeEEEZNS1_10merge_implIS3_NS0_12zip_iteratorINS5_IJN6thrust23THRUST_200600_302600_NS6detail15normal_iteratorINSC_10device_ptrIKyEEEESI_EEEEESK_NSA_INS5_IJNSE_INSF_IyEEEESM_EEEEEPS7_SP_SP_NSC_11hip_rocprim7__merge17predicate_wrapperIyyNSC_7greaterImEEEEEE10hipError_tPvRmT0_T1_T2_T3_T4_T5_mmT6_P12ihipStream_tbEUlT_E_NS1_11comp_targetILNS1_3genE9ELNS1_11target_archE1100ELNS1_3gpuE3ELNS1_3repE0EEENS1_30default_config_static_selectorELNS0_4arch9wavefront6targetE0EEEvS10_
	.p2align	8
	.type	_ZN7rocprim17ROCPRIM_400000_NS6detail17trampoline_kernelINS0_14default_configENS1_21merge_config_selectorINS0_5tupleIJyyEEENS0_10empty_typeEEEZNS1_10merge_implIS3_NS0_12zip_iteratorINS5_IJN6thrust23THRUST_200600_302600_NS6detail15normal_iteratorINSC_10device_ptrIKyEEEESI_EEEEESK_NSA_INS5_IJNSE_INSF_IyEEEESM_EEEEEPS7_SP_SP_NSC_11hip_rocprim7__merge17predicate_wrapperIyyNSC_7greaterImEEEEEE10hipError_tPvRmT0_T1_T2_T3_T4_T5_mmT6_P12ihipStream_tbEUlT_E_NS1_11comp_targetILNS1_3genE9ELNS1_11target_archE1100ELNS1_3gpuE3ELNS1_3repE0EEENS1_30default_config_static_selectorELNS0_4arch9wavefront6targetE0EEEvS10_,@function
_ZN7rocprim17ROCPRIM_400000_NS6detail17trampoline_kernelINS0_14default_configENS1_21merge_config_selectorINS0_5tupleIJyyEEENS0_10empty_typeEEEZNS1_10merge_implIS3_NS0_12zip_iteratorINS5_IJN6thrust23THRUST_200600_302600_NS6detail15normal_iteratorINSC_10device_ptrIKyEEEESI_EEEEESK_NSA_INS5_IJNSE_INSF_IyEEEESM_EEEEEPS7_SP_SP_NSC_11hip_rocprim7__merge17predicate_wrapperIyyNSC_7greaterImEEEEEE10hipError_tPvRmT0_T1_T2_T3_T4_T5_mmT6_P12ihipStream_tbEUlT_E_NS1_11comp_targetILNS1_3genE9ELNS1_11target_archE1100ELNS1_3gpuE3ELNS1_3repE0EEENS1_30default_config_static_selectorELNS0_4arch9wavefront6targetE0EEEvS10_: ; @_ZN7rocprim17ROCPRIM_400000_NS6detail17trampoline_kernelINS0_14default_configENS1_21merge_config_selectorINS0_5tupleIJyyEEENS0_10empty_typeEEEZNS1_10merge_implIS3_NS0_12zip_iteratorINS5_IJN6thrust23THRUST_200600_302600_NS6detail15normal_iteratorINSC_10device_ptrIKyEEEESI_EEEEESK_NSA_INS5_IJNSE_INSF_IyEEEESM_EEEEEPS7_SP_SP_NSC_11hip_rocprim7__merge17predicate_wrapperIyyNSC_7greaterImEEEEEE10hipError_tPvRmT0_T1_T2_T3_T4_T5_mmT6_P12ihipStream_tbEUlT_E_NS1_11comp_targetILNS1_3genE9ELNS1_11target_archE1100ELNS1_3gpuE3ELNS1_3repE0EEENS1_30default_config_static_selectorELNS0_4arch9wavefront6targetE0EEEvS10_
; %bb.0:
	.section	.rodata,"a",@progbits
	.p2align	6, 0x0
	.amdhsa_kernel _ZN7rocprim17ROCPRIM_400000_NS6detail17trampoline_kernelINS0_14default_configENS1_21merge_config_selectorINS0_5tupleIJyyEEENS0_10empty_typeEEEZNS1_10merge_implIS3_NS0_12zip_iteratorINS5_IJN6thrust23THRUST_200600_302600_NS6detail15normal_iteratorINSC_10device_ptrIKyEEEESI_EEEEESK_NSA_INS5_IJNSE_INSF_IyEEEESM_EEEEEPS7_SP_SP_NSC_11hip_rocprim7__merge17predicate_wrapperIyyNSC_7greaterImEEEEEE10hipError_tPvRmT0_T1_T2_T3_T4_T5_mmT6_P12ihipStream_tbEUlT_E_NS1_11comp_targetILNS1_3genE9ELNS1_11target_archE1100ELNS1_3gpuE3ELNS1_3repE0EEENS1_30default_config_static_selectorELNS0_4arch9wavefront6targetE0EEEvS10_
		.amdhsa_group_segment_fixed_size 0
		.amdhsa_private_segment_fixed_size 0
		.amdhsa_kernarg_size 64
		.amdhsa_user_sgpr_count 2
		.amdhsa_user_sgpr_dispatch_ptr 0
		.amdhsa_user_sgpr_queue_ptr 0
		.amdhsa_user_sgpr_kernarg_segment_ptr 1
		.amdhsa_user_sgpr_dispatch_id 0
		.amdhsa_user_sgpr_kernarg_preload_length 0
		.amdhsa_user_sgpr_kernarg_preload_offset 0
		.amdhsa_user_sgpr_private_segment_size 0
		.amdhsa_wavefront_size32 1
		.amdhsa_uses_dynamic_stack 0
		.amdhsa_enable_private_segment 0
		.amdhsa_system_sgpr_workgroup_id_x 1
		.amdhsa_system_sgpr_workgroup_id_y 0
		.amdhsa_system_sgpr_workgroup_id_z 0
		.amdhsa_system_sgpr_workgroup_info 0
		.amdhsa_system_vgpr_workitem_id 0
		.amdhsa_next_free_vgpr 1
		.amdhsa_next_free_sgpr 1
		.amdhsa_named_barrier_count 0
		.amdhsa_reserve_vcc 0
		.amdhsa_float_round_mode_32 0
		.amdhsa_float_round_mode_16_64 0
		.amdhsa_float_denorm_mode_32 3
		.amdhsa_float_denorm_mode_16_64 3
		.amdhsa_fp16_overflow 0
		.amdhsa_memory_ordered 1
		.amdhsa_forward_progress 1
		.amdhsa_inst_pref_size 0
		.amdhsa_round_robin_scheduling 0
		.amdhsa_exception_fp_ieee_invalid_op 0
		.amdhsa_exception_fp_denorm_src 0
		.amdhsa_exception_fp_ieee_div_zero 0
		.amdhsa_exception_fp_ieee_overflow 0
		.amdhsa_exception_fp_ieee_underflow 0
		.amdhsa_exception_fp_ieee_inexact 0
		.amdhsa_exception_int_div_zero 0
	.end_amdhsa_kernel
	.section	.text._ZN7rocprim17ROCPRIM_400000_NS6detail17trampoline_kernelINS0_14default_configENS1_21merge_config_selectorINS0_5tupleIJyyEEENS0_10empty_typeEEEZNS1_10merge_implIS3_NS0_12zip_iteratorINS5_IJN6thrust23THRUST_200600_302600_NS6detail15normal_iteratorINSC_10device_ptrIKyEEEESI_EEEEESK_NSA_INS5_IJNSE_INSF_IyEEEESM_EEEEEPS7_SP_SP_NSC_11hip_rocprim7__merge17predicate_wrapperIyyNSC_7greaterImEEEEEE10hipError_tPvRmT0_T1_T2_T3_T4_T5_mmT6_P12ihipStream_tbEUlT_E_NS1_11comp_targetILNS1_3genE9ELNS1_11target_archE1100ELNS1_3gpuE3ELNS1_3repE0EEENS1_30default_config_static_selectorELNS0_4arch9wavefront6targetE0EEEvS10_,"axG",@progbits,_ZN7rocprim17ROCPRIM_400000_NS6detail17trampoline_kernelINS0_14default_configENS1_21merge_config_selectorINS0_5tupleIJyyEEENS0_10empty_typeEEEZNS1_10merge_implIS3_NS0_12zip_iteratorINS5_IJN6thrust23THRUST_200600_302600_NS6detail15normal_iteratorINSC_10device_ptrIKyEEEESI_EEEEESK_NSA_INS5_IJNSE_INSF_IyEEEESM_EEEEEPS7_SP_SP_NSC_11hip_rocprim7__merge17predicate_wrapperIyyNSC_7greaterImEEEEEE10hipError_tPvRmT0_T1_T2_T3_T4_T5_mmT6_P12ihipStream_tbEUlT_E_NS1_11comp_targetILNS1_3genE9ELNS1_11target_archE1100ELNS1_3gpuE3ELNS1_3repE0EEENS1_30default_config_static_selectorELNS0_4arch9wavefront6targetE0EEEvS10_,comdat
.Lfunc_end360:
	.size	_ZN7rocprim17ROCPRIM_400000_NS6detail17trampoline_kernelINS0_14default_configENS1_21merge_config_selectorINS0_5tupleIJyyEEENS0_10empty_typeEEEZNS1_10merge_implIS3_NS0_12zip_iteratorINS5_IJN6thrust23THRUST_200600_302600_NS6detail15normal_iteratorINSC_10device_ptrIKyEEEESI_EEEEESK_NSA_INS5_IJNSE_INSF_IyEEEESM_EEEEEPS7_SP_SP_NSC_11hip_rocprim7__merge17predicate_wrapperIyyNSC_7greaterImEEEEEE10hipError_tPvRmT0_T1_T2_T3_T4_T5_mmT6_P12ihipStream_tbEUlT_E_NS1_11comp_targetILNS1_3genE9ELNS1_11target_archE1100ELNS1_3gpuE3ELNS1_3repE0EEENS1_30default_config_static_selectorELNS0_4arch9wavefront6targetE0EEEvS10_, .Lfunc_end360-_ZN7rocprim17ROCPRIM_400000_NS6detail17trampoline_kernelINS0_14default_configENS1_21merge_config_selectorINS0_5tupleIJyyEEENS0_10empty_typeEEEZNS1_10merge_implIS3_NS0_12zip_iteratorINS5_IJN6thrust23THRUST_200600_302600_NS6detail15normal_iteratorINSC_10device_ptrIKyEEEESI_EEEEESK_NSA_INS5_IJNSE_INSF_IyEEEESM_EEEEEPS7_SP_SP_NSC_11hip_rocprim7__merge17predicate_wrapperIyyNSC_7greaterImEEEEEE10hipError_tPvRmT0_T1_T2_T3_T4_T5_mmT6_P12ihipStream_tbEUlT_E_NS1_11comp_targetILNS1_3genE9ELNS1_11target_archE1100ELNS1_3gpuE3ELNS1_3repE0EEENS1_30default_config_static_selectorELNS0_4arch9wavefront6targetE0EEEvS10_
                                        ; -- End function
	.set _ZN7rocprim17ROCPRIM_400000_NS6detail17trampoline_kernelINS0_14default_configENS1_21merge_config_selectorINS0_5tupleIJyyEEENS0_10empty_typeEEEZNS1_10merge_implIS3_NS0_12zip_iteratorINS5_IJN6thrust23THRUST_200600_302600_NS6detail15normal_iteratorINSC_10device_ptrIKyEEEESI_EEEEESK_NSA_INS5_IJNSE_INSF_IyEEEESM_EEEEEPS7_SP_SP_NSC_11hip_rocprim7__merge17predicate_wrapperIyyNSC_7greaterImEEEEEE10hipError_tPvRmT0_T1_T2_T3_T4_T5_mmT6_P12ihipStream_tbEUlT_E_NS1_11comp_targetILNS1_3genE9ELNS1_11target_archE1100ELNS1_3gpuE3ELNS1_3repE0EEENS1_30default_config_static_selectorELNS0_4arch9wavefront6targetE0EEEvS10_.num_vgpr, 0
	.set _ZN7rocprim17ROCPRIM_400000_NS6detail17trampoline_kernelINS0_14default_configENS1_21merge_config_selectorINS0_5tupleIJyyEEENS0_10empty_typeEEEZNS1_10merge_implIS3_NS0_12zip_iteratorINS5_IJN6thrust23THRUST_200600_302600_NS6detail15normal_iteratorINSC_10device_ptrIKyEEEESI_EEEEESK_NSA_INS5_IJNSE_INSF_IyEEEESM_EEEEEPS7_SP_SP_NSC_11hip_rocprim7__merge17predicate_wrapperIyyNSC_7greaterImEEEEEE10hipError_tPvRmT0_T1_T2_T3_T4_T5_mmT6_P12ihipStream_tbEUlT_E_NS1_11comp_targetILNS1_3genE9ELNS1_11target_archE1100ELNS1_3gpuE3ELNS1_3repE0EEENS1_30default_config_static_selectorELNS0_4arch9wavefront6targetE0EEEvS10_.num_agpr, 0
	.set _ZN7rocprim17ROCPRIM_400000_NS6detail17trampoline_kernelINS0_14default_configENS1_21merge_config_selectorINS0_5tupleIJyyEEENS0_10empty_typeEEEZNS1_10merge_implIS3_NS0_12zip_iteratorINS5_IJN6thrust23THRUST_200600_302600_NS6detail15normal_iteratorINSC_10device_ptrIKyEEEESI_EEEEESK_NSA_INS5_IJNSE_INSF_IyEEEESM_EEEEEPS7_SP_SP_NSC_11hip_rocprim7__merge17predicate_wrapperIyyNSC_7greaterImEEEEEE10hipError_tPvRmT0_T1_T2_T3_T4_T5_mmT6_P12ihipStream_tbEUlT_E_NS1_11comp_targetILNS1_3genE9ELNS1_11target_archE1100ELNS1_3gpuE3ELNS1_3repE0EEENS1_30default_config_static_selectorELNS0_4arch9wavefront6targetE0EEEvS10_.numbered_sgpr, 0
	.set _ZN7rocprim17ROCPRIM_400000_NS6detail17trampoline_kernelINS0_14default_configENS1_21merge_config_selectorINS0_5tupleIJyyEEENS0_10empty_typeEEEZNS1_10merge_implIS3_NS0_12zip_iteratorINS5_IJN6thrust23THRUST_200600_302600_NS6detail15normal_iteratorINSC_10device_ptrIKyEEEESI_EEEEESK_NSA_INS5_IJNSE_INSF_IyEEEESM_EEEEEPS7_SP_SP_NSC_11hip_rocprim7__merge17predicate_wrapperIyyNSC_7greaterImEEEEEE10hipError_tPvRmT0_T1_T2_T3_T4_T5_mmT6_P12ihipStream_tbEUlT_E_NS1_11comp_targetILNS1_3genE9ELNS1_11target_archE1100ELNS1_3gpuE3ELNS1_3repE0EEENS1_30default_config_static_selectorELNS0_4arch9wavefront6targetE0EEEvS10_.num_named_barrier, 0
	.set _ZN7rocprim17ROCPRIM_400000_NS6detail17trampoline_kernelINS0_14default_configENS1_21merge_config_selectorINS0_5tupleIJyyEEENS0_10empty_typeEEEZNS1_10merge_implIS3_NS0_12zip_iteratorINS5_IJN6thrust23THRUST_200600_302600_NS6detail15normal_iteratorINSC_10device_ptrIKyEEEESI_EEEEESK_NSA_INS5_IJNSE_INSF_IyEEEESM_EEEEEPS7_SP_SP_NSC_11hip_rocprim7__merge17predicate_wrapperIyyNSC_7greaterImEEEEEE10hipError_tPvRmT0_T1_T2_T3_T4_T5_mmT6_P12ihipStream_tbEUlT_E_NS1_11comp_targetILNS1_3genE9ELNS1_11target_archE1100ELNS1_3gpuE3ELNS1_3repE0EEENS1_30default_config_static_selectorELNS0_4arch9wavefront6targetE0EEEvS10_.private_seg_size, 0
	.set _ZN7rocprim17ROCPRIM_400000_NS6detail17trampoline_kernelINS0_14default_configENS1_21merge_config_selectorINS0_5tupleIJyyEEENS0_10empty_typeEEEZNS1_10merge_implIS3_NS0_12zip_iteratorINS5_IJN6thrust23THRUST_200600_302600_NS6detail15normal_iteratorINSC_10device_ptrIKyEEEESI_EEEEESK_NSA_INS5_IJNSE_INSF_IyEEEESM_EEEEEPS7_SP_SP_NSC_11hip_rocprim7__merge17predicate_wrapperIyyNSC_7greaterImEEEEEE10hipError_tPvRmT0_T1_T2_T3_T4_T5_mmT6_P12ihipStream_tbEUlT_E_NS1_11comp_targetILNS1_3genE9ELNS1_11target_archE1100ELNS1_3gpuE3ELNS1_3repE0EEENS1_30default_config_static_selectorELNS0_4arch9wavefront6targetE0EEEvS10_.uses_vcc, 0
	.set _ZN7rocprim17ROCPRIM_400000_NS6detail17trampoline_kernelINS0_14default_configENS1_21merge_config_selectorINS0_5tupleIJyyEEENS0_10empty_typeEEEZNS1_10merge_implIS3_NS0_12zip_iteratorINS5_IJN6thrust23THRUST_200600_302600_NS6detail15normal_iteratorINSC_10device_ptrIKyEEEESI_EEEEESK_NSA_INS5_IJNSE_INSF_IyEEEESM_EEEEEPS7_SP_SP_NSC_11hip_rocprim7__merge17predicate_wrapperIyyNSC_7greaterImEEEEEE10hipError_tPvRmT0_T1_T2_T3_T4_T5_mmT6_P12ihipStream_tbEUlT_E_NS1_11comp_targetILNS1_3genE9ELNS1_11target_archE1100ELNS1_3gpuE3ELNS1_3repE0EEENS1_30default_config_static_selectorELNS0_4arch9wavefront6targetE0EEEvS10_.uses_flat_scratch, 0
	.set _ZN7rocprim17ROCPRIM_400000_NS6detail17trampoline_kernelINS0_14default_configENS1_21merge_config_selectorINS0_5tupleIJyyEEENS0_10empty_typeEEEZNS1_10merge_implIS3_NS0_12zip_iteratorINS5_IJN6thrust23THRUST_200600_302600_NS6detail15normal_iteratorINSC_10device_ptrIKyEEEESI_EEEEESK_NSA_INS5_IJNSE_INSF_IyEEEESM_EEEEEPS7_SP_SP_NSC_11hip_rocprim7__merge17predicate_wrapperIyyNSC_7greaterImEEEEEE10hipError_tPvRmT0_T1_T2_T3_T4_T5_mmT6_P12ihipStream_tbEUlT_E_NS1_11comp_targetILNS1_3genE9ELNS1_11target_archE1100ELNS1_3gpuE3ELNS1_3repE0EEENS1_30default_config_static_selectorELNS0_4arch9wavefront6targetE0EEEvS10_.has_dyn_sized_stack, 0
	.set _ZN7rocprim17ROCPRIM_400000_NS6detail17trampoline_kernelINS0_14default_configENS1_21merge_config_selectorINS0_5tupleIJyyEEENS0_10empty_typeEEEZNS1_10merge_implIS3_NS0_12zip_iteratorINS5_IJN6thrust23THRUST_200600_302600_NS6detail15normal_iteratorINSC_10device_ptrIKyEEEESI_EEEEESK_NSA_INS5_IJNSE_INSF_IyEEEESM_EEEEEPS7_SP_SP_NSC_11hip_rocprim7__merge17predicate_wrapperIyyNSC_7greaterImEEEEEE10hipError_tPvRmT0_T1_T2_T3_T4_T5_mmT6_P12ihipStream_tbEUlT_E_NS1_11comp_targetILNS1_3genE9ELNS1_11target_archE1100ELNS1_3gpuE3ELNS1_3repE0EEENS1_30default_config_static_selectorELNS0_4arch9wavefront6targetE0EEEvS10_.has_recursion, 0
	.set _ZN7rocprim17ROCPRIM_400000_NS6detail17trampoline_kernelINS0_14default_configENS1_21merge_config_selectorINS0_5tupleIJyyEEENS0_10empty_typeEEEZNS1_10merge_implIS3_NS0_12zip_iteratorINS5_IJN6thrust23THRUST_200600_302600_NS6detail15normal_iteratorINSC_10device_ptrIKyEEEESI_EEEEESK_NSA_INS5_IJNSE_INSF_IyEEEESM_EEEEEPS7_SP_SP_NSC_11hip_rocprim7__merge17predicate_wrapperIyyNSC_7greaterImEEEEEE10hipError_tPvRmT0_T1_T2_T3_T4_T5_mmT6_P12ihipStream_tbEUlT_E_NS1_11comp_targetILNS1_3genE9ELNS1_11target_archE1100ELNS1_3gpuE3ELNS1_3repE0EEENS1_30default_config_static_selectorELNS0_4arch9wavefront6targetE0EEEvS10_.has_indirect_call, 0
	.section	.AMDGPU.csdata,"",@progbits
; Kernel info:
; codeLenInByte = 0
; TotalNumSgprs: 0
; NumVgprs: 0
; ScratchSize: 0
; MemoryBound: 0
; FloatMode: 240
; IeeeMode: 1
; LDSByteSize: 0 bytes/workgroup (compile time only)
; SGPRBlocks: 0
; VGPRBlocks: 0
; NumSGPRsForWavesPerEU: 1
; NumVGPRsForWavesPerEU: 1
; NamedBarCnt: 0
; Occupancy: 16
; WaveLimiterHint : 0
; COMPUTE_PGM_RSRC2:SCRATCH_EN: 0
; COMPUTE_PGM_RSRC2:USER_SGPR: 2
; COMPUTE_PGM_RSRC2:TRAP_HANDLER: 0
; COMPUTE_PGM_RSRC2:TGID_X_EN: 1
; COMPUTE_PGM_RSRC2:TGID_Y_EN: 0
; COMPUTE_PGM_RSRC2:TGID_Z_EN: 0
; COMPUTE_PGM_RSRC2:TIDIG_COMP_CNT: 0
	.section	.text._ZN7rocprim17ROCPRIM_400000_NS6detail17trampoline_kernelINS0_14default_configENS1_21merge_config_selectorINS0_5tupleIJyyEEENS0_10empty_typeEEEZNS1_10merge_implIS3_NS0_12zip_iteratorINS5_IJN6thrust23THRUST_200600_302600_NS6detail15normal_iteratorINSC_10device_ptrIKyEEEESI_EEEEESK_NSA_INS5_IJNSE_INSF_IyEEEESM_EEEEEPS7_SP_SP_NSC_11hip_rocprim7__merge17predicate_wrapperIyyNSC_7greaterImEEEEEE10hipError_tPvRmT0_T1_T2_T3_T4_T5_mmT6_P12ihipStream_tbEUlT_E_NS1_11comp_targetILNS1_3genE8ELNS1_11target_archE1030ELNS1_3gpuE2ELNS1_3repE0EEENS1_30default_config_static_selectorELNS0_4arch9wavefront6targetE0EEEvS10_,"axG",@progbits,_ZN7rocprim17ROCPRIM_400000_NS6detail17trampoline_kernelINS0_14default_configENS1_21merge_config_selectorINS0_5tupleIJyyEEENS0_10empty_typeEEEZNS1_10merge_implIS3_NS0_12zip_iteratorINS5_IJN6thrust23THRUST_200600_302600_NS6detail15normal_iteratorINSC_10device_ptrIKyEEEESI_EEEEESK_NSA_INS5_IJNSE_INSF_IyEEEESM_EEEEEPS7_SP_SP_NSC_11hip_rocprim7__merge17predicate_wrapperIyyNSC_7greaterImEEEEEE10hipError_tPvRmT0_T1_T2_T3_T4_T5_mmT6_P12ihipStream_tbEUlT_E_NS1_11comp_targetILNS1_3genE8ELNS1_11target_archE1030ELNS1_3gpuE2ELNS1_3repE0EEENS1_30default_config_static_selectorELNS0_4arch9wavefront6targetE0EEEvS10_,comdat
	.protected	_ZN7rocprim17ROCPRIM_400000_NS6detail17trampoline_kernelINS0_14default_configENS1_21merge_config_selectorINS0_5tupleIJyyEEENS0_10empty_typeEEEZNS1_10merge_implIS3_NS0_12zip_iteratorINS5_IJN6thrust23THRUST_200600_302600_NS6detail15normal_iteratorINSC_10device_ptrIKyEEEESI_EEEEESK_NSA_INS5_IJNSE_INSF_IyEEEESM_EEEEEPS7_SP_SP_NSC_11hip_rocprim7__merge17predicate_wrapperIyyNSC_7greaterImEEEEEE10hipError_tPvRmT0_T1_T2_T3_T4_T5_mmT6_P12ihipStream_tbEUlT_E_NS1_11comp_targetILNS1_3genE8ELNS1_11target_archE1030ELNS1_3gpuE2ELNS1_3repE0EEENS1_30default_config_static_selectorELNS0_4arch9wavefront6targetE0EEEvS10_ ; -- Begin function _ZN7rocprim17ROCPRIM_400000_NS6detail17trampoline_kernelINS0_14default_configENS1_21merge_config_selectorINS0_5tupleIJyyEEENS0_10empty_typeEEEZNS1_10merge_implIS3_NS0_12zip_iteratorINS5_IJN6thrust23THRUST_200600_302600_NS6detail15normal_iteratorINSC_10device_ptrIKyEEEESI_EEEEESK_NSA_INS5_IJNSE_INSF_IyEEEESM_EEEEEPS7_SP_SP_NSC_11hip_rocprim7__merge17predicate_wrapperIyyNSC_7greaterImEEEEEE10hipError_tPvRmT0_T1_T2_T3_T4_T5_mmT6_P12ihipStream_tbEUlT_E_NS1_11comp_targetILNS1_3genE8ELNS1_11target_archE1030ELNS1_3gpuE2ELNS1_3repE0EEENS1_30default_config_static_selectorELNS0_4arch9wavefront6targetE0EEEvS10_
	.globl	_ZN7rocprim17ROCPRIM_400000_NS6detail17trampoline_kernelINS0_14default_configENS1_21merge_config_selectorINS0_5tupleIJyyEEENS0_10empty_typeEEEZNS1_10merge_implIS3_NS0_12zip_iteratorINS5_IJN6thrust23THRUST_200600_302600_NS6detail15normal_iteratorINSC_10device_ptrIKyEEEESI_EEEEESK_NSA_INS5_IJNSE_INSF_IyEEEESM_EEEEEPS7_SP_SP_NSC_11hip_rocprim7__merge17predicate_wrapperIyyNSC_7greaterImEEEEEE10hipError_tPvRmT0_T1_T2_T3_T4_T5_mmT6_P12ihipStream_tbEUlT_E_NS1_11comp_targetILNS1_3genE8ELNS1_11target_archE1030ELNS1_3gpuE2ELNS1_3repE0EEENS1_30default_config_static_selectorELNS0_4arch9wavefront6targetE0EEEvS10_
	.p2align	8
	.type	_ZN7rocprim17ROCPRIM_400000_NS6detail17trampoline_kernelINS0_14default_configENS1_21merge_config_selectorINS0_5tupleIJyyEEENS0_10empty_typeEEEZNS1_10merge_implIS3_NS0_12zip_iteratorINS5_IJN6thrust23THRUST_200600_302600_NS6detail15normal_iteratorINSC_10device_ptrIKyEEEESI_EEEEESK_NSA_INS5_IJNSE_INSF_IyEEEESM_EEEEEPS7_SP_SP_NSC_11hip_rocprim7__merge17predicate_wrapperIyyNSC_7greaterImEEEEEE10hipError_tPvRmT0_T1_T2_T3_T4_T5_mmT6_P12ihipStream_tbEUlT_E_NS1_11comp_targetILNS1_3genE8ELNS1_11target_archE1030ELNS1_3gpuE2ELNS1_3repE0EEENS1_30default_config_static_selectorELNS0_4arch9wavefront6targetE0EEEvS10_,@function
_ZN7rocprim17ROCPRIM_400000_NS6detail17trampoline_kernelINS0_14default_configENS1_21merge_config_selectorINS0_5tupleIJyyEEENS0_10empty_typeEEEZNS1_10merge_implIS3_NS0_12zip_iteratorINS5_IJN6thrust23THRUST_200600_302600_NS6detail15normal_iteratorINSC_10device_ptrIKyEEEESI_EEEEESK_NSA_INS5_IJNSE_INSF_IyEEEESM_EEEEEPS7_SP_SP_NSC_11hip_rocprim7__merge17predicate_wrapperIyyNSC_7greaterImEEEEEE10hipError_tPvRmT0_T1_T2_T3_T4_T5_mmT6_P12ihipStream_tbEUlT_E_NS1_11comp_targetILNS1_3genE8ELNS1_11target_archE1030ELNS1_3gpuE2ELNS1_3repE0EEENS1_30default_config_static_selectorELNS0_4arch9wavefront6targetE0EEEvS10_: ; @_ZN7rocprim17ROCPRIM_400000_NS6detail17trampoline_kernelINS0_14default_configENS1_21merge_config_selectorINS0_5tupleIJyyEEENS0_10empty_typeEEEZNS1_10merge_implIS3_NS0_12zip_iteratorINS5_IJN6thrust23THRUST_200600_302600_NS6detail15normal_iteratorINSC_10device_ptrIKyEEEESI_EEEEESK_NSA_INS5_IJNSE_INSF_IyEEEESM_EEEEEPS7_SP_SP_NSC_11hip_rocprim7__merge17predicate_wrapperIyyNSC_7greaterImEEEEEE10hipError_tPvRmT0_T1_T2_T3_T4_T5_mmT6_P12ihipStream_tbEUlT_E_NS1_11comp_targetILNS1_3genE8ELNS1_11target_archE1030ELNS1_3gpuE2ELNS1_3repE0EEENS1_30default_config_static_selectorELNS0_4arch9wavefront6targetE0EEEvS10_
; %bb.0:
	.section	.rodata,"a",@progbits
	.p2align	6, 0x0
	.amdhsa_kernel _ZN7rocprim17ROCPRIM_400000_NS6detail17trampoline_kernelINS0_14default_configENS1_21merge_config_selectorINS0_5tupleIJyyEEENS0_10empty_typeEEEZNS1_10merge_implIS3_NS0_12zip_iteratorINS5_IJN6thrust23THRUST_200600_302600_NS6detail15normal_iteratorINSC_10device_ptrIKyEEEESI_EEEEESK_NSA_INS5_IJNSE_INSF_IyEEEESM_EEEEEPS7_SP_SP_NSC_11hip_rocprim7__merge17predicate_wrapperIyyNSC_7greaterImEEEEEE10hipError_tPvRmT0_T1_T2_T3_T4_T5_mmT6_P12ihipStream_tbEUlT_E_NS1_11comp_targetILNS1_3genE8ELNS1_11target_archE1030ELNS1_3gpuE2ELNS1_3repE0EEENS1_30default_config_static_selectorELNS0_4arch9wavefront6targetE0EEEvS10_
		.amdhsa_group_segment_fixed_size 0
		.amdhsa_private_segment_fixed_size 0
		.amdhsa_kernarg_size 64
		.amdhsa_user_sgpr_count 2
		.amdhsa_user_sgpr_dispatch_ptr 0
		.amdhsa_user_sgpr_queue_ptr 0
		.amdhsa_user_sgpr_kernarg_segment_ptr 1
		.amdhsa_user_sgpr_dispatch_id 0
		.amdhsa_user_sgpr_kernarg_preload_length 0
		.amdhsa_user_sgpr_kernarg_preload_offset 0
		.amdhsa_user_sgpr_private_segment_size 0
		.amdhsa_wavefront_size32 1
		.amdhsa_uses_dynamic_stack 0
		.amdhsa_enable_private_segment 0
		.amdhsa_system_sgpr_workgroup_id_x 1
		.amdhsa_system_sgpr_workgroup_id_y 0
		.amdhsa_system_sgpr_workgroup_id_z 0
		.amdhsa_system_sgpr_workgroup_info 0
		.amdhsa_system_vgpr_workitem_id 0
		.amdhsa_next_free_vgpr 1
		.amdhsa_next_free_sgpr 1
		.amdhsa_named_barrier_count 0
		.amdhsa_reserve_vcc 0
		.amdhsa_float_round_mode_32 0
		.amdhsa_float_round_mode_16_64 0
		.amdhsa_float_denorm_mode_32 3
		.amdhsa_float_denorm_mode_16_64 3
		.amdhsa_fp16_overflow 0
		.amdhsa_memory_ordered 1
		.amdhsa_forward_progress 1
		.amdhsa_inst_pref_size 0
		.amdhsa_round_robin_scheduling 0
		.amdhsa_exception_fp_ieee_invalid_op 0
		.amdhsa_exception_fp_denorm_src 0
		.amdhsa_exception_fp_ieee_div_zero 0
		.amdhsa_exception_fp_ieee_overflow 0
		.amdhsa_exception_fp_ieee_underflow 0
		.amdhsa_exception_fp_ieee_inexact 0
		.amdhsa_exception_int_div_zero 0
	.end_amdhsa_kernel
	.section	.text._ZN7rocprim17ROCPRIM_400000_NS6detail17trampoline_kernelINS0_14default_configENS1_21merge_config_selectorINS0_5tupleIJyyEEENS0_10empty_typeEEEZNS1_10merge_implIS3_NS0_12zip_iteratorINS5_IJN6thrust23THRUST_200600_302600_NS6detail15normal_iteratorINSC_10device_ptrIKyEEEESI_EEEEESK_NSA_INS5_IJNSE_INSF_IyEEEESM_EEEEEPS7_SP_SP_NSC_11hip_rocprim7__merge17predicate_wrapperIyyNSC_7greaterImEEEEEE10hipError_tPvRmT0_T1_T2_T3_T4_T5_mmT6_P12ihipStream_tbEUlT_E_NS1_11comp_targetILNS1_3genE8ELNS1_11target_archE1030ELNS1_3gpuE2ELNS1_3repE0EEENS1_30default_config_static_selectorELNS0_4arch9wavefront6targetE0EEEvS10_,"axG",@progbits,_ZN7rocprim17ROCPRIM_400000_NS6detail17trampoline_kernelINS0_14default_configENS1_21merge_config_selectorINS0_5tupleIJyyEEENS0_10empty_typeEEEZNS1_10merge_implIS3_NS0_12zip_iteratorINS5_IJN6thrust23THRUST_200600_302600_NS6detail15normal_iteratorINSC_10device_ptrIKyEEEESI_EEEEESK_NSA_INS5_IJNSE_INSF_IyEEEESM_EEEEEPS7_SP_SP_NSC_11hip_rocprim7__merge17predicate_wrapperIyyNSC_7greaterImEEEEEE10hipError_tPvRmT0_T1_T2_T3_T4_T5_mmT6_P12ihipStream_tbEUlT_E_NS1_11comp_targetILNS1_3genE8ELNS1_11target_archE1030ELNS1_3gpuE2ELNS1_3repE0EEENS1_30default_config_static_selectorELNS0_4arch9wavefront6targetE0EEEvS10_,comdat
.Lfunc_end361:
	.size	_ZN7rocprim17ROCPRIM_400000_NS6detail17trampoline_kernelINS0_14default_configENS1_21merge_config_selectorINS0_5tupleIJyyEEENS0_10empty_typeEEEZNS1_10merge_implIS3_NS0_12zip_iteratorINS5_IJN6thrust23THRUST_200600_302600_NS6detail15normal_iteratorINSC_10device_ptrIKyEEEESI_EEEEESK_NSA_INS5_IJNSE_INSF_IyEEEESM_EEEEEPS7_SP_SP_NSC_11hip_rocprim7__merge17predicate_wrapperIyyNSC_7greaterImEEEEEE10hipError_tPvRmT0_T1_T2_T3_T4_T5_mmT6_P12ihipStream_tbEUlT_E_NS1_11comp_targetILNS1_3genE8ELNS1_11target_archE1030ELNS1_3gpuE2ELNS1_3repE0EEENS1_30default_config_static_selectorELNS0_4arch9wavefront6targetE0EEEvS10_, .Lfunc_end361-_ZN7rocprim17ROCPRIM_400000_NS6detail17trampoline_kernelINS0_14default_configENS1_21merge_config_selectorINS0_5tupleIJyyEEENS0_10empty_typeEEEZNS1_10merge_implIS3_NS0_12zip_iteratorINS5_IJN6thrust23THRUST_200600_302600_NS6detail15normal_iteratorINSC_10device_ptrIKyEEEESI_EEEEESK_NSA_INS5_IJNSE_INSF_IyEEEESM_EEEEEPS7_SP_SP_NSC_11hip_rocprim7__merge17predicate_wrapperIyyNSC_7greaterImEEEEEE10hipError_tPvRmT0_T1_T2_T3_T4_T5_mmT6_P12ihipStream_tbEUlT_E_NS1_11comp_targetILNS1_3genE8ELNS1_11target_archE1030ELNS1_3gpuE2ELNS1_3repE0EEENS1_30default_config_static_selectorELNS0_4arch9wavefront6targetE0EEEvS10_
                                        ; -- End function
	.set _ZN7rocprim17ROCPRIM_400000_NS6detail17trampoline_kernelINS0_14default_configENS1_21merge_config_selectorINS0_5tupleIJyyEEENS0_10empty_typeEEEZNS1_10merge_implIS3_NS0_12zip_iteratorINS5_IJN6thrust23THRUST_200600_302600_NS6detail15normal_iteratorINSC_10device_ptrIKyEEEESI_EEEEESK_NSA_INS5_IJNSE_INSF_IyEEEESM_EEEEEPS7_SP_SP_NSC_11hip_rocprim7__merge17predicate_wrapperIyyNSC_7greaterImEEEEEE10hipError_tPvRmT0_T1_T2_T3_T4_T5_mmT6_P12ihipStream_tbEUlT_E_NS1_11comp_targetILNS1_3genE8ELNS1_11target_archE1030ELNS1_3gpuE2ELNS1_3repE0EEENS1_30default_config_static_selectorELNS0_4arch9wavefront6targetE0EEEvS10_.num_vgpr, 0
	.set _ZN7rocprim17ROCPRIM_400000_NS6detail17trampoline_kernelINS0_14default_configENS1_21merge_config_selectorINS0_5tupleIJyyEEENS0_10empty_typeEEEZNS1_10merge_implIS3_NS0_12zip_iteratorINS5_IJN6thrust23THRUST_200600_302600_NS6detail15normal_iteratorINSC_10device_ptrIKyEEEESI_EEEEESK_NSA_INS5_IJNSE_INSF_IyEEEESM_EEEEEPS7_SP_SP_NSC_11hip_rocprim7__merge17predicate_wrapperIyyNSC_7greaterImEEEEEE10hipError_tPvRmT0_T1_T2_T3_T4_T5_mmT6_P12ihipStream_tbEUlT_E_NS1_11comp_targetILNS1_3genE8ELNS1_11target_archE1030ELNS1_3gpuE2ELNS1_3repE0EEENS1_30default_config_static_selectorELNS0_4arch9wavefront6targetE0EEEvS10_.num_agpr, 0
	.set _ZN7rocprim17ROCPRIM_400000_NS6detail17trampoline_kernelINS0_14default_configENS1_21merge_config_selectorINS0_5tupleIJyyEEENS0_10empty_typeEEEZNS1_10merge_implIS3_NS0_12zip_iteratorINS5_IJN6thrust23THRUST_200600_302600_NS6detail15normal_iteratorINSC_10device_ptrIKyEEEESI_EEEEESK_NSA_INS5_IJNSE_INSF_IyEEEESM_EEEEEPS7_SP_SP_NSC_11hip_rocprim7__merge17predicate_wrapperIyyNSC_7greaterImEEEEEE10hipError_tPvRmT0_T1_T2_T3_T4_T5_mmT6_P12ihipStream_tbEUlT_E_NS1_11comp_targetILNS1_3genE8ELNS1_11target_archE1030ELNS1_3gpuE2ELNS1_3repE0EEENS1_30default_config_static_selectorELNS0_4arch9wavefront6targetE0EEEvS10_.numbered_sgpr, 0
	.set _ZN7rocprim17ROCPRIM_400000_NS6detail17trampoline_kernelINS0_14default_configENS1_21merge_config_selectorINS0_5tupleIJyyEEENS0_10empty_typeEEEZNS1_10merge_implIS3_NS0_12zip_iteratorINS5_IJN6thrust23THRUST_200600_302600_NS6detail15normal_iteratorINSC_10device_ptrIKyEEEESI_EEEEESK_NSA_INS5_IJNSE_INSF_IyEEEESM_EEEEEPS7_SP_SP_NSC_11hip_rocprim7__merge17predicate_wrapperIyyNSC_7greaterImEEEEEE10hipError_tPvRmT0_T1_T2_T3_T4_T5_mmT6_P12ihipStream_tbEUlT_E_NS1_11comp_targetILNS1_3genE8ELNS1_11target_archE1030ELNS1_3gpuE2ELNS1_3repE0EEENS1_30default_config_static_selectorELNS0_4arch9wavefront6targetE0EEEvS10_.num_named_barrier, 0
	.set _ZN7rocprim17ROCPRIM_400000_NS6detail17trampoline_kernelINS0_14default_configENS1_21merge_config_selectorINS0_5tupleIJyyEEENS0_10empty_typeEEEZNS1_10merge_implIS3_NS0_12zip_iteratorINS5_IJN6thrust23THRUST_200600_302600_NS6detail15normal_iteratorINSC_10device_ptrIKyEEEESI_EEEEESK_NSA_INS5_IJNSE_INSF_IyEEEESM_EEEEEPS7_SP_SP_NSC_11hip_rocprim7__merge17predicate_wrapperIyyNSC_7greaterImEEEEEE10hipError_tPvRmT0_T1_T2_T3_T4_T5_mmT6_P12ihipStream_tbEUlT_E_NS1_11comp_targetILNS1_3genE8ELNS1_11target_archE1030ELNS1_3gpuE2ELNS1_3repE0EEENS1_30default_config_static_selectorELNS0_4arch9wavefront6targetE0EEEvS10_.private_seg_size, 0
	.set _ZN7rocprim17ROCPRIM_400000_NS6detail17trampoline_kernelINS0_14default_configENS1_21merge_config_selectorINS0_5tupleIJyyEEENS0_10empty_typeEEEZNS1_10merge_implIS3_NS0_12zip_iteratorINS5_IJN6thrust23THRUST_200600_302600_NS6detail15normal_iteratorINSC_10device_ptrIKyEEEESI_EEEEESK_NSA_INS5_IJNSE_INSF_IyEEEESM_EEEEEPS7_SP_SP_NSC_11hip_rocprim7__merge17predicate_wrapperIyyNSC_7greaterImEEEEEE10hipError_tPvRmT0_T1_T2_T3_T4_T5_mmT6_P12ihipStream_tbEUlT_E_NS1_11comp_targetILNS1_3genE8ELNS1_11target_archE1030ELNS1_3gpuE2ELNS1_3repE0EEENS1_30default_config_static_selectorELNS0_4arch9wavefront6targetE0EEEvS10_.uses_vcc, 0
	.set _ZN7rocprim17ROCPRIM_400000_NS6detail17trampoline_kernelINS0_14default_configENS1_21merge_config_selectorINS0_5tupleIJyyEEENS0_10empty_typeEEEZNS1_10merge_implIS3_NS0_12zip_iteratorINS5_IJN6thrust23THRUST_200600_302600_NS6detail15normal_iteratorINSC_10device_ptrIKyEEEESI_EEEEESK_NSA_INS5_IJNSE_INSF_IyEEEESM_EEEEEPS7_SP_SP_NSC_11hip_rocprim7__merge17predicate_wrapperIyyNSC_7greaterImEEEEEE10hipError_tPvRmT0_T1_T2_T3_T4_T5_mmT6_P12ihipStream_tbEUlT_E_NS1_11comp_targetILNS1_3genE8ELNS1_11target_archE1030ELNS1_3gpuE2ELNS1_3repE0EEENS1_30default_config_static_selectorELNS0_4arch9wavefront6targetE0EEEvS10_.uses_flat_scratch, 0
	.set _ZN7rocprim17ROCPRIM_400000_NS6detail17trampoline_kernelINS0_14default_configENS1_21merge_config_selectorINS0_5tupleIJyyEEENS0_10empty_typeEEEZNS1_10merge_implIS3_NS0_12zip_iteratorINS5_IJN6thrust23THRUST_200600_302600_NS6detail15normal_iteratorINSC_10device_ptrIKyEEEESI_EEEEESK_NSA_INS5_IJNSE_INSF_IyEEEESM_EEEEEPS7_SP_SP_NSC_11hip_rocprim7__merge17predicate_wrapperIyyNSC_7greaterImEEEEEE10hipError_tPvRmT0_T1_T2_T3_T4_T5_mmT6_P12ihipStream_tbEUlT_E_NS1_11comp_targetILNS1_3genE8ELNS1_11target_archE1030ELNS1_3gpuE2ELNS1_3repE0EEENS1_30default_config_static_selectorELNS0_4arch9wavefront6targetE0EEEvS10_.has_dyn_sized_stack, 0
	.set _ZN7rocprim17ROCPRIM_400000_NS6detail17trampoline_kernelINS0_14default_configENS1_21merge_config_selectorINS0_5tupleIJyyEEENS0_10empty_typeEEEZNS1_10merge_implIS3_NS0_12zip_iteratorINS5_IJN6thrust23THRUST_200600_302600_NS6detail15normal_iteratorINSC_10device_ptrIKyEEEESI_EEEEESK_NSA_INS5_IJNSE_INSF_IyEEEESM_EEEEEPS7_SP_SP_NSC_11hip_rocprim7__merge17predicate_wrapperIyyNSC_7greaterImEEEEEE10hipError_tPvRmT0_T1_T2_T3_T4_T5_mmT6_P12ihipStream_tbEUlT_E_NS1_11comp_targetILNS1_3genE8ELNS1_11target_archE1030ELNS1_3gpuE2ELNS1_3repE0EEENS1_30default_config_static_selectorELNS0_4arch9wavefront6targetE0EEEvS10_.has_recursion, 0
	.set _ZN7rocprim17ROCPRIM_400000_NS6detail17trampoline_kernelINS0_14default_configENS1_21merge_config_selectorINS0_5tupleIJyyEEENS0_10empty_typeEEEZNS1_10merge_implIS3_NS0_12zip_iteratorINS5_IJN6thrust23THRUST_200600_302600_NS6detail15normal_iteratorINSC_10device_ptrIKyEEEESI_EEEEESK_NSA_INS5_IJNSE_INSF_IyEEEESM_EEEEEPS7_SP_SP_NSC_11hip_rocprim7__merge17predicate_wrapperIyyNSC_7greaterImEEEEEE10hipError_tPvRmT0_T1_T2_T3_T4_T5_mmT6_P12ihipStream_tbEUlT_E_NS1_11comp_targetILNS1_3genE8ELNS1_11target_archE1030ELNS1_3gpuE2ELNS1_3repE0EEENS1_30default_config_static_selectorELNS0_4arch9wavefront6targetE0EEEvS10_.has_indirect_call, 0
	.section	.AMDGPU.csdata,"",@progbits
; Kernel info:
; codeLenInByte = 0
; TotalNumSgprs: 0
; NumVgprs: 0
; ScratchSize: 0
; MemoryBound: 0
; FloatMode: 240
; IeeeMode: 1
; LDSByteSize: 0 bytes/workgroup (compile time only)
; SGPRBlocks: 0
; VGPRBlocks: 0
; NumSGPRsForWavesPerEU: 1
; NumVGPRsForWavesPerEU: 1
; NamedBarCnt: 0
; Occupancy: 16
; WaveLimiterHint : 0
; COMPUTE_PGM_RSRC2:SCRATCH_EN: 0
; COMPUTE_PGM_RSRC2:USER_SGPR: 2
; COMPUTE_PGM_RSRC2:TRAP_HANDLER: 0
; COMPUTE_PGM_RSRC2:TGID_X_EN: 1
; COMPUTE_PGM_RSRC2:TGID_Y_EN: 0
; COMPUTE_PGM_RSRC2:TGID_Z_EN: 0
; COMPUTE_PGM_RSRC2:TIDIG_COMP_CNT: 0
	.section	.text._ZN7rocprim17ROCPRIM_400000_NS6detail17trampoline_kernelINS0_14default_configENS1_21merge_config_selectorINS0_5tupleIJyyEEENS0_10empty_typeEEEZNS1_10merge_implIS3_NS0_12zip_iteratorINS5_IJN6thrust23THRUST_200600_302600_NS6detail15normal_iteratorINSC_10device_ptrIKyEEEESI_EEEEESK_NSA_INS5_IJNSE_INSF_IyEEEESM_EEEEEPS7_SP_SP_NSC_11hip_rocprim7__merge17predicate_wrapperIyyNSC_7greaterImEEEEEE10hipError_tPvRmT0_T1_T2_T3_T4_T5_mmT6_P12ihipStream_tbEUlT_E0_NS1_11comp_targetILNS1_3genE0ELNS1_11target_archE4294967295ELNS1_3gpuE0ELNS1_3repE0EEENS1_30default_config_static_selectorELNS0_4arch9wavefront6targetE0EEEvS10_,"axG",@progbits,_ZN7rocprim17ROCPRIM_400000_NS6detail17trampoline_kernelINS0_14default_configENS1_21merge_config_selectorINS0_5tupleIJyyEEENS0_10empty_typeEEEZNS1_10merge_implIS3_NS0_12zip_iteratorINS5_IJN6thrust23THRUST_200600_302600_NS6detail15normal_iteratorINSC_10device_ptrIKyEEEESI_EEEEESK_NSA_INS5_IJNSE_INSF_IyEEEESM_EEEEEPS7_SP_SP_NSC_11hip_rocprim7__merge17predicate_wrapperIyyNSC_7greaterImEEEEEE10hipError_tPvRmT0_T1_T2_T3_T4_T5_mmT6_P12ihipStream_tbEUlT_E0_NS1_11comp_targetILNS1_3genE0ELNS1_11target_archE4294967295ELNS1_3gpuE0ELNS1_3repE0EEENS1_30default_config_static_selectorELNS0_4arch9wavefront6targetE0EEEvS10_,comdat
	.protected	_ZN7rocprim17ROCPRIM_400000_NS6detail17trampoline_kernelINS0_14default_configENS1_21merge_config_selectorINS0_5tupleIJyyEEENS0_10empty_typeEEEZNS1_10merge_implIS3_NS0_12zip_iteratorINS5_IJN6thrust23THRUST_200600_302600_NS6detail15normal_iteratorINSC_10device_ptrIKyEEEESI_EEEEESK_NSA_INS5_IJNSE_INSF_IyEEEESM_EEEEEPS7_SP_SP_NSC_11hip_rocprim7__merge17predicate_wrapperIyyNSC_7greaterImEEEEEE10hipError_tPvRmT0_T1_T2_T3_T4_T5_mmT6_P12ihipStream_tbEUlT_E0_NS1_11comp_targetILNS1_3genE0ELNS1_11target_archE4294967295ELNS1_3gpuE0ELNS1_3repE0EEENS1_30default_config_static_selectorELNS0_4arch9wavefront6targetE0EEEvS10_ ; -- Begin function _ZN7rocprim17ROCPRIM_400000_NS6detail17trampoline_kernelINS0_14default_configENS1_21merge_config_selectorINS0_5tupleIJyyEEENS0_10empty_typeEEEZNS1_10merge_implIS3_NS0_12zip_iteratorINS5_IJN6thrust23THRUST_200600_302600_NS6detail15normal_iteratorINSC_10device_ptrIKyEEEESI_EEEEESK_NSA_INS5_IJNSE_INSF_IyEEEESM_EEEEEPS7_SP_SP_NSC_11hip_rocprim7__merge17predicate_wrapperIyyNSC_7greaterImEEEEEE10hipError_tPvRmT0_T1_T2_T3_T4_T5_mmT6_P12ihipStream_tbEUlT_E0_NS1_11comp_targetILNS1_3genE0ELNS1_11target_archE4294967295ELNS1_3gpuE0ELNS1_3repE0EEENS1_30default_config_static_selectorELNS0_4arch9wavefront6targetE0EEEvS10_
	.globl	_ZN7rocprim17ROCPRIM_400000_NS6detail17trampoline_kernelINS0_14default_configENS1_21merge_config_selectorINS0_5tupleIJyyEEENS0_10empty_typeEEEZNS1_10merge_implIS3_NS0_12zip_iteratorINS5_IJN6thrust23THRUST_200600_302600_NS6detail15normal_iteratorINSC_10device_ptrIKyEEEESI_EEEEESK_NSA_INS5_IJNSE_INSF_IyEEEESM_EEEEEPS7_SP_SP_NSC_11hip_rocprim7__merge17predicate_wrapperIyyNSC_7greaterImEEEEEE10hipError_tPvRmT0_T1_T2_T3_T4_T5_mmT6_P12ihipStream_tbEUlT_E0_NS1_11comp_targetILNS1_3genE0ELNS1_11target_archE4294967295ELNS1_3gpuE0ELNS1_3repE0EEENS1_30default_config_static_selectorELNS0_4arch9wavefront6targetE0EEEvS10_
	.p2align	8
	.type	_ZN7rocprim17ROCPRIM_400000_NS6detail17trampoline_kernelINS0_14default_configENS1_21merge_config_selectorINS0_5tupleIJyyEEENS0_10empty_typeEEEZNS1_10merge_implIS3_NS0_12zip_iteratorINS5_IJN6thrust23THRUST_200600_302600_NS6detail15normal_iteratorINSC_10device_ptrIKyEEEESI_EEEEESK_NSA_INS5_IJNSE_INSF_IyEEEESM_EEEEEPS7_SP_SP_NSC_11hip_rocprim7__merge17predicate_wrapperIyyNSC_7greaterImEEEEEE10hipError_tPvRmT0_T1_T2_T3_T4_T5_mmT6_P12ihipStream_tbEUlT_E0_NS1_11comp_targetILNS1_3genE0ELNS1_11target_archE4294967295ELNS1_3gpuE0ELNS1_3repE0EEENS1_30default_config_static_selectorELNS0_4arch9wavefront6targetE0EEEvS10_,@function
_ZN7rocprim17ROCPRIM_400000_NS6detail17trampoline_kernelINS0_14default_configENS1_21merge_config_selectorINS0_5tupleIJyyEEENS0_10empty_typeEEEZNS1_10merge_implIS3_NS0_12zip_iteratorINS5_IJN6thrust23THRUST_200600_302600_NS6detail15normal_iteratorINSC_10device_ptrIKyEEEESI_EEEEESK_NSA_INS5_IJNSE_INSF_IyEEEESM_EEEEEPS7_SP_SP_NSC_11hip_rocprim7__merge17predicate_wrapperIyyNSC_7greaterImEEEEEE10hipError_tPvRmT0_T1_T2_T3_T4_T5_mmT6_P12ihipStream_tbEUlT_E0_NS1_11comp_targetILNS1_3genE0ELNS1_11target_archE4294967295ELNS1_3gpuE0ELNS1_3repE0EEENS1_30default_config_static_selectorELNS0_4arch9wavefront6targetE0EEEvS10_: ; @_ZN7rocprim17ROCPRIM_400000_NS6detail17trampoline_kernelINS0_14default_configENS1_21merge_config_selectorINS0_5tupleIJyyEEENS0_10empty_typeEEEZNS1_10merge_implIS3_NS0_12zip_iteratorINS5_IJN6thrust23THRUST_200600_302600_NS6detail15normal_iteratorINSC_10device_ptrIKyEEEESI_EEEEESK_NSA_INS5_IJNSE_INSF_IyEEEESM_EEEEEPS7_SP_SP_NSC_11hip_rocprim7__merge17predicate_wrapperIyyNSC_7greaterImEEEEEE10hipError_tPvRmT0_T1_T2_T3_T4_T5_mmT6_P12ihipStream_tbEUlT_E0_NS1_11comp_targetILNS1_3genE0ELNS1_11target_archE4294967295ELNS1_3gpuE0ELNS1_3repE0EEENS1_30default_config_static_selectorELNS0_4arch9wavefront6targetE0EEEvS10_
; %bb.0:
	s_clause 0x1
	s_load_b128 s[12:15], s[0:1], 0x58
	s_load_b256 s[4:11], s[0:1], 0x8
	s_bfe_u32 s2, ttmp6, 0x4000c
	s_and_b32 s3, ttmp6, 15
	s_add_co_i32 s2, s2, 1
	s_wait_kmcnt 0x0
	s_getreg_b32 s13, hwreg(HW_REG_IB_STS2, 6, 4)
	s_mul_i32 s2, ttmp9, s2
	v_mov_b32_e32 v1, 0
	s_add_co_i32 s3, s3, s2
	s_cmp_eq_u32 s13, 0
	s_cselect_b32 s16, ttmp9, s3
	s_delay_alu instid0(SALU_CYCLE_1) | instskip(SKIP_1) | instid1(SALU_CYCLE_1)
	s_add_co_i32 s3, s16, 1
	s_add_co_i32 s24, s14, s12
	;; [unrolled: 1-line block ×3, first 2 shown]
	s_delay_alu instid0(SALU_CYCLE_1) | instskip(NEXT) | instid1(SALU_CYCLE_1)
	s_lshr_b32 s2, s2, 10
	s_min_u32 s17, s16, s2
	s_min_u32 s3, s3, s2
	s_clause 0x1
	s_load_b32 s2, s[4:5], s17 offset:0x0 scale_offset
	s_load_b32 s20, s[4:5], s3 offset:0x0 scale_offset
	s_load_b128 s[12:15], s[0:1], 0x28
	s_wait_xcnt 0x0
	s_mov_b32 s3, 0
	s_lshl_b32 s4, s16, 10
	s_mov_b32 s17, s3
	s_add_co_i32 s5, s4, 0x400
	s_delay_alu instid0(SALU_CYCLE_1)
	s_min_u32 s5, s24, s5
	s_wait_kmcnt 0x0
	s_sub_co_i32 s16, s4, s2
	s_lshl_b64 s[22:23], s[2:3], 3
	s_sub_co_i32 s2, s20, s2
	s_lshl_b64 s[18:19], s[16:17], 3
	s_add_co_i32 s20, s16, s20
	s_add_nc_u64 s[16:17], s[10:11], s[18:19]
	s_sub_co_i32 s10, s5, s20
	s_mov_b32 s11, s3
	s_add_nc_u64 s[12:13], s[12:13], s[18:19]
	s_add_nc_u64 s[20:21], s[10:11], s[2:3]
	s_mov_b32 s5, exec_lo
	v_cmpx_le_u32_e64 s2, v0
	s_xor_b32 s5, exec_lo, s5
	s_cbranch_execz .LBB362_4
; %bb.1:
	s_mov_b32 s11, exec_lo
	v_cmpx_gt_u64_e64 s[20:21], v[0:1]
	s_cbranch_execz .LBB362_3
; %bb.2:
	v_subrev_nc_u32_e32 v6, s2, v0
	s_clause 0x1
	global_load_b64 v[2:3], v6, s[16:17] scale_offset
	global_load_b64 v[4:5], v6, s[12:13] scale_offset
	s_wait_xcnt 0x0
	v_lshlrev_b32_e32 v6, 4, v0
	s_wait_loadcnt 0x0
	ds_store_b128 v6, v[2:5]
.LBB362_3:
	s_or_b32 exec_lo, exec_lo, s11
.LBB362_4:
	s_or_saveexec_b32 s5, s5
	v_lshlrev_b32_e32 v14, 4, v0
	s_add_nc_u64 s[18:19], s[6:7], s[22:23]
	s_add_nc_u64 s[8:9], s[8:9], s[22:23]
	s_xor_b32 exec_lo, exec_lo, s5
	s_cbranch_execz .LBB362_6
; %bb.5:
	s_clause 0x1
	global_load_b64 v[2:3], v0, s[18:19] scale_offset
	global_load_b64 v[4:5], v0, s[8:9] scale_offset
	s_wait_loadcnt 0x0
	ds_store_b128 v14, v[2:5]
.LBB362_6:
	s_or_b32 exec_lo, exec_lo, s5
	v_or_b32_e32 v12, 0x200, v0
	v_mov_b32_e32 v13, 0
	s_mov_b32 s5, exec_lo
	s_delay_alu instid0(VALU_DEP_2)
	v_cmpx_le_u32_e64 s2, v12
	s_xor_b32 s5, exec_lo, s5
	s_cbranch_execz .LBB362_10
; %bb.7:
	s_mov_b32 s6, exec_lo
	v_cmpx_gt_u64_e64 s[20:21], v[12:13]
	s_cbranch_execz .LBB362_9
; %bb.8:
	v_sub_nc_u64_e64 v[2:3], v[0:1], s[2:3]
	s_delay_alu instid0(VALU_DEP_1) | instskip(NEXT) | instid1(VALU_DEP_1)
	v_lshlrev_b64_e32 v[2:3], 3, v[2:3]
	v_add_nc_u64_e32 v[6:7], s[16:17], v[2:3]
	v_add_nc_u64_e32 v[8:9], s[12:13], v[2:3]
	global_load_b64 v[2:3], v[6:7], off offset:4096
	global_load_b64 v[4:5], v[8:9], off offset:4096
	s_wait_loadcnt 0x0
	ds_store_b128 v14, v[2:5] offset:8192
.LBB362_9:
	s_or_b32 exec_lo, exec_lo, s6
.LBB362_10:
	s_or_saveexec_b32 s3, s5
	s_load_b64 s[6:7], s[0:1], 0x38
	s_xor_b32 exec_lo, exec_lo, s3
	s_cbranch_execz .LBB362_12
; %bb.11:
	s_clause 0x1
	global_load_b64 v[2:3], v0, s[18:19] offset:4096 scale_offset
	global_load_b64 v[4:5], v0, s[8:9] offset:4096 scale_offset
	s_wait_loadcnt 0x0
	ds_store_b128 v14, v[2:5] offset:8192
.LBB362_12:
	s_or_b32 exec_lo, exec_lo, s3
	v_lshlrev_b32_e32 v1, 1, v0
	s_wait_xcnt 0x0
	s_mov_b32 s0, exec_lo
	s_wait_dscnt 0x0
	s_barrier_signal -1
	s_barrier_wait -1
	v_sub_nc_u32_e64 v13, v1, s10 clamp
	v_min_u32_e32 v2, s2, v1
	s_delay_alu instid0(VALU_DEP_1)
	v_cmpx_lt_u32_e64 v13, v2
	s_cbranch_execz .LBB362_16
; %bb.13:
	v_lshlrev_b32_e32 v3, 4, v1
	s_mov_b32 s1, 0
	s_delay_alu instid0(VALU_DEP_1)
	v_lshl_add_u32 v3, s2, 4, v3
.LBB362_14:                             ; =>This Inner Loop Header: Depth=1
	v_add_nc_u32_e32 v4, v2, v13
	s_delay_alu instid0(VALU_DEP_1) | instskip(NEXT) | instid1(VALU_DEP_1)
	v_lshrrev_b32_e32 v8, 1, v4
	v_not_b32_e32 v4, v8
	v_lshlrev_b32_e32 v5, 4, v8
	s_delay_alu instid0(VALU_DEP_2)
	v_lshl_add_u32 v6, v4, 4, v3
	ds_load_b64 v[4:5], v5
	ds_load_b64 v[6:7], v6
	s_wait_dscnt 0x0
	v_cmp_gt_u64_e32 vcc_lo, v[6:7], v[4:5]
	v_add_nc_u32_e32 v4, 1, v8
	s_delay_alu instid0(VALU_DEP_1) | instskip(NEXT) | instid1(VALU_DEP_1)
	v_dual_cndmask_b32 v13, v4, v13 :: v_dual_cndmask_b32 v2, v2, v8
	v_cmp_ge_u32_e32 vcc_lo, v13, v2
	s_or_b32 s1, vcc_lo, s1
	s_delay_alu instid0(SALU_CYCLE_1)
	s_and_not1_b32 exec_lo, exec_lo, s1
	s_cbranch_execnz .LBB362_14
; %bb.15:
	s_or_b32 exec_lo, exec_lo, s1
.LBB362_16:
	s_delay_alu instid0(SALU_CYCLE_1)
	s_or_b32 exec_lo, exec_lo, s0
	v_add_nc_u32_e32 v2, s2, v1
	s_add_co_i32 s5, s10, s2
	v_cmp_ge_u32_e32 vcc_lo, s2, v13
	v_mov_b64_e32 v[4:5], 0
	v_mov_b64_e32 v[8:9], 0
	v_sub_nc_u32_e32 v15, v2, v13
	v_mov_b64_e32 v[6:7], 0
	v_mov_b64_e32 v[2:3], 0
	s_delay_alu instid0(VALU_DEP_3) | instskip(SKIP_1) | instid1(SALU_CYCLE_1)
	v_cmp_ge_u32_e64 s0, s5, v15
	s_or_b32 s0, vcc_lo, s0
	s_and_saveexec_b32 s3, s0
	s_cbranch_execz .LBB362_22
; %bb.17:
	v_mov_b64_e32 v[10:11], 0
	v_mov_b64_e32 v[6:7], 0
	;; [unrolled: 1-line block ×3, first 2 shown]
	v_cmp_gt_u32_e32 vcc_lo, s2, v13
	s_and_saveexec_b32 s0, vcc_lo
; %bb.18:
	v_lshlrev_b32_e32 v2, 4, v13
	ds_load_b128 v[4:7], v2
; %bb.19:
	s_or_b32 exec_lo, exec_lo, s0
	v_mov_b64_e32 v[8:9], 0
	v_cmp_le_u32_e64 s0, s5, v15
	s_mov_b32 s8, exec_lo
	v_cmpx_gt_u32_e64 s5, v15
; %bb.20:
	v_lshlrev_b32_e32 v2, 4, v15
	ds_load_b128 v[8:11], v2
; %bb.21:
	s_or_b32 exec_lo, exec_lo, s8
	s_wait_dscnt 0x0
	v_cmp_le_u64_e64 s1, v[8:9], v[4:5]
	s_and_b32 s1, vcc_lo, s1
	s_delay_alu instid0(SALU_CYCLE_1) | instskip(SKIP_1) | instid1(VALU_DEP_1)
	s_or_b32 vcc_lo, s0, s1
	v_dual_mov_b32 v2, s2 :: v_dual_cndmask_b32 v3, v15, v13
	v_dual_cndmask_b32 v2, s5, v2, vcc_lo :: v_dual_add_nc_u32 v22, 1, v3
	v_cndmask_b32_e32 v3, v9, v5, vcc_lo
	s_delay_alu instid0(VALU_DEP_2) | instskip(NEXT) | instid1(VALU_DEP_1)
	v_add_min_u32_e64 v2, v2, -1, v22
	v_lshlrev_b32_e32 v2, 4, v2
	ds_load_b128 v[16:19], v2
	s_wait_dscnt 0x0
	v_dual_cndmask_b32 v2, v8, v4 :: v_dual_cndmask_b32 v21, v17, v9
	v_dual_cndmask_b32 v20, v16, v8 :: v_dual_cndmask_b32 v17, v5, v17
	v_dual_cndmask_b32 v16, v4, v16, vcc_lo :: v_dual_cndmask_b32 v8, v13, v22, vcc_lo
	v_cndmask_b32_e32 v9, v22, v15, vcc_lo
	v_dual_cndmask_b32 v5, v11, v7 :: v_dual_cndmask_b32 v4, v10, v6
	s_delay_alu instid0(VALU_DEP_3) | instskip(NEXT) | instid1(VALU_DEP_4)
	v_cmp_le_u64_e64 s0, v[20:21], v[16:17]
	v_cmp_gt_u32_e64 s1, s2, v8
	s_delay_alu instid0(VALU_DEP_4) | instskip(SKIP_3) | instid1(SALU_CYCLE_1)
	v_cmp_le_u32_e64 s2, s5, v9
	v_dual_cndmask_b32 v8, v18, v10 :: v_dual_cndmask_b32 v9, v19, v11
	v_dual_cndmask_b32 v10, v7, v19 :: v_dual_cndmask_b32 v11, v6, v18
	s_and_b32 s0, s1, s0
	s_or_b32 vcc_lo, s2, s0
	v_dual_cndmask_b32 v7, v21, v17 :: v_dual_cndmask_b32 v6, v20, v16
	s_delay_alu instid0(VALU_DEP_2)
	v_dual_cndmask_b32 v9, v9, v10 :: v_dual_cndmask_b32 v8, v8, v11
.LBB362_22:
	s_or_b32 exec_lo, exec_lo, s3
	v_and_b32_e32 v10, 0x1f0, v0
	s_mov_b32 s5, 0
	s_sub_co_i32 s8, s24, s4
	s_lshl_b64 s[2:3], s[4:5], 3
	s_cmp_gt_u32 s8, 0x3ff
	v_lshl_add_u32 v10, v1, 4, v10
	v_lshrrev_b32_e32 v1, 1, v12
	s_add_nc_u64 s[0:1], s[14:15], s[2:3]
	s_wait_kmcnt 0x0
	s_add_nc_u64 s[2:3], s[6:7], s[2:3]
	s_barrier_signal -1
	s_barrier_wait -1
	ds_store_b128 v10, v[2:5]
	ds_store_b128 v10, v[6:9] offset:16
	s_wait_dscnt 0x0
	s_cbranch_scc0 .LBB362_24
; %bb.23:
	v_and_b32_e32 v3, 0x1f0, v1
	v_lshrrev_b32_e32 v2, 1, v0
	s_barrier_signal -1
	s_barrier_wait -1
	s_delay_alu instid0(VALU_DEP_2) | instskip(NEXT) | instid1(VALU_DEP_2)
	v_add_nc_u32_e32 v3, v3, v14
	v_and_b32_e32 v2, 0xf0, v2
	s_mov_b32 s5, -1
	s_delay_alu instid0(VALU_DEP_1)
	v_add_nc_u32_e32 v2, v2, v14
	ds_load_b128 v[6:9], v2
	ds_load_b128 v[2:5], v3 offset:8192
	s_wait_dscnt 0x1
	s_clause 0x1
	global_store_b64 v0, v[6:7], s[0:1] scale_offset
	global_store_b64 v0, v[8:9], s[2:3] scale_offset
	s_cbranch_execz .LBB362_25
	s_branch .LBB362_28
.LBB362_24:
                                        ; implicit-def: $vgpr4_vgpr5
.LBB362_25:
	v_and_b32_e32 v1, 0x1f0, v1
	s_barrier_signal -1
	s_barrier_wait -1
	s_wait_storecnt_dscnt 0x0
	s_mov_b32 s4, exec_lo
	v_lshl_add_u32 v1, v0, 4, v1
	ds_load_b128 v[2:5], v1 offset:8192
	s_wait_xcnt 0x0
	v_cmpx_gt_u32_e64 s8, v0
	s_cbranch_execz .LBB362_27
; %bb.26:
	v_lshrrev_b32_e32 v1, 1, v0
	s_delay_alu instid0(VALU_DEP_1) | instskip(NEXT) | instid1(VALU_DEP_1)
	v_and_b32_e32 v1, 0xf0, v1
	v_lshl_add_u32 v1, v0, 4, v1
	ds_load_b128 v[6:9], v1
	s_wait_dscnt 0x0
	s_clause 0x1
	global_store_b64 v0, v[6:7], s[0:1] scale_offset
	global_store_b64 v0, v[8:9], s[2:3] scale_offset
.LBB362_27:
	s_wait_xcnt 0x0
	s_or_b32 exec_lo, exec_lo, s4
	v_cmp_gt_u32_e64 s5, s8, v12
.LBB362_28:
	s_wait_xcnt 0x0
	s_delay_alu instid0(VALU_DEP_1)
	s_and_saveexec_b32 s4, s5
	s_cbranch_execnz .LBB362_30
; %bb.29:
	s_endpgm
.LBB362_30:
	s_wait_dscnt 0x0
	s_clause 0x1
	global_store_b64 v0, v[2:3], s[0:1] offset:4096 scale_offset
	global_store_b64 v0, v[4:5], s[2:3] offset:4096 scale_offset
	s_endpgm
	.section	.rodata,"a",@progbits
	.p2align	6, 0x0
	.amdhsa_kernel _ZN7rocprim17ROCPRIM_400000_NS6detail17trampoline_kernelINS0_14default_configENS1_21merge_config_selectorINS0_5tupleIJyyEEENS0_10empty_typeEEEZNS1_10merge_implIS3_NS0_12zip_iteratorINS5_IJN6thrust23THRUST_200600_302600_NS6detail15normal_iteratorINSC_10device_ptrIKyEEEESI_EEEEESK_NSA_INS5_IJNSE_INSF_IyEEEESM_EEEEEPS7_SP_SP_NSC_11hip_rocprim7__merge17predicate_wrapperIyyNSC_7greaterImEEEEEE10hipError_tPvRmT0_T1_T2_T3_T4_T5_mmT6_P12ihipStream_tbEUlT_E0_NS1_11comp_targetILNS1_3genE0ELNS1_11target_archE4294967295ELNS1_3gpuE0ELNS1_3repE0EEENS1_30default_config_static_selectorELNS0_4arch9wavefront6targetE0EEEvS10_
		.amdhsa_group_segment_fixed_size 16896
		.amdhsa_private_segment_fixed_size 0
		.amdhsa_kernarg_size 112
		.amdhsa_user_sgpr_count 2
		.amdhsa_user_sgpr_dispatch_ptr 0
		.amdhsa_user_sgpr_queue_ptr 0
		.amdhsa_user_sgpr_kernarg_segment_ptr 1
		.amdhsa_user_sgpr_dispatch_id 0
		.amdhsa_user_sgpr_kernarg_preload_length 0
		.amdhsa_user_sgpr_kernarg_preload_offset 0
		.amdhsa_user_sgpr_private_segment_size 0
		.amdhsa_wavefront_size32 1
		.amdhsa_uses_dynamic_stack 0
		.amdhsa_enable_private_segment 0
		.amdhsa_system_sgpr_workgroup_id_x 1
		.amdhsa_system_sgpr_workgroup_id_y 0
		.amdhsa_system_sgpr_workgroup_id_z 0
		.amdhsa_system_sgpr_workgroup_info 0
		.amdhsa_system_vgpr_workitem_id 0
		.amdhsa_next_free_vgpr 23
		.amdhsa_next_free_sgpr 25
		.amdhsa_named_barrier_count 0
		.amdhsa_reserve_vcc 1
		.amdhsa_float_round_mode_32 0
		.amdhsa_float_round_mode_16_64 0
		.amdhsa_float_denorm_mode_32 3
		.amdhsa_float_denorm_mode_16_64 3
		.amdhsa_fp16_overflow 0
		.amdhsa_memory_ordered 1
		.amdhsa_forward_progress 1
		.amdhsa_inst_pref_size 12
		.amdhsa_round_robin_scheduling 0
		.amdhsa_exception_fp_ieee_invalid_op 0
		.amdhsa_exception_fp_denorm_src 0
		.amdhsa_exception_fp_ieee_div_zero 0
		.amdhsa_exception_fp_ieee_overflow 0
		.amdhsa_exception_fp_ieee_underflow 0
		.amdhsa_exception_fp_ieee_inexact 0
		.amdhsa_exception_int_div_zero 0
	.end_amdhsa_kernel
	.section	.text._ZN7rocprim17ROCPRIM_400000_NS6detail17trampoline_kernelINS0_14default_configENS1_21merge_config_selectorINS0_5tupleIJyyEEENS0_10empty_typeEEEZNS1_10merge_implIS3_NS0_12zip_iteratorINS5_IJN6thrust23THRUST_200600_302600_NS6detail15normal_iteratorINSC_10device_ptrIKyEEEESI_EEEEESK_NSA_INS5_IJNSE_INSF_IyEEEESM_EEEEEPS7_SP_SP_NSC_11hip_rocprim7__merge17predicate_wrapperIyyNSC_7greaterImEEEEEE10hipError_tPvRmT0_T1_T2_T3_T4_T5_mmT6_P12ihipStream_tbEUlT_E0_NS1_11comp_targetILNS1_3genE0ELNS1_11target_archE4294967295ELNS1_3gpuE0ELNS1_3repE0EEENS1_30default_config_static_selectorELNS0_4arch9wavefront6targetE0EEEvS10_,"axG",@progbits,_ZN7rocprim17ROCPRIM_400000_NS6detail17trampoline_kernelINS0_14default_configENS1_21merge_config_selectorINS0_5tupleIJyyEEENS0_10empty_typeEEEZNS1_10merge_implIS3_NS0_12zip_iteratorINS5_IJN6thrust23THRUST_200600_302600_NS6detail15normal_iteratorINSC_10device_ptrIKyEEEESI_EEEEESK_NSA_INS5_IJNSE_INSF_IyEEEESM_EEEEEPS7_SP_SP_NSC_11hip_rocprim7__merge17predicate_wrapperIyyNSC_7greaterImEEEEEE10hipError_tPvRmT0_T1_T2_T3_T4_T5_mmT6_P12ihipStream_tbEUlT_E0_NS1_11comp_targetILNS1_3genE0ELNS1_11target_archE4294967295ELNS1_3gpuE0ELNS1_3repE0EEENS1_30default_config_static_selectorELNS0_4arch9wavefront6targetE0EEEvS10_,comdat
.Lfunc_end362:
	.size	_ZN7rocprim17ROCPRIM_400000_NS6detail17trampoline_kernelINS0_14default_configENS1_21merge_config_selectorINS0_5tupleIJyyEEENS0_10empty_typeEEEZNS1_10merge_implIS3_NS0_12zip_iteratorINS5_IJN6thrust23THRUST_200600_302600_NS6detail15normal_iteratorINSC_10device_ptrIKyEEEESI_EEEEESK_NSA_INS5_IJNSE_INSF_IyEEEESM_EEEEEPS7_SP_SP_NSC_11hip_rocprim7__merge17predicate_wrapperIyyNSC_7greaterImEEEEEE10hipError_tPvRmT0_T1_T2_T3_T4_T5_mmT6_P12ihipStream_tbEUlT_E0_NS1_11comp_targetILNS1_3genE0ELNS1_11target_archE4294967295ELNS1_3gpuE0ELNS1_3repE0EEENS1_30default_config_static_selectorELNS0_4arch9wavefront6targetE0EEEvS10_, .Lfunc_end362-_ZN7rocprim17ROCPRIM_400000_NS6detail17trampoline_kernelINS0_14default_configENS1_21merge_config_selectorINS0_5tupleIJyyEEENS0_10empty_typeEEEZNS1_10merge_implIS3_NS0_12zip_iteratorINS5_IJN6thrust23THRUST_200600_302600_NS6detail15normal_iteratorINSC_10device_ptrIKyEEEESI_EEEEESK_NSA_INS5_IJNSE_INSF_IyEEEESM_EEEEEPS7_SP_SP_NSC_11hip_rocprim7__merge17predicate_wrapperIyyNSC_7greaterImEEEEEE10hipError_tPvRmT0_T1_T2_T3_T4_T5_mmT6_P12ihipStream_tbEUlT_E0_NS1_11comp_targetILNS1_3genE0ELNS1_11target_archE4294967295ELNS1_3gpuE0ELNS1_3repE0EEENS1_30default_config_static_selectorELNS0_4arch9wavefront6targetE0EEEvS10_
                                        ; -- End function
	.set _ZN7rocprim17ROCPRIM_400000_NS6detail17trampoline_kernelINS0_14default_configENS1_21merge_config_selectorINS0_5tupleIJyyEEENS0_10empty_typeEEEZNS1_10merge_implIS3_NS0_12zip_iteratorINS5_IJN6thrust23THRUST_200600_302600_NS6detail15normal_iteratorINSC_10device_ptrIKyEEEESI_EEEEESK_NSA_INS5_IJNSE_INSF_IyEEEESM_EEEEEPS7_SP_SP_NSC_11hip_rocprim7__merge17predicate_wrapperIyyNSC_7greaterImEEEEEE10hipError_tPvRmT0_T1_T2_T3_T4_T5_mmT6_P12ihipStream_tbEUlT_E0_NS1_11comp_targetILNS1_3genE0ELNS1_11target_archE4294967295ELNS1_3gpuE0ELNS1_3repE0EEENS1_30default_config_static_selectorELNS0_4arch9wavefront6targetE0EEEvS10_.num_vgpr, 23
	.set _ZN7rocprim17ROCPRIM_400000_NS6detail17trampoline_kernelINS0_14default_configENS1_21merge_config_selectorINS0_5tupleIJyyEEENS0_10empty_typeEEEZNS1_10merge_implIS3_NS0_12zip_iteratorINS5_IJN6thrust23THRUST_200600_302600_NS6detail15normal_iteratorINSC_10device_ptrIKyEEEESI_EEEEESK_NSA_INS5_IJNSE_INSF_IyEEEESM_EEEEEPS7_SP_SP_NSC_11hip_rocprim7__merge17predicate_wrapperIyyNSC_7greaterImEEEEEE10hipError_tPvRmT0_T1_T2_T3_T4_T5_mmT6_P12ihipStream_tbEUlT_E0_NS1_11comp_targetILNS1_3genE0ELNS1_11target_archE4294967295ELNS1_3gpuE0ELNS1_3repE0EEENS1_30default_config_static_selectorELNS0_4arch9wavefront6targetE0EEEvS10_.num_agpr, 0
	.set _ZN7rocprim17ROCPRIM_400000_NS6detail17trampoline_kernelINS0_14default_configENS1_21merge_config_selectorINS0_5tupleIJyyEEENS0_10empty_typeEEEZNS1_10merge_implIS3_NS0_12zip_iteratorINS5_IJN6thrust23THRUST_200600_302600_NS6detail15normal_iteratorINSC_10device_ptrIKyEEEESI_EEEEESK_NSA_INS5_IJNSE_INSF_IyEEEESM_EEEEEPS7_SP_SP_NSC_11hip_rocprim7__merge17predicate_wrapperIyyNSC_7greaterImEEEEEE10hipError_tPvRmT0_T1_T2_T3_T4_T5_mmT6_P12ihipStream_tbEUlT_E0_NS1_11comp_targetILNS1_3genE0ELNS1_11target_archE4294967295ELNS1_3gpuE0ELNS1_3repE0EEENS1_30default_config_static_selectorELNS0_4arch9wavefront6targetE0EEEvS10_.numbered_sgpr, 25
	.set _ZN7rocprim17ROCPRIM_400000_NS6detail17trampoline_kernelINS0_14default_configENS1_21merge_config_selectorINS0_5tupleIJyyEEENS0_10empty_typeEEEZNS1_10merge_implIS3_NS0_12zip_iteratorINS5_IJN6thrust23THRUST_200600_302600_NS6detail15normal_iteratorINSC_10device_ptrIKyEEEESI_EEEEESK_NSA_INS5_IJNSE_INSF_IyEEEESM_EEEEEPS7_SP_SP_NSC_11hip_rocprim7__merge17predicate_wrapperIyyNSC_7greaterImEEEEEE10hipError_tPvRmT0_T1_T2_T3_T4_T5_mmT6_P12ihipStream_tbEUlT_E0_NS1_11comp_targetILNS1_3genE0ELNS1_11target_archE4294967295ELNS1_3gpuE0ELNS1_3repE0EEENS1_30default_config_static_selectorELNS0_4arch9wavefront6targetE0EEEvS10_.num_named_barrier, 0
	.set _ZN7rocprim17ROCPRIM_400000_NS6detail17trampoline_kernelINS0_14default_configENS1_21merge_config_selectorINS0_5tupleIJyyEEENS0_10empty_typeEEEZNS1_10merge_implIS3_NS0_12zip_iteratorINS5_IJN6thrust23THRUST_200600_302600_NS6detail15normal_iteratorINSC_10device_ptrIKyEEEESI_EEEEESK_NSA_INS5_IJNSE_INSF_IyEEEESM_EEEEEPS7_SP_SP_NSC_11hip_rocprim7__merge17predicate_wrapperIyyNSC_7greaterImEEEEEE10hipError_tPvRmT0_T1_T2_T3_T4_T5_mmT6_P12ihipStream_tbEUlT_E0_NS1_11comp_targetILNS1_3genE0ELNS1_11target_archE4294967295ELNS1_3gpuE0ELNS1_3repE0EEENS1_30default_config_static_selectorELNS0_4arch9wavefront6targetE0EEEvS10_.private_seg_size, 0
	.set _ZN7rocprim17ROCPRIM_400000_NS6detail17trampoline_kernelINS0_14default_configENS1_21merge_config_selectorINS0_5tupleIJyyEEENS0_10empty_typeEEEZNS1_10merge_implIS3_NS0_12zip_iteratorINS5_IJN6thrust23THRUST_200600_302600_NS6detail15normal_iteratorINSC_10device_ptrIKyEEEESI_EEEEESK_NSA_INS5_IJNSE_INSF_IyEEEESM_EEEEEPS7_SP_SP_NSC_11hip_rocprim7__merge17predicate_wrapperIyyNSC_7greaterImEEEEEE10hipError_tPvRmT0_T1_T2_T3_T4_T5_mmT6_P12ihipStream_tbEUlT_E0_NS1_11comp_targetILNS1_3genE0ELNS1_11target_archE4294967295ELNS1_3gpuE0ELNS1_3repE0EEENS1_30default_config_static_selectorELNS0_4arch9wavefront6targetE0EEEvS10_.uses_vcc, 1
	.set _ZN7rocprim17ROCPRIM_400000_NS6detail17trampoline_kernelINS0_14default_configENS1_21merge_config_selectorINS0_5tupleIJyyEEENS0_10empty_typeEEEZNS1_10merge_implIS3_NS0_12zip_iteratorINS5_IJN6thrust23THRUST_200600_302600_NS6detail15normal_iteratorINSC_10device_ptrIKyEEEESI_EEEEESK_NSA_INS5_IJNSE_INSF_IyEEEESM_EEEEEPS7_SP_SP_NSC_11hip_rocprim7__merge17predicate_wrapperIyyNSC_7greaterImEEEEEE10hipError_tPvRmT0_T1_T2_T3_T4_T5_mmT6_P12ihipStream_tbEUlT_E0_NS1_11comp_targetILNS1_3genE0ELNS1_11target_archE4294967295ELNS1_3gpuE0ELNS1_3repE0EEENS1_30default_config_static_selectorELNS0_4arch9wavefront6targetE0EEEvS10_.uses_flat_scratch, 0
	.set _ZN7rocprim17ROCPRIM_400000_NS6detail17trampoline_kernelINS0_14default_configENS1_21merge_config_selectorINS0_5tupleIJyyEEENS0_10empty_typeEEEZNS1_10merge_implIS3_NS0_12zip_iteratorINS5_IJN6thrust23THRUST_200600_302600_NS6detail15normal_iteratorINSC_10device_ptrIKyEEEESI_EEEEESK_NSA_INS5_IJNSE_INSF_IyEEEESM_EEEEEPS7_SP_SP_NSC_11hip_rocprim7__merge17predicate_wrapperIyyNSC_7greaterImEEEEEE10hipError_tPvRmT0_T1_T2_T3_T4_T5_mmT6_P12ihipStream_tbEUlT_E0_NS1_11comp_targetILNS1_3genE0ELNS1_11target_archE4294967295ELNS1_3gpuE0ELNS1_3repE0EEENS1_30default_config_static_selectorELNS0_4arch9wavefront6targetE0EEEvS10_.has_dyn_sized_stack, 0
	.set _ZN7rocprim17ROCPRIM_400000_NS6detail17trampoline_kernelINS0_14default_configENS1_21merge_config_selectorINS0_5tupleIJyyEEENS0_10empty_typeEEEZNS1_10merge_implIS3_NS0_12zip_iteratorINS5_IJN6thrust23THRUST_200600_302600_NS6detail15normal_iteratorINSC_10device_ptrIKyEEEESI_EEEEESK_NSA_INS5_IJNSE_INSF_IyEEEESM_EEEEEPS7_SP_SP_NSC_11hip_rocprim7__merge17predicate_wrapperIyyNSC_7greaterImEEEEEE10hipError_tPvRmT0_T1_T2_T3_T4_T5_mmT6_P12ihipStream_tbEUlT_E0_NS1_11comp_targetILNS1_3genE0ELNS1_11target_archE4294967295ELNS1_3gpuE0ELNS1_3repE0EEENS1_30default_config_static_selectorELNS0_4arch9wavefront6targetE0EEEvS10_.has_recursion, 0
	.set _ZN7rocprim17ROCPRIM_400000_NS6detail17trampoline_kernelINS0_14default_configENS1_21merge_config_selectorINS0_5tupleIJyyEEENS0_10empty_typeEEEZNS1_10merge_implIS3_NS0_12zip_iteratorINS5_IJN6thrust23THRUST_200600_302600_NS6detail15normal_iteratorINSC_10device_ptrIKyEEEESI_EEEEESK_NSA_INS5_IJNSE_INSF_IyEEEESM_EEEEEPS7_SP_SP_NSC_11hip_rocprim7__merge17predicate_wrapperIyyNSC_7greaterImEEEEEE10hipError_tPvRmT0_T1_T2_T3_T4_T5_mmT6_P12ihipStream_tbEUlT_E0_NS1_11comp_targetILNS1_3genE0ELNS1_11target_archE4294967295ELNS1_3gpuE0ELNS1_3repE0EEENS1_30default_config_static_selectorELNS0_4arch9wavefront6targetE0EEEvS10_.has_indirect_call, 0
	.section	.AMDGPU.csdata,"",@progbits
; Kernel info:
; codeLenInByte = 1428
; TotalNumSgprs: 27
; NumVgprs: 23
; ScratchSize: 0
; MemoryBound: 0
; FloatMode: 240
; IeeeMode: 1
; LDSByteSize: 16896 bytes/workgroup (compile time only)
; SGPRBlocks: 0
; VGPRBlocks: 1
; NumSGPRsForWavesPerEU: 27
; NumVGPRsForWavesPerEU: 23
; NamedBarCnt: 0
; Occupancy: 16
; WaveLimiterHint : 1
; COMPUTE_PGM_RSRC2:SCRATCH_EN: 0
; COMPUTE_PGM_RSRC2:USER_SGPR: 2
; COMPUTE_PGM_RSRC2:TRAP_HANDLER: 0
; COMPUTE_PGM_RSRC2:TGID_X_EN: 1
; COMPUTE_PGM_RSRC2:TGID_Y_EN: 0
; COMPUTE_PGM_RSRC2:TGID_Z_EN: 0
; COMPUTE_PGM_RSRC2:TIDIG_COMP_CNT: 0
	.section	.text._ZN7rocprim17ROCPRIM_400000_NS6detail17trampoline_kernelINS0_14default_configENS1_21merge_config_selectorINS0_5tupleIJyyEEENS0_10empty_typeEEEZNS1_10merge_implIS3_NS0_12zip_iteratorINS5_IJN6thrust23THRUST_200600_302600_NS6detail15normal_iteratorINSC_10device_ptrIKyEEEESI_EEEEESK_NSA_INS5_IJNSE_INSF_IyEEEESM_EEEEEPS7_SP_SP_NSC_11hip_rocprim7__merge17predicate_wrapperIyyNSC_7greaterImEEEEEE10hipError_tPvRmT0_T1_T2_T3_T4_T5_mmT6_P12ihipStream_tbEUlT_E0_NS1_11comp_targetILNS1_3genE5ELNS1_11target_archE942ELNS1_3gpuE9ELNS1_3repE0EEENS1_30default_config_static_selectorELNS0_4arch9wavefront6targetE0EEEvS10_,"axG",@progbits,_ZN7rocprim17ROCPRIM_400000_NS6detail17trampoline_kernelINS0_14default_configENS1_21merge_config_selectorINS0_5tupleIJyyEEENS0_10empty_typeEEEZNS1_10merge_implIS3_NS0_12zip_iteratorINS5_IJN6thrust23THRUST_200600_302600_NS6detail15normal_iteratorINSC_10device_ptrIKyEEEESI_EEEEESK_NSA_INS5_IJNSE_INSF_IyEEEESM_EEEEEPS7_SP_SP_NSC_11hip_rocprim7__merge17predicate_wrapperIyyNSC_7greaterImEEEEEE10hipError_tPvRmT0_T1_T2_T3_T4_T5_mmT6_P12ihipStream_tbEUlT_E0_NS1_11comp_targetILNS1_3genE5ELNS1_11target_archE942ELNS1_3gpuE9ELNS1_3repE0EEENS1_30default_config_static_selectorELNS0_4arch9wavefront6targetE0EEEvS10_,comdat
	.protected	_ZN7rocprim17ROCPRIM_400000_NS6detail17trampoline_kernelINS0_14default_configENS1_21merge_config_selectorINS0_5tupleIJyyEEENS0_10empty_typeEEEZNS1_10merge_implIS3_NS0_12zip_iteratorINS5_IJN6thrust23THRUST_200600_302600_NS6detail15normal_iteratorINSC_10device_ptrIKyEEEESI_EEEEESK_NSA_INS5_IJNSE_INSF_IyEEEESM_EEEEEPS7_SP_SP_NSC_11hip_rocprim7__merge17predicate_wrapperIyyNSC_7greaterImEEEEEE10hipError_tPvRmT0_T1_T2_T3_T4_T5_mmT6_P12ihipStream_tbEUlT_E0_NS1_11comp_targetILNS1_3genE5ELNS1_11target_archE942ELNS1_3gpuE9ELNS1_3repE0EEENS1_30default_config_static_selectorELNS0_4arch9wavefront6targetE0EEEvS10_ ; -- Begin function _ZN7rocprim17ROCPRIM_400000_NS6detail17trampoline_kernelINS0_14default_configENS1_21merge_config_selectorINS0_5tupleIJyyEEENS0_10empty_typeEEEZNS1_10merge_implIS3_NS0_12zip_iteratorINS5_IJN6thrust23THRUST_200600_302600_NS6detail15normal_iteratorINSC_10device_ptrIKyEEEESI_EEEEESK_NSA_INS5_IJNSE_INSF_IyEEEESM_EEEEEPS7_SP_SP_NSC_11hip_rocprim7__merge17predicate_wrapperIyyNSC_7greaterImEEEEEE10hipError_tPvRmT0_T1_T2_T3_T4_T5_mmT6_P12ihipStream_tbEUlT_E0_NS1_11comp_targetILNS1_3genE5ELNS1_11target_archE942ELNS1_3gpuE9ELNS1_3repE0EEENS1_30default_config_static_selectorELNS0_4arch9wavefront6targetE0EEEvS10_
	.globl	_ZN7rocprim17ROCPRIM_400000_NS6detail17trampoline_kernelINS0_14default_configENS1_21merge_config_selectorINS0_5tupleIJyyEEENS0_10empty_typeEEEZNS1_10merge_implIS3_NS0_12zip_iteratorINS5_IJN6thrust23THRUST_200600_302600_NS6detail15normal_iteratorINSC_10device_ptrIKyEEEESI_EEEEESK_NSA_INS5_IJNSE_INSF_IyEEEESM_EEEEEPS7_SP_SP_NSC_11hip_rocprim7__merge17predicate_wrapperIyyNSC_7greaterImEEEEEE10hipError_tPvRmT0_T1_T2_T3_T4_T5_mmT6_P12ihipStream_tbEUlT_E0_NS1_11comp_targetILNS1_3genE5ELNS1_11target_archE942ELNS1_3gpuE9ELNS1_3repE0EEENS1_30default_config_static_selectorELNS0_4arch9wavefront6targetE0EEEvS10_
	.p2align	8
	.type	_ZN7rocprim17ROCPRIM_400000_NS6detail17trampoline_kernelINS0_14default_configENS1_21merge_config_selectorINS0_5tupleIJyyEEENS0_10empty_typeEEEZNS1_10merge_implIS3_NS0_12zip_iteratorINS5_IJN6thrust23THRUST_200600_302600_NS6detail15normal_iteratorINSC_10device_ptrIKyEEEESI_EEEEESK_NSA_INS5_IJNSE_INSF_IyEEEESM_EEEEEPS7_SP_SP_NSC_11hip_rocprim7__merge17predicate_wrapperIyyNSC_7greaterImEEEEEE10hipError_tPvRmT0_T1_T2_T3_T4_T5_mmT6_P12ihipStream_tbEUlT_E0_NS1_11comp_targetILNS1_3genE5ELNS1_11target_archE942ELNS1_3gpuE9ELNS1_3repE0EEENS1_30default_config_static_selectorELNS0_4arch9wavefront6targetE0EEEvS10_,@function
_ZN7rocprim17ROCPRIM_400000_NS6detail17trampoline_kernelINS0_14default_configENS1_21merge_config_selectorINS0_5tupleIJyyEEENS0_10empty_typeEEEZNS1_10merge_implIS3_NS0_12zip_iteratorINS5_IJN6thrust23THRUST_200600_302600_NS6detail15normal_iteratorINSC_10device_ptrIKyEEEESI_EEEEESK_NSA_INS5_IJNSE_INSF_IyEEEESM_EEEEEPS7_SP_SP_NSC_11hip_rocprim7__merge17predicate_wrapperIyyNSC_7greaterImEEEEEE10hipError_tPvRmT0_T1_T2_T3_T4_T5_mmT6_P12ihipStream_tbEUlT_E0_NS1_11comp_targetILNS1_3genE5ELNS1_11target_archE942ELNS1_3gpuE9ELNS1_3repE0EEENS1_30default_config_static_selectorELNS0_4arch9wavefront6targetE0EEEvS10_: ; @_ZN7rocprim17ROCPRIM_400000_NS6detail17trampoline_kernelINS0_14default_configENS1_21merge_config_selectorINS0_5tupleIJyyEEENS0_10empty_typeEEEZNS1_10merge_implIS3_NS0_12zip_iteratorINS5_IJN6thrust23THRUST_200600_302600_NS6detail15normal_iteratorINSC_10device_ptrIKyEEEESI_EEEEESK_NSA_INS5_IJNSE_INSF_IyEEEESM_EEEEEPS7_SP_SP_NSC_11hip_rocprim7__merge17predicate_wrapperIyyNSC_7greaterImEEEEEE10hipError_tPvRmT0_T1_T2_T3_T4_T5_mmT6_P12ihipStream_tbEUlT_E0_NS1_11comp_targetILNS1_3genE5ELNS1_11target_archE942ELNS1_3gpuE9ELNS1_3repE0EEENS1_30default_config_static_selectorELNS0_4arch9wavefront6targetE0EEEvS10_
; %bb.0:
	.section	.rodata,"a",@progbits
	.p2align	6, 0x0
	.amdhsa_kernel _ZN7rocprim17ROCPRIM_400000_NS6detail17trampoline_kernelINS0_14default_configENS1_21merge_config_selectorINS0_5tupleIJyyEEENS0_10empty_typeEEEZNS1_10merge_implIS3_NS0_12zip_iteratorINS5_IJN6thrust23THRUST_200600_302600_NS6detail15normal_iteratorINSC_10device_ptrIKyEEEESI_EEEEESK_NSA_INS5_IJNSE_INSF_IyEEEESM_EEEEEPS7_SP_SP_NSC_11hip_rocprim7__merge17predicate_wrapperIyyNSC_7greaterImEEEEEE10hipError_tPvRmT0_T1_T2_T3_T4_T5_mmT6_P12ihipStream_tbEUlT_E0_NS1_11comp_targetILNS1_3genE5ELNS1_11target_archE942ELNS1_3gpuE9ELNS1_3repE0EEENS1_30default_config_static_selectorELNS0_4arch9wavefront6targetE0EEEvS10_
		.amdhsa_group_segment_fixed_size 0
		.amdhsa_private_segment_fixed_size 0
		.amdhsa_kernarg_size 112
		.amdhsa_user_sgpr_count 2
		.amdhsa_user_sgpr_dispatch_ptr 0
		.amdhsa_user_sgpr_queue_ptr 0
		.amdhsa_user_sgpr_kernarg_segment_ptr 1
		.amdhsa_user_sgpr_dispatch_id 0
		.amdhsa_user_sgpr_kernarg_preload_length 0
		.amdhsa_user_sgpr_kernarg_preload_offset 0
		.amdhsa_user_sgpr_private_segment_size 0
		.amdhsa_wavefront_size32 1
		.amdhsa_uses_dynamic_stack 0
		.amdhsa_enable_private_segment 0
		.amdhsa_system_sgpr_workgroup_id_x 1
		.amdhsa_system_sgpr_workgroup_id_y 0
		.amdhsa_system_sgpr_workgroup_id_z 0
		.amdhsa_system_sgpr_workgroup_info 0
		.amdhsa_system_vgpr_workitem_id 0
		.amdhsa_next_free_vgpr 1
		.amdhsa_next_free_sgpr 1
		.amdhsa_named_barrier_count 0
		.amdhsa_reserve_vcc 0
		.amdhsa_float_round_mode_32 0
		.amdhsa_float_round_mode_16_64 0
		.amdhsa_float_denorm_mode_32 3
		.amdhsa_float_denorm_mode_16_64 3
		.amdhsa_fp16_overflow 0
		.amdhsa_memory_ordered 1
		.amdhsa_forward_progress 1
		.amdhsa_inst_pref_size 0
		.amdhsa_round_robin_scheduling 0
		.amdhsa_exception_fp_ieee_invalid_op 0
		.amdhsa_exception_fp_denorm_src 0
		.amdhsa_exception_fp_ieee_div_zero 0
		.amdhsa_exception_fp_ieee_overflow 0
		.amdhsa_exception_fp_ieee_underflow 0
		.amdhsa_exception_fp_ieee_inexact 0
		.amdhsa_exception_int_div_zero 0
	.end_amdhsa_kernel
	.section	.text._ZN7rocprim17ROCPRIM_400000_NS6detail17trampoline_kernelINS0_14default_configENS1_21merge_config_selectorINS0_5tupleIJyyEEENS0_10empty_typeEEEZNS1_10merge_implIS3_NS0_12zip_iteratorINS5_IJN6thrust23THRUST_200600_302600_NS6detail15normal_iteratorINSC_10device_ptrIKyEEEESI_EEEEESK_NSA_INS5_IJNSE_INSF_IyEEEESM_EEEEEPS7_SP_SP_NSC_11hip_rocprim7__merge17predicate_wrapperIyyNSC_7greaterImEEEEEE10hipError_tPvRmT0_T1_T2_T3_T4_T5_mmT6_P12ihipStream_tbEUlT_E0_NS1_11comp_targetILNS1_3genE5ELNS1_11target_archE942ELNS1_3gpuE9ELNS1_3repE0EEENS1_30default_config_static_selectorELNS0_4arch9wavefront6targetE0EEEvS10_,"axG",@progbits,_ZN7rocprim17ROCPRIM_400000_NS6detail17trampoline_kernelINS0_14default_configENS1_21merge_config_selectorINS0_5tupleIJyyEEENS0_10empty_typeEEEZNS1_10merge_implIS3_NS0_12zip_iteratorINS5_IJN6thrust23THRUST_200600_302600_NS6detail15normal_iteratorINSC_10device_ptrIKyEEEESI_EEEEESK_NSA_INS5_IJNSE_INSF_IyEEEESM_EEEEEPS7_SP_SP_NSC_11hip_rocprim7__merge17predicate_wrapperIyyNSC_7greaterImEEEEEE10hipError_tPvRmT0_T1_T2_T3_T4_T5_mmT6_P12ihipStream_tbEUlT_E0_NS1_11comp_targetILNS1_3genE5ELNS1_11target_archE942ELNS1_3gpuE9ELNS1_3repE0EEENS1_30default_config_static_selectorELNS0_4arch9wavefront6targetE0EEEvS10_,comdat
.Lfunc_end363:
	.size	_ZN7rocprim17ROCPRIM_400000_NS6detail17trampoline_kernelINS0_14default_configENS1_21merge_config_selectorINS0_5tupleIJyyEEENS0_10empty_typeEEEZNS1_10merge_implIS3_NS0_12zip_iteratorINS5_IJN6thrust23THRUST_200600_302600_NS6detail15normal_iteratorINSC_10device_ptrIKyEEEESI_EEEEESK_NSA_INS5_IJNSE_INSF_IyEEEESM_EEEEEPS7_SP_SP_NSC_11hip_rocprim7__merge17predicate_wrapperIyyNSC_7greaterImEEEEEE10hipError_tPvRmT0_T1_T2_T3_T4_T5_mmT6_P12ihipStream_tbEUlT_E0_NS1_11comp_targetILNS1_3genE5ELNS1_11target_archE942ELNS1_3gpuE9ELNS1_3repE0EEENS1_30default_config_static_selectorELNS0_4arch9wavefront6targetE0EEEvS10_, .Lfunc_end363-_ZN7rocprim17ROCPRIM_400000_NS6detail17trampoline_kernelINS0_14default_configENS1_21merge_config_selectorINS0_5tupleIJyyEEENS0_10empty_typeEEEZNS1_10merge_implIS3_NS0_12zip_iteratorINS5_IJN6thrust23THRUST_200600_302600_NS6detail15normal_iteratorINSC_10device_ptrIKyEEEESI_EEEEESK_NSA_INS5_IJNSE_INSF_IyEEEESM_EEEEEPS7_SP_SP_NSC_11hip_rocprim7__merge17predicate_wrapperIyyNSC_7greaterImEEEEEE10hipError_tPvRmT0_T1_T2_T3_T4_T5_mmT6_P12ihipStream_tbEUlT_E0_NS1_11comp_targetILNS1_3genE5ELNS1_11target_archE942ELNS1_3gpuE9ELNS1_3repE0EEENS1_30default_config_static_selectorELNS0_4arch9wavefront6targetE0EEEvS10_
                                        ; -- End function
	.set _ZN7rocprim17ROCPRIM_400000_NS6detail17trampoline_kernelINS0_14default_configENS1_21merge_config_selectorINS0_5tupleIJyyEEENS0_10empty_typeEEEZNS1_10merge_implIS3_NS0_12zip_iteratorINS5_IJN6thrust23THRUST_200600_302600_NS6detail15normal_iteratorINSC_10device_ptrIKyEEEESI_EEEEESK_NSA_INS5_IJNSE_INSF_IyEEEESM_EEEEEPS7_SP_SP_NSC_11hip_rocprim7__merge17predicate_wrapperIyyNSC_7greaterImEEEEEE10hipError_tPvRmT0_T1_T2_T3_T4_T5_mmT6_P12ihipStream_tbEUlT_E0_NS1_11comp_targetILNS1_3genE5ELNS1_11target_archE942ELNS1_3gpuE9ELNS1_3repE0EEENS1_30default_config_static_selectorELNS0_4arch9wavefront6targetE0EEEvS10_.num_vgpr, 0
	.set _ZN7rocprim17ROCPRIM_400000_NS6detail17trampoline_kernelINS0_14default_configENS1_21merge_config_selectorINS0_5tupleIJyyEEENS0_10empty_typeEEEZNS1_10merge_implIS3_NS0_12zip_iteratorINS5_IJN6thrust23THRUST_200600_302600_NS6detail15normal_iteratorINSC_10device_ptrIKyEEEESI_EEEEESK_NSA_INS5_IJNSE_INSF_IyEEEESM_EEEEEPS7_SP_SP_NSC_11hip_rocprim7__merge17predicate_wrapperIyyNSC_7greaterImEEEEEE10hipError_tPvRmT0_T1_T2_T3_T4_T5_mmT6_P12ihipStream_tbEUlT_E0_NS1_11comp_targetILNS1_3genE5ELNS1_11target_archE942ELNS1_3gpuE9ELNS1_3repE0EEENS1_30default_config_static_selectorELNS0_4arch9wavefront6targetE0EEEvS10_.num_agpr, 0
	.set _ZN7rocprim17ROCPRIM_400000_NS6detail17trampoline_kernelINS0_14default_configENS1_21merge_config_selectorINS0_5tupleIJyyEEENS0_10empty_typeEEEZNS1_10merge_implIS3_NS0_12zip_iteratorINS5_IJN6thrust23THRUST_200600_302600_NS6detail15normal_iteratorINSC_10device_ptrIKyEEEESI_EEEEESK_NSA_INS5_IJNSE_INSF_IyEEEESM_EEEEEPS7_SP_SP_NSC_11hip_rocprim7__merge17predicate_wrapperIyyNSC_7greaterImEEEEEE10hipError_tPvRmT0_T1_T2_T3_T4_T5_mmT6_P12ihipStream_tbEUlT_E0_NS1_11comp_targetILNS1_3genE5ELNS1_11target_archE942ELNS1_3gpuE9ELNS1_3repE0EEENS1_30default_config_static_selectorELNS0_4arch9wavefront6targetE0EEEvS10_.numbered_sgpr, 0
	.set _ZN7rocprim17ROCPRIM_400000_NS6detail17trampoline_kernelINS0_14default_configENS1_21merge_config_selectorINS0_5tupleIJyyEEENS0_10empty_typeEEEZNS1_10merge_implIS3_NS0_12zip_iteratorINS5_IJN6thrust23THRUST_200600_302600_NS6detail15normal_iteratorINSC_10device_ptrIKyEEEESI_EEEEESK_NSA_INS5_IJNSE_INSF_IyEEEESM_EEEEEPS7_SP_SP_NSC_11hip_rocprim7__merge17predicate_wrapperIyyNSC_7greaterImEEEEEE10hipError_tPvRmT0_T1_T2_T3_T4_T5_mmT6_P12ihipStream_tbEUlT_E0_NS1_11comp_targetILNS1_3genE5ELNS1_11target_archE942ELNS1_3gpuE9ELNS1_3repE0EEENS1_30default_config_static_selectorELNS0_4arch9wavefront6targetE0EEEvS10_.num_named_barrier, 0
	.set _ZN7rocprim17ROCPRIM_400000_NS6detail17trampoline_kernelINS0_14default_configENS1_21merge_config_selectorINS0_5tupleIJyyEEENS0_10empty_typeEEEZNS1_10merge_implIS3_NS0_12zip_iteratorINS5_IJN6thrust23THRUST_200600_302600_NS6detail15normal_iteratorINSC_10device_ptrIKyEEEESI_EEEEESK_NSA_INS5_IJNSE_INSF_IyEEEESM_EEEEEPS7_SP_SP_NSC_11hip_rocprim7__merge17predicate_wrapperIyyNSC_7greaterImEEEEEE10hipError_tPvRmT0_T1_T2_T3_T4_T5_mmT6_P12ihipStream_tbEUlT_E0_NS1_11comp_targetILNS1_3genE5ELNS1_11target_archE942ELNS1_3gpuE9ELNS1_3repE0EEENS1_30default_config_static_selectorELNS0_4arch9wavefront6targetE0EEEvS10_.private_seg_size, 0
	.set _ZN7rocprim17ROCPRIM_400000_NS6detail17trampoline_kernelINS0_14default_configENS1_21merge_config_selectorINS0_5tupleIJyyEEENS0_10empty_typeEEEZNS1_10merge_implIS3_NS0_12zip_iteratorINS5_IJN6thrust23THRUST_200600_302600_NS6detail15normal_iteratorINSC_10device_ptrIKyEEEESI_EEEEESK_NSA_INS5_IJNSE_INSF_IyEEEESM_EEEEEPS7_SP_SP_NSC_11hip_rocprim7__merge17predicate_wrapperIyyNSC_7greaterImEEEEEE10hipError_tPvRmT0_T1_T2_T3_T4_T5_mmT6_P12ihipStream_tbEUlT_E0_NS1_11comp_targetILNS1_3genE5ELNS1_11target_archE942ELNS1_3gpuE9ELNS1_3repE0EEENS1_30default_config_static_selectorELNS0_4arch9wavefront6targetE0EEEvS10_.uses_vcc, 0
	.set _ZN7rocprim17ROCPRIM_400000_NS6detail17trampoline_kernelINS0_14default_configENS1_21merge_config_selectorINS0_5tupleIJyyEEENS0_10empty_typeEEEZNS1_10merge_implIS3_NS0_12zip_iteratorINS5_IJN6thrust23THRUST_200600_302600_NS6detail15normal_iteratorINSC_10device_ptrIKyEEEESI_EEEEESK_NSA_INS5_IJNSE_INSF_IyEEEESM_EEEEEPS7_SP_SP_NSC_11hip_rocprim7__merge17predicate_wrapperIyyNSC_7greaterImEEEEEE10hipError_tPvRmT0_T1_T2_T3_T4_T5_mmT6_P12ihipStream_tbEUlT_E0_NS1_11comp_targetILNS1_3genE5ELNS1_11target_archE942ELNS1_3gpuE9ELNS1_3repE0EEENS1_30default_config_static_selectorELNS0_4arch9wavefront6targetE0EEEvS10_.uses_flat_scratch, 0
	.set _ZN7rocprim17ROCPRIM_400000_NS6detail17trampoline_kernelINS0_14default_configENS1_21merge_config_selectorINS0_5tupleIJyyEEENS0_10empty_typeEEEZNS1_10merge_implIS3_NS0_12zip_iteratorINS5_IJN6thrust23THRUST_200600_302600_NS6detail15normal_iteratorINSC_10device_ptrIKyEEEESI_EEEEESK_NSA_INS5_IJNSE_INSF_IyEEEESM_EEEEEPS7_SP_SP_NSC_11hip_rocprim7__merge17predicate_wrapperIyyNSC_7greaterImEEEEEE10hipError_tPvRmT0_T1_T2_T3_T4_T5_mmT6_P12ihipStream_tbEUlT_E0_NS1_11comp_targetILNS1_3genE5ELNS1_11target_archE942ELNS1_3gpuE9ELNS1_3repE0EEENS1_30default_config_static_selectorELNS0_4arch9wavefront6targetE0EEEvS10_.has_dyn_sized_stack, 0
	.set _ZN7rocprim17ROCPRIM_400000_NS6detail17trampoline_kernelINS0_14default_configENS1_21merge_config_selectorINS0_5tupleIJyyEEENS0_10empty_typeEEEZNS1_10merge_implIS3_NS0_12zip_iteratorINS5_IJN6thrust23THRUST_200600_302600_NS6detail15normal_iteratorINSC_10device_ptrIKyEEEESI_EEEEESK_NSA_INS5_IJNSE_INSF_IyEEEESM_EEEEEPS7_SP_SP_NSC_11hip_rocprim7__merge17predicate_wrapperIyyNSC_7greaterImEEEEEE10hipError_tPvRmT0_T1_T2_T3_T4_T5_mmT6_P12ihipStream_tbEUlT_E0_NS1_11comp_targetILNS1_3genE5ELNS1_11target_archE942ELNS1_3gpuE9ELNS1_3repE0EEENS1_30default_config_static_selectorELNS0_4arch9wavefront6targetE0EEEvS10_.has_recursion, 0
	.set _ZN7rocprim17ROCPRIM_400000_NS6detail17trampoline_kernelINS0_14default_configENS1_21merge_config_selectorINS0_5tupleIJyyEEENS0_10empty_typeEEEZNS1_10merge_implIS3_NS0_12zip_iteratorINS5_IJN6thrust23THRUST_200600_302600_NS6detail15normal_iteratorINSC_10device_ptrIKyEEEESI_EEEEESK_NSA_INS5_IJNSE_INSF_IyEEEESM_EEEEEPS7_SP_SP_NSC_11hip_rocprim7__merge17predicate_wrapperIyyNSC_7greaterImEEEEEE10hipError_tPvRmT0_T1_T2_T3_T4_T5_mmT6_P12ihipStream_tbEUlT_E0_NS1_11comp_targetILNS1_3genE5ELNS1_11target_archE942ELNS1_3gpuE9ELNS1_3repE0EEENS1_30default_config_static_selectorELNS0_4arch9wavefront6targetE0EEEvS10_.has_indirect_call, 0
	.section	.AMDGPU.csdata,"",@progbits
; Kernel info:
; codeLenInByte = 0
; TotalNumSgprs: 0
; NumVgprs: 0
; ScratchSize: 0
; MemoryBound: 0
; FloatMode: 240
; IeeeMode: 1
; LDSByteSize: 0 bytes/workgroup (compile time only)
; SGPRBlocks: 0
; VGPRBlocks: 0
; NumSGPRsForWavesPerEU: 1
; NumVGPRsForWavesPerEU: 1
; NamedBarCnt: 0
; Occupancy: 16
; WaveLimiterHint : 0
; COMPUTE_PGM_RSRC2:SCRATCH_EN: 0
; COMPUTE_PGM_RSRC2:USER_SGPR: 2
; COMPUTE_PGM_RSRC2:TRAP_HANDLER: 0
; COMPUTE_PGM_RSRC2:TGID_X_EN: 1
; COMPUTE_PGM_RSRC2:TGID_Y_EN: 0
; COMPUTE_PGM_RSRC2:TGID_Z_EN: 0
; COMPUTE_PGM_RSRC2:TIDIG_COMP_CNT: 0
	.section	.text._ZN7rocprim17ROCPRIM_400000_NS6detail17trampoline_kernelINS0_14default_configENS1_21merge_config_selectorINS0_5tupleIJyyEEENS0_10empty_typeEEEZNS1_10merge_implIS3_NS0_12zip_iteratorINS5_IJN6thrust23THRUST_200600_302600_NS6detail15normal_iteratorINSC_10device_ptrIKyEEEESI_EEEEESK_NSA_INS5_IJNSE_INSF_IyEEEESM_EEEEEPS7_SP_SP_NSC_11hip_rocprim7__merge17predicate_wrapperIyyNSC_7greaterImEEEEEE10hipError_tPvRmT0_T1_T2_T3_T4_T5_mmT6_P12ihipStream_tbEUlT_E0_NS1_11comp_targetILNS1_3genE4ELNS1_11target_archE910ELNS1_3gpuE8ELNS1_3repE0EEENS1_30default_config_static_selectorELNS0_4arch9wavefront6targetE0EEEvS10_,"axG",@progbits,_ZN7rocprim17ROCPRIM_400000_NS6detail17trampoline_kernelINS0_14default_configENS1_21merge_config_selectorINS0_5tupleIJyyEEENS0_10empty_typeEEEZNS1_10merge_implIS3_NS0_12zip_iteratorINS5_IJN6thrust23THRUST_200600_302600_NS6detail15normal_iteratorINSC_10device_ptrIKyEEEESI_EEEEESK_NSA_INS5_IJNSE_INSF_IyEEEESM_EEEEEPS7_SP_SP_NSC_11hip_rocprim7__merge17predicate_wrapperIyyNSC_7greaterImEEEEEE10hipError_tPvRmT0_T1_T2_T3_T4_T5_mmT6_P12ihipStream_tbEUlT_E0_NS1_11comp_targetILNS1_3genE4ELNS1_11target_archE910ELNS1_3gpuE8ELNS1_3repE0EEENS1_30default_config_static_selectorELNS0_4arch9wavefront6targetE0EEEvS10_,comdat
	.protected	_ZN7rocprim17ROCPRIM_400000_NS6detail17trampoline_kernelINS0_14default_configENS1_21merge_config_selectorINS0_5tupleIJyyEEENS0_10empty_typeEEEZNS1_10merge_implIS3_NS0_12zip_iteratorINS5_IJN6thrust23THRUST_200600_302600_NS6detail15normal_iteratorINSC_10device_ptrIKyEEEESI_EEEEESK_NSA_INS5_IJNSE_INSF_IyEEEESM_EEEEEPS7_SP_SP_NSC_11hip_rocprim7__merge17predicate_wrapperIyyNSC_7greaterImEEEEEE10hipError_tPvRmT0_T1_T2_T3_T4_T5_mmT6_P12ihipStream_tbEUlT_E0_NS1_11comp_targetILNS1_3genE4ELNS1_11target_archE910ELNS1_3gpuE8ELNS1_3repE0EEENS1_30default_config_static_selectorELNS0_4arch9wavefront6targetE0EEEvS10_ ; -- Begin function _ZN7rocprim17ROCPRIM_400000_NS6detail17trampoline_kernelINS0_14default_configENS1_21merge_config_selectorINS0_5tupleIJyyEEENS0_10empty_typeEEEZNS1_10merge_implIS3_NS0_12zip_iteratorINS5_IJN6thrust23THRUST_200600_302600_NS6detail15normal_iteratorINSC_10device_ptrIKyEEEESI_EEEEESK_NSA_INS5_IJNSE_INSF_IyEEEESM_EEEEEPS7_SP_SP_NSC_11hip_rocprim7__merge17predicate_wrapperIyyNSC_7greaterImEEEEEE10hipError_tPvRmT0_T1_T2_T3_T4_T5_mmT6_P12ihipStream_tbEUlT_E0_NS1_11comp_targetILNS1_3genE4ELNS1_11target_archE910ELNS1_3gpuE8ELNS1_3repE0EEENS1_30default_config_static_selectorELNS0_4arch9wavefront6targetE0EEEvS10_
	.globl	_ZN7rocprim17ROCPRIM_400000_NS6detail17trampoline_kernelINS0_14default_configENS1_21merge_config_selectorINS0_5tupleIJyyEEENS0_10empty_typeEEEZNS1_10merge_implIS3_NS0_12zip_iteratorINS5_IJN6thrust23THRUST_200600_302600_NS6detail15normal_iteratorINSC_10device_ptrIKyEEEESI_EEEEESK_NSA_INS5_IJNSE_INSF_IyEEEESM_EEEEEPS7_SP_SP_NSC_11hip_rocprim7__merge17predicate_wrapperIyyNSC_7greaterImEEEEEE10hipError_tPvRmT0_T1_T2_T3_T4_T5_mmT6_P12ihipStream_tbEUlT_E0_NS1_11comp_targetILNS1_3genE4ELNS1_11target_archE910ELNS1_3gpuE8ELNS1_3repE0EEENS1_30default_config_static_selectorELNS0_4arch9wavefront6targetE0EEEvS10_
	.p2align	8
	.type	_ZN7rocprim17ROCPRIM_400000_NS6detail17trampoline_kernelINS0_14default_configENS1_21merge_config_selectorINS0_5tupleIJyyEEENS0_10empty_typeEEEZNS1_10merge_implIS3_NS0_12zip_iteratorINS5_IJN6thrust23THRUST_200600_302600_NS6detail15normal_iteratorINSC_10device_ptrIKyEEEESI_EEEEESK_NSA_INS5_IJNSE_INSF_IyEEEESM_EEEEEPS7_SP_SP_NSC_11hip_rocprim7__merge17predicate_wrapperIyyNSC_7greaterImEEEEEE10hipError_tPvRmT0_T1_T2_T3_T4_T5_mmT6_P12ihipStream_tbEUlT_E0_NS1_11comp_targetILNS1_3genE4ELNS1_11target_archE910ELNS1_3gpuE8ELNS1_3repE0EEENS1_30default_config_static_selectorELNS0_4arch9wavefront6targetE0EEEvS10_,@function
_ZN7rocprim17ROCPRIM_400000_NS6detail17trampoline_kernelINS0_14default_configENS1_21merge_config_selectorINS0_5tupleIJyyEEENS0_10empty_typeEEEZNS1_10merge_implIS3_NS0_12zip_iteratorINS5_IJN6thrust23THRUST_200600_302600_NS6detail15normal_iteratorINSC_10device_ptrIKyEEEESI_EEEEESK_NSA_INS5_IJNSE_INSF_IyEEEESM_EEEEEPS7_SP_SP_NSC_11hip_rocprim7__merge17predicate_wrapperIyyNSC_7greaterImEEEEEE10hipError_tPvRmT0_T1_T2_T3_T4_T5_mmT6_P12ihipStream_tbEUlT_E0_NS1_11comp_targetILNS1_3genE4ELNS1_11target_archE910ELNS1_3gpuE8ELNS1_3repE0EEENS1_30default_config_static_selectorELNS0_4arch9wavefront6targetE0EEEvS10_: ; @_ZN7rocprim17ROCPRIM_400000_NS6detail17trampoline_kernelINS0_14default_configENS1_21merge_config_selectorINS0_5tupleIJyyEEENS0_10empty_typeEEEZNS1_10merge_implIS3_NS0_12zip_iteratorINS5_IJN6thrust23THRUST_200600_302600_NS6detail15normal_iteratorINSC_10device_ptrIKyEEEESI_EEEEESK_NSA_INS5_IJNSE_INSF_IyEEEESM_EEEEEPS7_SP_SP_NSC_11hip_rocprim7__merge17predicate_wrapperIyyNSC_7greaterImEEEEEE10hipError_tPvRmT0_T1_T2_T3_T4_T5_mmT6_P12ihipStream_tbEUlT_E0_NS1_11comp_targetILNS1_3genE4ELNS1_11target_archE910ELNS1_3gpuE8ELNS1_3repE0EEENS1_30default_config_static_selectorELNS0_4arch9wavefront6targetE0EEEvS10_
; %bb.0:
	.section	.rodata,"a",@progbits
	.p2align	6, 0x0
	.amdhsa_kernel _ZN7rocprim17ROCPRIM_400000_NS6detail17trampoline_kernelINS0_14default_configENS1_21merge_config_selectorINS0_5tupleIJyyEEENS0_10empty_typeEEEZNS1_10merge_implIS3_NS0_12zip_iteratorINS5_IJN6thrust23THRUST_200600_302600_NS6detail15normal_iteratorINSC_10device_ptrIKyEEEESI_EEEEESK_NSA_INS5_IJNSE_INSF_IyEEEESM_EEEEEPS7_SP_SP_NSC_11hip_rocprim7__merge17predicate_wrapperIyyNSC_7greaterImEEEEEE10hipError_tPvRmT0_T1_T2_T3_T4_T5_mmT6_P12ihipStream_tbEUlT_E0_NS1_11comp_targetILNS1_3genE4ELNS1_11target_archE910ELNS1_3gpuE8ELNS1_3repE0EEENS1_30default_config_static_selectorELNS0_4arch9wavefront6targetE0EEEvS10_
		.amdhsa_group_segment_fixed_size 0
		.amdhsa_private_segment_fixed_size 0
		.amdhsa_kernarg_size 112
		.amdhsa_user_sgpr_count 2
		.amdhsa_user_sgpr_dispatch_ptr 0
		.amdhsa_user_sgpr_queue_ptr 0
		.amdhsa_user_sgpr_kernarg_segment_ptr 1
		.amdhsa_user_sgpr_dispatch_id 0
		.amdhsa_user_sgpr_kernarg_preload_length 0
		.amdhsa_user_sgpr_kernarg_preload_offset 0
		.amdhsa_user_sgpr_private_segment_size 0
		.amdhsa_wavefront_size32 1
		.amdhsa_uses_dynamic_stack 0
		.amdhsa_enable_private_segment 0
		.amdhsa_system_sgpr_workgroup_id_x 1
		.amdhsa_system_sgpr_workgroup_id_y 0
		.amdhsa_system_sgpr_workgroup_id_z 0
		.amdhsa_system_sgpr_workgroup_info 0
		.amdhsa_system_vgpr_workitem_id 0
		.amdhsa_next_free_vgpr 1
		.amdhsa_next_free_sgpr 1
		.amdhsa_named_barrier_count 0
		.amdhsa_reserve_vcc 0
		.amdhsa_float_round_mode_32 0
		.amdhsa_float_round_mode_16_64 0
		.amdhsa_float_denorm_mode_32 3
		.amdhsa_float_denorm_mode_16_64 3
		.amdhsa_fp16_overflow 0
		.amdhsa_memory_ordered 1
		.amdhsa_forward_progress 1
		.amdhsa_inst_pref_size 0
		.amdhsa_round_robin_scheduling 0
		.amdhsa_exception_fp_ieee_invalid_op 0
		.amdhsa_exception_fp_denorm_src 0
		.amdhsa_exception_fp_ieee_div_zero 0
		.amdhsa_exception_fp_ieee_overflow 0
		.amdhsa_exception_fp_ieee_underflow 0
		.amdhsa_exception_fp_ieee_inexact 0
		.amdhsa_exception_int_div_zero 0
	.end_amdhsa_kernel
	.section	.text._ZN7rocprim17ROCPRIM_400000_NS6detail17trampoline_kernelINS0_14default_configENS1_21merge_config_selectorINS0_5tupleIJyyEEENS0_10empty_typeEEEZNS1_10merge_implIS3_NS0_12zip_iteratorINS5_IJN6thrust23THRUST_200600_302600_NS6detail15normal_iteratorINSC_10device_ptrIKyEEEESI_EEEEESK_NSA_INS5_IJNSE_INSF_IyEEEESM_EEEEEPS7_SP_SP_NSC_11hip_rocprim7__merge17predicate_wrapperIyyNSC_7greaterImEEEEEE10hipError_tPvRmT0_T1_T2_T3_T4_T5_mmT6_P12ihipStream_tbEUlT_E0_NS1_11comp_targetILNS1_3genE4ELNS1_11target_archE910ELNS1_3gpuE8ELNS1_3repE0EEENS1_30default_config_static_selectorELNS0_4arch9wavefront6targetE0EEEvS10_,"axG",@progbits,_ZN7rocprim17ROCPRIM_400000_NS6detail17trampoline_kernelINS0_14default_configENS1_21merge_config_selectorINS0_5tupleIJyyEEENS0_10empty_typeEEEZNS1_10merge_implIS3_NS0_12zip_iteratorINS5_IJN6thrust23THRUST_200600_302600_NS6detail15normal_iteratorINSC_10device_ptrIKyEEEESI_EEEEESK_NSA_INS5_IJNSE_INSF_IyEEEESM_EEEEEPS7_SP_SP_NSC_11hip_rocprim7__merge17predicate_wrapperIyyNSC_7greaterImEEEEEE10hipError_tPvRmT0_T1_T2_T3_T4_T5_mmT6_P12ihipStream_tbEUlT_E0_NS1_11comp_targetILNS1_3genE4ELNS1_11target_archE910ELNS1_3gpuE8ELNS1_3repE0EEENS1_30default_config_static_selectorELNS0_4arch9wavefront6targetE0EEEvS10_,comdat
.Lfunc_end364:
	.size	_ZN7rocprim17ROCPRIM_400000_NS6detail17trampoline_kernelINS0_14default_configENS1_21merge_config_selectorINS0_5tupleIJyyEEENS0_10empty_typeEEEZNS1_10merge_implIS3_NS0_12zip_iteratorINS5_IJN6thrust23THRUST_200600_302600_NS6detail15normal_iteratorINSC_10device_ptrIKyEEEESI_EEEEESK_NSA_INS5_IJNSE_INSF_IyEEEESM_EEEEEPS7_SP_SP_NSC_11hip_rocprim7__merge17predicate_wrapperIyyNSC_7greaterImEEEEEE10hipError_tPvRmT0_T1_T2_T3_T4_T5_mmT6_P12ihipStream_tbEUlT_E0_NS1_11comp_targetILNS1_3genE4ELNS1_11target_archE910ELNS1_3gpuE8ELNS1_3repE0EEENS1_30default_config_static_selectorELNS0_4arch9wavefront6targetE0EEEvS10_, .Lfunc_end364-_ZN7rocprim17ROCPRIM_400000_NS6detail17trampoline_kernelINS0_14default_configENS1_21merge_config_selectorINS0_5tupleIJyyEEENS0_10empty_typeEEEZNS1_10merge_implIS3_NS0_12zip_iteratorINS5_IJN6thrust23THRUST_200600_302600_NS6detail15normal_iteratorINSC_10device_ptrIKyEEEESI_EEEEESK_NSA_INS5_IJNSE_INSF_IyEEEESM_EEEEEPS7_SP_SP_NSC_11hip_rocprim7__merge17predicate_wrapperIyyNSC_7greaterImEEEEEE10hipError_tPvRmT0_T1_T2_T3_T4_T5_mmT6_P12ihipStream_tbEUlT_E0_NS1_11comp_targetILNS1_3genE4ELNS1_11target_archE910ELNS1_3gpuE8ELNS1_3repE0EEENS1_30default_config_static_selectorELNS0_4arch9wavefront6targetE0EEEvS10_
                                        ; -- End function
	.set _ZN7rocprim17ROCPRIM_400000_NS6detail17trampoline_kernelINS0_14default_configENS1_21merge_config_selectorINS0_5tupleIJyyEEENS0_10empty_typeEEEZNS1_10merge_implIS3_NS0_12zip_iteratorINS5_IJN6thrust23THRUST_200600_302600_NS6detail15normal_iteratorINSC_10device_ptrIKyEEEESI_EEEEESK_NSA_INS5_IJNSE_INSF_IyEEEESM_EEEEEPS7_SP_SP_NSC_11hip_rocprim7__merge17predicate_wrapperIyyNSC_7greaterImEEEEEE10hipError_tPvRmT0_T1_T2_T3_T4_T5_mmT6_P12ihipStream_tbEUlT_E0_NS1_11comp_targetILNS1_3genE4ELNS1_11target_archE910ELNS1_3gpuE8ELNS1_3repE0EEENS1_30default_config_static_selectorELNS0_4arch9wavefront6targetE0EEEvS10_.num_vgpr, 0
	.set _ZN7rocprim17ROCPRIM_400000_NS6detail17trampoline_kernelINS0_14default_configENS1_21merge_config_selectorINS0_5tupleIJyyEEENS0_10empty_typeEEEZNS1_10merge_implIS3_NS0_12zip_iteratorINS5_IJN6thrust23THRUST_200600_302600_NS6detail15normal_iteratorINSC_10device_ptrIKyEEEESI_EEEEESK_NSA_INS5_IJNSE_INSF_IyEEEESM_EEEEEPS7_SP_SP_NSC_11hip_rocprim7__merge17predicate_wrapperIyyNSC_7greaterImEEEEEE10hipError_tPvRmT0_T1_T2_T3_T4_T5_mmT6_P12ihipStream_tbEUlT_E0_NS1_11comp_targetILNS1_3genE4ELNS1_11target_archE910ELNS1_3gpuE8ELNS1_3repE0EEENS1_30default_config_static_selectorELNS0_4arch9wavefront6targetE0EEEvS10_.num_agpr, 0
	.set _ZN7rocprim17ROCPRIM_400000_NS6detail17trampoline_kernelINS0_14default_configENS1_21merge_config_selectorINS0_5tupleIJyyEEENS0_10empty_typeEEEZNS1_10merge_implIS3_NS0_12zip_iteratorINS5_IJN6thrust23THRUST_200600_302600_NS6detail15normal_iteratorINSC_10device_ptrIKyEEEESI_EEEEESK_NSA_INS5_IJNSE_INSF_IyEEEESM_EEEEEPS7_SP_SP_NSC_11hip_rocprim7__merge17predicate_wrapperIyyNSC_7greaterImEEEEEE10hipError_tPvRmT0_T1_T2_T3_T4_T5_mmT6_P12ihipStream_tbEUlT_E0_NS1_11comp_targetILNS1_3genE4ELNS1_11target_archE910ELNS1_3gpuE8ELNS1_3repE0EEENS1_30default_config_static_selectorELNS0_4arch9wavefront6targetE0EEEvS10_.numbered_sgpr, 0
	.set _ZN7rocprim17ROCPRIM_400000_NS6detail17trampoline_kernelINS0_14default_configENS1_21merge_config_selectorINS0_5tupleIJyyEEENS0_10empty_typeEEEZNS1_10merge_implIS3_NS0_12zip_iteratorINS5_IJN6thrust23THRUST_200600_302600_NS6detail15normal_iteratorINSC_10device_ptrIKyEEEESI_EEEEESK_NSA_INS5_IJNSE_INSF_IyEEEESM_EEEEEPS7_SP_SP_NSC_11hip_rocprim7__merge17predicate_wrapperIyyNSC_7greaterImEEEEEE10hipError_tPvRmT0_T1_T2_T3_T4_T5_mmT6_P12ihipStream_tbEUlT_E0_NS1_11comp_targetILNS1_3genE4ELNS1_11target_archE910ELNS1_3gpuE8ELNS1_3repE0EEENS1_30default_config_static_selectorELNS0_4arch9wavefront6targetE0EEEvS10_.num_named_barrier, 0
	.set _ZN7rocprim17ROCPRIM_400000_NS6detail17trampoline_kernelINS0_14default_configENS1_21merge_config_selectorINS0_5tupleIJyyEEENS0_10empty_typeEEEZNS1_10merge_implIS3_NS0_12zip_iteratorINS5_IJN6thrust23THRUST_200600_302600_NS6detail15normal_iteratorINSC_10device_ptrIKyEEEESI_EEEEESK_NSA_INS5_IJNSE_INSF_IyEEEESM_EEEEEPS7_SP_SP_NSC_11hip_rocprim7__merge17predicate_wrapperIyyNSC_7greaterImEEEEEE10hipError_tPvRmT0_T1_T2_T3_T4_T5_mmT6_P12ihipStream_tbEUlT_E0_NS1_11comp_targetILNS1_3genE4ELNS1_11target_archE910ELNS1_3gpuE8ELNS1_3repE0EEENS1_30default_config_static_selectorELNS0_4arch9wavefront6targetE0EEEvS10_.private_seg_size, 0
	.set _ZN7rocprim17ROCPRIM_400000_NS6detail17trampoline_kernelINS0_14default_configENS1_21merge_config_selectorINS0_5tupleIJyyEEENS0_10empty_typeEEEZNS1_10merge_implIS3_NS0_12zip_iteratorINS5_IJN6thrust23THRUST_200600_302600_NS6detail15normal_iteratorINSC_10device_ptrIKyEEEESI_EEEEESK_NSA_INS5_IJNSE_INSF_IyEEEESM_EEEEEPS7_SP_SP_NSC_11hip_rocprim7__merge17predicate_wrapperIyyNSC_7greaterImEEEEEE10hipError_tPvRmT0_T1_T2_T3_T4_T5_mmT6_P12ihipStream_tbEUlT_E0_NS1_11comp_targetILNS1_3genE4ELNS1_11target_archE910ELNS1_3gpuE8ELNS1_3repE0EEENS1_30default_config_static_selectorELNS0_4arch9wavefront6targetE0EEEvS10_.uses_vcc, 0
	.set _ZN7rocprim17ROCPRIM_400000_NS6detail17trampoline_kernelINS0_14default_configENS1_21merge_config_selectorINS0_5tupleIJyyEEENS0_10empty_typeEEEZNS1_10merge_implIS3_NS0_12zip_iteratorINS5_IJN6thrust23THRUST_200600_302600_NS6detail15normal_iteratorINSC_10device_ptrIKyEEEESI_EEEEESK_NSA_INS5_IJNSE_INSF_IyEEEESM_EEEEEPS7_SP_SP_NSC_11hip_rocprim7__merge17predicate_wrapperIyyNSC_7greaterImEEEEEE10hipError_tPvRmT0_T1_T2_T3_T4_T5_mmT6_P12ihipStream_tbEUlT_E0_NS1_11comp_targetILNS1_3genE4ELNS1_11target_archE910ELNS1_3gpuE8ELNS1_3repE0EEENS1_30default_config_static_selectorELNS0_4arch9wavefront6targetE0EEEvS10_.uses_flat_scratch, 0
	.set _ZN7rocprim17ROCPRIM_400000_NS6detail17trampoline_kernelINS0_14default_configENS1_21merge_config_selectorINS0_5tupleIJyyEEENS0_10empty_typeEEEZNS1_10merge_implIS3_NS0_12zip_iteratorINS5_IJN6thrust23THRUST_200600_302600_NS6detail15normal_iteratorINSC_10device_ptrIKyEEEESI_EEEEESK_NSA_INS5_IJNSE_INSF_IyEEEESM_EEEEEPS7_SP_SP_NSC_11hip_rocprim7__merge17predicate_wrapperIyyNSC_7greaterImEEEEEE10hipError_tPvRmT0_T1_T2_T3_T4_T5_mmT6_P12ihipStream_tbEUlT_E0_NS1_11comp_targetILNS1_3genE4ELNS1_11target_archE910ELNS1_3gpuE8ELNS1_3repE0EEENS1_30default_config_static_selectorELNS0_4arch9wavefront6targetE0EEEvS10_.has_dyn_sized_stack, 0
	.set _ZN7rocprim17ROCPRIM_400000_NS6detail17trampoline_kernelINS0_14default_configENS1_21merge_config_selectorINS0_5tupleIJyyEEENS0_10empty_typeEEEZNS1_10merge_implIS3_NS0_12zip_iteratorINS5_IJN6thrust23THRUST_200600_302600_NS6detail15normal_iteratorINSC_10device_ptrIKyEEEESI_EEEEESK_NSA_INS5_IJNSE_INSF_IyEEEESM_EEEEEPS7_SP_SP_NSC_11hip_rocprim7__merge17predicate_wrapperIyyNSC_7greaterImEEEEEE10hipError_tPvRmT0_T1_T2_T3_T4_T5_mmT6_P12ihipStream_tbEUlT_E0_NS1_11comp_targetILNS1_3genE4ELNS1_11target_archE910ELNS1_3gpuE8ELNS1_3repE0EEENS1_30default_config_static_selectorELNS0_4arch9wavefront6targetE0EEEvS10_.has_recursion, 0
	.set _ZN7rocprim17ROCPRIM_400000_NS6detail17trampoline_kernelINS0_14default_configENS1_21merge_config_selectorINS0_5tupleIJyyEEENS0_10empty_typeEEEZNS1_10merge_implIS3_NS0_12zip_iteratorINS5_IJN6thrust23THRUST_200600_302600_NS6detail15normal_iteratorINSC_10device_ptrIKyEEEESI_EEEEESK_NSA_INS5_IJNSE_INSF_IyEEEESM_EEEEEPS7_SP_SP_NSC_11hip_rocprim7__merge17predicate_wrapperIyyNSC_7greaterImEEEEEE10hipError_tPvRmT0_T1_T2_T3_T4_T5_mmT6_P12ihipStream_tbEUlT_E0_NS1_11comp_targetILNS1_3genE4ELNS1_11target_archE910ELNS1_3gpuE8ELNS1_3repE0EEENS1_30default_config_static_selectorELNS0_4arch9wavefront6targetE0EEEvS10_.has_indirect_call, 0
	.section	.AMDGPU.csdata,"",@progbits
; Kernel info:
; codeLenInByte = 0
; TotalNumSgprs: 0
; NumVgprs: 0
; ScratchSize: 0
; MemoryBound: 0
; FloatMode: 240
; IeeeMode: 1
; LDSByteSize: 0 bytes/workgroup (compile time only)
; SGPRBlocks: 0
; VGPRBlocks: 0
; NumSGPRsForWavesPerEU: 1
; NumVGPRsForWavesPerEU: 1
; NamedBarCnt: 0
; Occupancy: 16
; WaveLimiterHint : 0
; COMPUTE_PGM_RSRC2:SCRATCH_EN: 0
; COMPUTE_PGM_RSRC2:USER_SGPR: 2
; COMPUTE_PGM_RSRC2:TRAP_HANDLER: 0
; COMPUTE_PGM_RSRC2:TGID_X_EN: 1
; COMPUTE_PGM_RSRC2:TGID_Y_EN: 0
; COMPUTE_PGM_RSRC2:TGID_Z_EN: 0
; COMPUTE_PGM_RSRC2:TIDIG_COMP_CNT: 0
	.section	.text._ZN7rocprim17ROCPRIM_400000_NS6detail17trampoline_kernelINS0_14default_configENS1_21merge_config_selectorINS0_5tupleIJyyEEENS0_10empty_typeEEEZNS1_10merge_implIS3_NS0_12zip_iteratorINS5_IJN6thrust23THRUST_200600_302600_NS6detail15normal_iteratorINSC_10device_ptrIKyEEEESI_EEEEESK_NSA_INS5_IJNSE_INSF_IyEEEESM_EEEEEPS7_SP_SP_NSC_11hip_rocprim7__merge17predicate_wrapperIyyNSC_7greaterImEEEEEE10hipError_tPvRmT0_T1_T2_T3_T4_T5_mmT6_P12ihipStream_tbEUlT_E0_NS1_11comp_targetILNS1_3genE3ELNS1_11target_archE908ELNS1_3gpuE7ELNS1_3repE0EEENS1_30default_config_static_selectorELNS0_4arch9wavefront6targetE0EEEvS10_,"axG",@progbits,_ZN7rocprim17ROCPRIM_400000_NS6detail17trampoline_kernelINS0_14default_configENS1_21merge_config_selectorINS0_5tupleIJyyEEENS0_10empty_typeEEEZNS1_10merge_implIS3_NS0_12zip_iteratorINS5_IJN6thrust23THRUST_200600_302600_NS6detail15normal_iteratorINSC_10device_ptrIKyEEEESI_EEEEESK_NSA_INS5_IJNSE_INSF_IyEEEESM_EEEEEPS7_SP_SP_NSC_11hip_rocprim7__merge17predicate_wrapperIyyNSC_7greaterImEEEEEE10hipError_tPvRmT0_T1_T2_T3_T4_T5_mmT6_P12ihipStream_tbEUlT_E0_NS1_11comp_targetILNS1_3genE3ELNS1_11target_archE908ELNS1_3gpuE7ELNS1_3repE0EEENS1_30default_config_static_selectorELNS0_4arch9wavefront6targetE0EEEvS10_,comdat
	.protected	_ZN7rocprim17ROCPRIM_400000_NS6detail17trampoline_kernelINS0_14default_configENS1_21merge_config_selectorINS0_5tupleIJyyEEENS0_10empty_typeEEEZNS1_10merge_implIS3_NS0_12zip_iteratorINS5_IJN6thrust23THRUST_200600_302600_NS6detail15normal_iteratorINSC_10device_ptrIKyEEEESI_EEEEESK_NSA_INS5_IJNSE_INSF_IyEEEESM_EEEEEPS7_SP_SP_NSC_11hip_rocprim7__merge17predicate_wrapperIyyNSC_7greaterImEEEEEE10hipError_tPvRmT0_T1_T2_T3_T4_T5_mmT6_P12ihipStream_tbEUlT_E0_NS1_11comp_targetILNS1_3genE3ELNS1_11target_archE908ELNS1_3gpuE7ELNS1_3repE0EEENS1_30default_config_static_selectorELNS0_4arch9wavefront6targetE0EEEvS10_ ; -- Begin function _ZN7rocprim17ROCPRIM_400000_NS6detail17trampoline_kernelINS0_14default_configENS1_21merge_config_selectorINS0_5tupleIJyyEEENS0_10empty_typeEEEZNS1_10merge_implIS3_NS0_12zip_iteratorINS5_IJN6thrust23THRUST_200600_302600_NS6detail15normal_iteratorINSC_10device_ptrIKyEEEESI_EEEEESK_NSA_INS5_IJNSE_INSF_IyEEEESM_EEEEEPS7_SP_SP_NSC_11hip_rocprim7__merge17predicate_wrapperIyyNSC_7greaterImEEEEEE10hipError_tPvRmT0_T1_T2_T3_T4_T5_mmT6_P12ihipStream_tbEUlT_E0_NS1_11comp_targetILNS1_3genE3ELNS1_11target_archE908ELNS1_3gpuE7ELNS1_3repE0EEENS1_30default_config_static_selectorELNS0_4arch9wavefront6targetE0EEEvS10_
	.globl	_ZN7rocprim17ROCPRIM_400000_NS6detail17trampoline_kernelINS0_14default_configENS1_21merge_config_selectorINS0_5tupleIJyyEEENS0_10empty_typeEEEZNS1_10merge_implIS3_NS0_12zip_iteratorINS5_IJN6thrust23THRUST_200600_302600_NS6detail15normal_iteratorINSC_10device_ptrIKyEEEESI_EEEEESK_NSA_INS5_IJNSE_INSF_IyEEEESM_EEEEEPS7_SP_SP_NSC_11hip_rocprim7__merge17predicate_wrapperIyyNSC_7greaterImEEEEEE10hipError_tPvRmT0_T1_T2_T3_T4_T5_mmT6_P12ihipStream_tbEUlT_E0_NS1_11comp_targetILNS1_3genE3ELNS1_11target_archE908ELNS1_3gpuE7ELNS1_3repE0EEENS1_30default_config_static_selectorELNS0_4arch9wavefront6targetE0EEEvS10_
	.p2align	8
	.type	_ZN7rocprim17ROCPRIM_400000_NS6detail17trampoline_kernelINS0_14default_configENS1_21merge_config_selectorINS0_5tupleIJyyEEENS0_10empty_typeEEEZNS1_10merge_implIS3_NS0_12zip_iteratorINS5_IJN6thrust23THRUST_200600_302600_NS6detail15normal_iteratorINSC_10device_ptrIKyEEEESI_EEEEESK_NSA_INS5_IJNSE_INSF_IyEEEESM_EEEEEPS7_SP_SP_NSC_11hip_rocprim7__merge17predicate_wrapperIyyNSC_7greaterImEEEEEE10hipError_tPvRmT0_T1_T2_T3_T4_T5_mmT6_P12ihipStream_tbEUlT_E0_NS1_11comp_targetILNS1_3genE3ELNS1_11target_archE908ELNS1_3gpuE7ELNS1_3repE0EEENS1_30default_config_static_selectorELNS0_4arch9wavefront6targetE0EEEvS10_,@function
_ZN7rocprim17ROCPRIM_400000_NS6detail17trampoline_kernelINS0_14default_configENS1_21merge_config_selectorINS0_5tupleIJyyEEENS0_10empty_typeEEEZNS1_10merge_implIS3_NS0_12zip_iteratorINS5_IJN6thrust23THRUST_200600_302600_NS6detail15normal_iteratorINSC_10device_ptrIKyEEEESI_EEEEESK_NSA_INS5_IJNSE_INSF_IyEEEESM_EEEEEPS7_SP_SP_NSC_11hip_rocprim7__merge17predicate_wrapperIyyNSC_7greaterImEEEEEE10hipError_tPvRmT0_T1_T2_T3_T4_T5_mmT6_P12ihipStream_tbEUlT_E0_NS1_11comp_targetILNS1_3genE3ELNS1_11target_archE908ELNS1_3gpuE7ELNS1_3repE0EEENS1_30default_config_static_selectorELNS0_4arch9wavefront6targetE0EEEvS10_: ; @_ZN7rocprim17ROCPRIM_400000_NS6detail17trampoline_kernelINS0_14default_configENS1_21merge_config_selectorINS0_5tupleIJyyEEENS0_10empty_typeEEEZNS1_10merge_implIS3_NS0_12zip_iteratorINS5_IJN6thrust23THRUST_200600_302600_NS6detail15normal_iteratorINSC_10device_ptrIKyEEEESI_EEEEESK_NSA_INS5_IJNSE_INSF_IyEEEESM_EEEEEPS7_SP_SP_NSC_11hip_rocprim7__merge17predicate_wrapperIyyNSC_7greaterImEEEEEE10hipError_tPvRmT0_T1_T2_T3_T4_T5_mmT6_P12ihipStream_tbEUlT_E0_NS1_11comp_targetILNS1_3genE3ELNS1_11target_archE908ELNS1_3gpuE7ELNS1_3repE0EEENS1_30default_config_static_selectorELNS0_4arch9wavefront6targetE0EEEvS10_
; %bb.0:
	.section	.rodata,"a",@progbits
	.p2align	6, 0x0
	.amdhsa_kernel _ZN7rocprim17ROCPRIM_400000_NS6detail17trampoline_kernelINS0_14default_configENS1_21merge_config_selectorINS0_5tupleIJyyEEENS0_10empty_typeEEEZNS1_10merge_implIS3_NS0_12zip_iteratorINS5_IJN6thrust23THRUST_200600_302600_NS6detail15normal_iteratorINSC_10device_ptrIKyEEEESI_EEEEESK_NSA_INS5_IJNSE_INSF_IyEEEESM_EEEEEPS7_SP_SP_NSC_11hip_rocprim7__merge17predicate_wrapperIyyNSC_7greaterImEEEEEE10hipError_tPvRmT0_T1_T2_T3_T4_T5_mmT6_P12ihipStream_tbEUlT_E0_NS1_11comp_targetILNS1_3genE3ELNS1_11target_archE908ELNS1_3gpuE7ELNS1_3repE0EEENS1_30default_config_static_selectorELNS0_4arch9wavefront6targetE0EEEvS10_
		.amdhsa_group_segment_fixed_size 0
		.amdhsa_private_segment_fixed_size 0
		.amdhsa_kernarg_size 112
		.amdhsa_user_sgpr_count 2
		.amdhsa_user_sgpr_dispatch_ptr 0
		.amdhsa_user_sgpr_queue_ptr 0
		.amdhsa_user_sgpr_kernarg_segment_ptr 1
		.amdhsa_user_sgpr_dispatch_id 0
		.amdhsa_user_sgpr_kernarg_preload_length 0
		.amdhsa_user_sgpr_kernarg_preload_offset 0
		.amdhsa_user_sgpr_private_segment_size 0
		.amdhsa_wavefront_size32 1
		.amdhsa_uses_dynamic_stack 0
		.amdhsa_enable_private_segment 0
		.amdhsa_system_sgpr_workgroup_id_x 1
		.amdhsa_system_sgpr_workgroup_id_y 0
		.amdhsa_system_sgpr_workgroup_id_z 0
		.amdhsa_system_sgpr_workgroup_info 0
		.amdhsa_system_vgpr_workitem_id 0
		.amdhsa_next_free_vgpr 1
		.amdhsa_next_free_sgpr 1
		.amdhsa_named_barrier_count 0
		.amdhsa_reserve_vcc 0
		.amdhsa_float_round_mode_32 0
		.amdhsa_float_round_mode_16_64 0
		.amdhsa_float_denorm_mode_32 3
		.amdhsa_float_denorm_mode_16_64 3
		.amdhsa_fp16_overflow 0
		.amdhsa_memory_ordered 1
		.amdhsa_forward_progress 1
		.amdhsa_inst_pref_size 0
		.amdhsa_round_robin_scheduling 0
		.amdhsa_exception_fp_ieee_invalid_op 0
		.amdhsa_exception_fp_denorm_src 0
		.amdhsa_exception_fp_ieee_div_zero 0
		.amdhsa_exception_fp_ieee_overflow 0
		.amdhsa_exception_fp_ieee_underflow 0
		.amdhsa_exception_fp_ieee_inexact 0
		.amdhsa_exception_int_div_zero 0
	.end_amdhsa_kernel
	.section	.text._ZN7rocprim17ROCPRIM_400000_NS6detail17trampoline_kernelINS0_14default_configENS1_21merge_config_selectorINS0_5tupleIJyyEEENS0_10empty_typeEEEZNS1_10merge_implIS3_NS0_12zip_iteratorINS5_IJN6thrust23THRUST_200600_302600_NS6detail15normal_iteratorINSC_10device_ptrIKyEEEESI_EEEEESK_NSA_INS5_IJNSE_INSF_IyEEEESM_EEEEEPS7_SP_SP_NSC_11hip_rocprim7__merge17predicate_wrapperIyyNSC_7greaterImEEEEEE10hipError_tPvRmT0_T1_T2_T3_T4_T5_mmT6_P12ihipStream_tbEUlT_E0_NS1_11comp_targetILNS1_3genE3ELNS1_11target_archE908ELNS1_3gpuE7ELNS1_3repE0EEENS1_30default_config_static_selectorELNS0_4arch9wavefront6targetE0EEEvS10_,"axG",@progbits,_ZN7rocprim17ROCPRIM_400000_NS6detail17trampoline_kernelINS0_14default_configENS1_21merge_config_selectorINS0_5tupleIJyyEEENS0_10empty_typeEEEZNS1_10merge_implIS3_NS0_12zip_iteratorINS5_IJN6thrust23THRUST_200600_302600_NS6detail15normal_iteratorINSC_10device_ptrIKyEEEESI_EEEEESK_NSA_INS5_IJNSE_INSF_IyEEEESM_EEEEEPS7_SP_SP_NSC_11hip_rocprim7__merge17predicate_wrapperIyyNSC_7greaterImEEEEEE10hipError_tPvRmT0_T1_T2_T3_T4_T5_mmT6_P12ihipStream_tbEUlT_E0_NS1_11comp_targetILNS1_3genE3ELNS1_11target_archE908ELNS1_3gpuE7ELNS1_3repE0EEENS1_30default_config_static_selectorELNS0_4arch9wavefront6targetE0EEEvS10_,comdat
.Lfunc_end365:
	.size	_ZN7rocprim17ROCPRIM_400000_NS6detail17trampoline_kernelINS0_14default_configENS1_21merge_config_selectorINS0_5tupleIJyyEEENS0_10empty_typeEEEZNS1_10merge_implIS3_NS0_12zip_iteratorINS5_IJN6thrust23THRUST_200600_302600_NS6detail15normal_iteratorINSC_10device_ptrIKyEEEESI_EEEEESK_NSA_INS5_IJNSE_INSF_IyEEEESM_EEEEEPS7_SP_SP_NSC_11hip_rocprim7__merge17predicate_wrapperIyyNSC_7greaterImEEEEEE10hipError_tPvRmT0_T1_T2_T3_T4_T5_mmT6_P12ihipStream_tbEUlT_E0_NS1_11comp_targetILNS1_3genE3ELNS1_11target_archE908ELNS1_3gpuE7ELNS1_3repE0EEENS1_30default_config_static_selectorELNS0_4arch9wavefront6targetE0EEEvS10_, .Lfunc_end365-_ZN7rocprim17ROCPRIM_400000_NS6detail17trampoline_kernelINS0_14default_configENS1_21merge_config_selectorINS0_5tupleIJyyEEENS0_10empty_typeEEEZNS1_10merge_implIS3_NS0_12zip_iteratorINS5_IJN6thrust23THRUST_200600_302600_NS6detail15normal_iteratorINSC_10device_ptrIKyEEEESI_EEEEESK_NSA_INS5_IJNSE_INSF_IyEEEESM_EEEEEPS7_SP_SP_NSC_11hip_rocprim7__merge17predicate_wrapperIyyNSC_7greaterImEEEEEE10hipError_tPvRmT0_T1_T2_T3_T4_T5_mmT6_P12ihipStream_tbEUlT_E0_NS1_11comp_targetILNS1_3genE3ELNS1_11target_archE908ELNS1_3gpuE7ELNS1_3repE0EEENS1_30default_config_static_selectorELNS0_4arch9wavefront6targetE0EEEvS10_
                                        ; -- End function
	.set _ZN7rocprim17ROCPRIM_400000_NS6detail17trampoline_kernelINS0_14default_configENS1_21merge_config_selectorINS0_5tupleIJyyEEENS0_10empty_typeEEEZNS1_10merge_implIS3_NS0_12zip_iteratorINS5_IJN6thrust23THRUST_200600_302600_NS6detail15normal_iteratorINSC_10device_ptrIKyEEEESI_EEEEESK_NSA_INS5_IJNSE_INSF_IyEEEESM_EEEEEPS7_SP_SP_NSC_11hip_rocprim7__merge17predicate_wrapperIyyNSC_7greaterImEEEEEE10hipError_tPvRmT0_T1_T2_T3_T4_T5_mmT6_P12ihipStream_tbEUlT_E0_NS1_11comp_targetILNS1_3genE3ELNS1_11target_archE908ELNS1_3gpuE7ELNS1_3repE0EEENS1_30default_config_static_selectorELNS0_4arch9wavefront6targetE0EEEvS10_.num_vgpr, 0
	.set _ZN7rocprim17ROCPRIM_400000_NS6detail17trampoline_kernelINS0_14default_configENS1_21merge_config_selectorINS0_5tupleIJyyEEENS0_10empty_typeEEEZNS1_10merge_implIS3_NS0_12zip_iteratorINS5_IJN6thrust23THRUST_200600_302600_NS6detail15normal_iteratorINSC_10device_ptrIKyEEEESI_EEEEESK_NSA_INS5_IJNSE_INSF_IyEEEESM_EEEEEPS7_SP_SP_NSC_11hip_rocprim7__merge17predicate_wrapperIyyNSC_7greaterImEEEEEE10hipError_tPvRmT0_T1_T2_T3_T4_T5_mmT6_P12ihipStream_tbEUlT_E0_NS1_11comp_targetILNS1_3genE3ELNS1_11target_archE908ELNS1_3gpuE7ELNS1_3repE0EEENS1_30default_config_static_selectorELNS0_4arch9wavefront6targetE0EEEvS10_.num_agpr, 0
	.set _ZN7rocprim17ROCPRIM_400000_NS6detail17trampoline_kernelINS0_14default_configENS1_21merge_config_selectorINS0_5tupleIJyyEEENS0_10empty_typeEEEZNS1_10merge_implIS3_NS0_12zip_iteratorINS5_IJN6thrust23THRUST_200600_302600_NS6detail15normal_iteratorINSC_10device_ptrIKyEEEESI_EEEEESK_NSA_INS5_IJNSE_INSF_IyEEEESM_EEEEEPS7_SP_SP_NSC_11hip_rocprim7__merge17predicate_wrapperIyyNSC_7greaterImEEEEEE10hipError_tPvRmT0_T1_T2_T3_T4_T5_mmT6_P12ihipStream_tbEUlT_E0_NS1_11comp_targetILNS1_3genE3ELNS1_11target_archE908ELNS1_3gpuE7ELNS1_3repE0EEENS1_30default_config_static_selectorELNS0_4arch9wavefront6targetE0EEEvS10_.numbered_sgpr, 0
	.set _ZN7rocprim17ROCPRIM_400000_NS6detail17trampoline_kernelINS0_14default_configENS1_21merge_config_selectorINS0_5tupleIJyyEEENS0_10empty_typeEEEZNS1_10merge_implIS3_NS0_12zip_iteratorINS5_IJN6thrust23THRUST_200600_302600_NS6detail15normal_iteratorINSC_10device_ptrIKyEEEESI_EEEEESK_NSA_INS5_IJNSE_INSF_IyEEEESM_EEEEEPS7_SP_SP_NSC_11hip_rocprim7__merge17predicate_wrapperIyyNSC_7greaterImEEEEEE10hipError_tPvRmT0_T1_T2_T3_T4_T5_mmT6_P12ihipStream_tbEUlT_E0_NS1_11comp_targetILNS1_3genE3ELNS1_11target_archE908ELNS1_3gpuE7ELNS1_3repE0EEENS1_30default_config_static_selectorELNS0_4arch9wavefront6targetE0EEEvS10_.num_named_barrier, 0
	.set _ZN7rocprim17ROCPRIM_400000_NS6detail17trampoline_kernelINS0_14default_configENS1_21merge_config_selectorINS0_5tupleIJyyEEENS0_10empty_typeEEEZNS1_10merge_implIS3_NS0_12zip_iteratorINS5_IJN6thrust23THRUST_200600_302600_NS6detail15normal_iteratorINSC_10device_ptrIKyEEEESI_EEEEESK_NSA_INS5_IJNSE_INSF_IyEEEESM_EEEEEPS7_SP_SP_NSC_11hip_rocprim7__merge17predicate_wrapperIyyNSC_7greaterImEEEEEE10hipError_tPvRmT0_T1_T2_T3_T4_T5_mmT6_P12ihipStream_tbEUlT_E0_NS1_11comp_targetILNS1_3genE3ELNS1_11target_archE908ELNS1_3gpuE7ELNS1_3repE0EEENS1_30default_config_static_selectorELNS0_4arch9wavefront6targetE0EEEvS10_.private_seg_size, 0
	.set _ZN7rocprim17ROCPRIM_400000_NS6detail17trampoline_kernelINS0_14default_configENS1_21merge_config_selectorINS0_5tupleIJyyEEENS0_10empty_typeEEEZNS1_10merge_implIS3_NS0_12zip_iteratorINS5_IJN6thrust23THRUST_200600_302600_NS6detail15normal_iteratorINSC_10device_ptrIKyEEEESI_EEEEESK_NSA_INS5_IJNSE_INSF_IyEEEESM_EEEEEPS7_SP_SP_NSC_11hip_rocprim7__merge17predicate_wrapperIyyNSC_7greaterImEEEEEE10hipError_tPvRmT0_T1_T2_T3_T4_T5_mmT6_P12ihipStream_tbEUlT_E0_NS1_11comp_targetILNS1_3genE3ELNS1_11target_archE908ELNS1_3gpuE7ELNS1_3repE0EEENS1_30default_config_static_selectorELNS0_4arch9wavefront6targetE0EEEvS10_.uses_vcc, 0
	.set _ZN7rocprim17ROCPRIM_400000_NS6detail17trampoline_kernelINS0_14default_configENS1_21merge_config_selectorINS0_5tupleIJyyEEENS0_10empty_typeEEEZNS1_10merge_implIS3_NS0_12zip_iteratorINS5_IJN6thrust23THRUST_200600_302600_NS6detail15normal_iteratorINSC_10device_ptrIKyEEEESI_EEEEESK_NSA_INS5_IJNSE_INSF_IyEEEESM_EEEEEPS7_SP_SP_NSC_11hip_rocprim7__merge17predicate_wrapperIyyNSC_7greaterImEEEEEE10hipError_tPvRmT0_T1_T2_T3_T4_T5_mmT6_P12ihipStream_tbEUlT_E0_NS1_11comp_targetILNS1_3genE3ELNS1_11target_archE908ELNS1_3gpuE7ELNS1_3repE0EEENS1_30default_config_static_selectorELNS0_4arch9wavefront6targetE0EEEvS10_.uses_flat_scratch, 0
	.set _ZN7rocprim17ROCPRIM_400000_NS6detail17trampoline_kernelINS0_14default_configENS1_21merge_config_selectorINS0_5tupleIJyyEEENS0_10empty_typeEEEZNS1_10merge_implIS3_NS0_12zip_iteratorINS5_IJN6thrust23THRUST_200600_302600_NS6detail15normal_iteratorINSC_10device_ptrIKyEEEESI_EEEEESK_NSA_INS5_IJNSE_INSF_IyEEEESM_EEEEEPS7_SP_SP_NSC_11hip_rocprim7__merge17predicate_wrapperIyyNSC_7greaterImEEEEEE10hipError_tPvRmT0_T1_T2_T3_T4_T5_mmT6_P12ihipStream_tbEUlT_E0_NS1_11comp_targetILNS1_3genE3ELNS1_11target_archE908ELNS1_3gpuE7ELNS1_3repE0EEENS1_30default_config_static_selectorELNS0_4arch9wavefront6targetE0EEEvS10_.has_dyn_sized_stack, 0
	.set _ZN7rocprim17ROCPRIM_400000_NS6detail17trampoline_kernelINS0_14default_configENS1_21merge_config_selectorINS0_5tupleIJyyEEENS0_10empty_typeEEEZNS1_10merge_implIS3_NS0_12zip_iteratorINS5_IJN6thrust23THRUST_200600_302600_NS6detail15normal_iteratorINSC_10device_ptrIKyEEEESI_EEEEESK_NSA_INS5_IJNSE_INSF_IyEEEESM_EEEEEPS7_SP_SP_NSC_11hip_rocprim7__merge17predicate_wrapperIyyNSC_7greaterImEEEEEE10hipError_tPvRmT0_T1_T2_T3_T4_T5_mmT6_P12ihipStream_tbEUlT_E0_NS1_11comp_targetILNS1_3genE3ELNS1_11target_archE908ELNS1_3gpuE7ELNS1_3repE0EEENS1_30default_config_static_selectorELNS0_4arch9wavefront6targetE0EEEvS10_.has_recursion, 0
	.set _ZN7rocprim17ROCPRIM_400000_NS6detail17trampoline_kernelINS0_14default_configENS1_21merge_config_selectorINS0_5tupleIJyyEEENS0_10empty_typeEEEZNS1_10merge_implIS3_NS0_12zip_iteratorINS5_IJN6thrust23THRUST_200600_302600_NS6detail15normal_iteratorINSC_10device_ptrIKyEEEESI_EEEEESK_NSA_INS5_IJNSE_INSF_IyEEEESM_EEEEEPS7_SP_SP_NSC_11hip_rocprim7__merge17predicate_wrapperIyyNSC_7greaterImEEEEEE10hipError_tPvRmT0_T1_T2_T3_T4_T5_mmT6_P12ihipStream_tbEUlT_E0_NS1_11comp_targetILNS1_3genE3ELNS1_11target_archE908ELNS1_3gpuE7ELNS1_3repE0EEENS1_30default_config_static_selectorELNS0_4arch9wavefront6targetE0EEEvS10_.has_indirect_call, 0
	.section	.AMDGPU.csdata,"",@progbits
; Kernel info:
; codeLenInByte = 0
; TotalNumSgprs: 0
; NumVgprs: 0
; ScratchSize: 0
; MemoryBound: 0
; FloatMode: 240
; IeeeMode: 1
; LDSByteSize: 0 bytes/workgroup (compile time only)
; SGPRBlocks: 0
; VGPRBlocks: 0
; NumSGPRsForWavesPerEU: 1
; NumVGPRsForWavesPerEU: 1
; NamedBarCnt: 0
; Occupancy: 16
; WaveLimiterHint : 0
; COMPUTE_PGM_RSRC2:SCRATCH_EN: 0
; COMPUTE_PGM_RSRC2:USER_SGPR: 2
; COMPUTE_PGM_RSRC2:TRAP_HANDLER: 0
; COMPUTE_PGM_RSRC2:TGID_X_EN: 1
; COMPUTE_PGM_RSRC2:TGID_Y_EN: 0
; COMPUTE_PGM_RSRC2:TGID_Z_EN: 0
; COMPUTE_PGM_RSRC2:TIDIG_COMP_CNT: 0
	.section	.text._ZN7rocprim17ROCPRIM_400000_NS6detail17trampoline_kernelINS0_14default_configENS1_21merge_config_selectorINS0_5tupleIJyyEEENS0_10empty_typeEEEZNS1_10merge_implIS3_NS0_12zip_iteratorINS5_IJN6thrust23THRUST_200600_302600_NS6detail15normal_iteratorINSC_10device_ptrIKyEEEESI_EEEEESK_NSA_INS5_IJNSE_INSF_IyEEEESM_EEEEEPS7_SP_SP_NSC_11hip_rocprim7__merge17predicate_wrapperIyyNSC_7greaterImEEEEEE10hipError_tPvRmT0_T1_T2_T3_T4_T5_mmT6_P12ihipStream_tbEUlT_E0_NS1_11comp_targetILNS1_3genE2ELNS1_11target_archE906ELNS1_3gpuE6ELNS1_3repE0EEENS1_30default_config_static_selectorELNS0_4arch9wavefront6targetE0EEEvS10_,"axG",@progbits,_ZN7rocprim17ROCPRIM_400000_NS6detail17trampoline_kernelINS0_14default_configENS1_21merge_config_selectorINS0_5tupleIJyyEEENS0_10empty_typeEEEZNS1_10merge_implIS3_NS0_12zip_iteratorINS5_IJN6thrust23THRUST_200600_302600_NS6detail15normal_iteratorINSC_10device_ptrIKyEEEESI_EEEEESK_NSA_INS5_IJNSE_INSF_IyEEEESM_EEEEEPS7_SP_SP_NSC_11hip_rocprim7__merge17predicate_wrapperIyyNSC_7greaterImEEEEEE10hipError_tPvRmT0_T1_T2_T3_T4_T5_mmT6_P12ihipStream_tbEUlT_E0_NS1_11comp_targetILNS1_3genE2ELNS1_11target_archE906ELNS1_3gpuE6ELNS1_3repE0EEENS1_30default_config_static_selectorELNS0_4arch9wavefront6targetE0EEEvS10_,comdat
	.protected	_ZN7rocprim17ROCPRIM_400000_NS6detail17trampoline_kernelINS0_14default_configENS1_21merge_config_selectorINS0_5tupleIJyyEEENS0_10empty_typeEEEZNS1_10merge_implIS3_NS0_12zip_iteratorINS5_IJN6thrust23THRUST_200600_302600_NS6detail15normal_iteratorINSC_10device_ptrIKyEEEESI_EEEEESK_NSA_INS5_IJNSE_INSF_IyEEEESM_EEEEEPS7_SP_SP_NSC_11hip_rocprim7__merge17predicate_wrapperIyyNSC_7greaterImEEEEEE10hipError_tPvRmT0_T1_T2_T3_T4_T5_mmT6_P12ihipStream_tbEUlT_E0_NS1_11comp_targetILNS1_3genE2ELNS1_11target_archE906ELNS1_3gpuE6ELNS1_3repE0EEENS1_30default_config_static_selectorELNS0_4arch9wavefront6targetE0EEEvS10_ ; -- Begin function _ZN7rocprim17ROCPRIM_400000_NS6detail17trampoline_kernelINS0_14default_configENS1_21merge_config_selectorINS0_5tupleIJyyEEENS0_10empty_typeEEEZNS1_10merge_implIS3_NS0_12zip_iteratorINS5_IJN6thrust23THRUST_200600_302600_NS6detail15normal_iteratorINSC_10device_ptrIKyEEEESI_EEEEESK_NSA_INS5_IJNSE_INSF_IyEEEESM_EEEEEPS7_SP_SP_NSC_11hip_rocprim7__merge17predicate_wrapperIyyNSC_7greaterImEEEEEE10hipError_tPvRmT0_T1_T2_T3_T4_T5_mmT6_P12ihipStream_tbEUlT_E0_NS1_11comp_targetILNS1_3genE2ELNS1_11target_archE906ELNS1_3gpuE6ELNS1_3repE0EEENS1_30default_config_static_selectorELNS0_4arch9wavefront6targetE0EEEvS10_
	.globl	_ZN7rocprim17ROCPRIM_400000_NS6detail17trampoline_kernelINS0_14default_configENS1_21merge_config_selectorINS0_5tupleIJyyEEENS0_10empty_typeEEEZNS1_10merge_implIS3_NS0_12zip_iteratorINS5_IJN6thrust23THRUST_200600_302600_NS6detail15normal_iteratorINSC_10device_ptrIKyEEEESI_EEEEESK_NSA_INS5_IJNSE_INSF_IyEEEESM_EEEEEPS7_SP_SP_NSC_11hip_rocprim7__merge17predicate_wrapperIyyNSC_7greaterImEEEEEE10hipError_tPvRmT0_T1_T2_T3_T4_T5_mmT6_P12ihipStream_tbEUlT_E0_NS1_11comp_targetILNS1_3genE2ELNS1_11target_archE906ELNS1_3gpuE6ELNS1_3repE0EEENS1_30default_config_static_selectorELNS0_4arch9wavefront6targetE0EEEvS10_
	.p2align	8
	.type	_ZN7rocprim17ROCPRIM_400000_NS6detail17trampoline_kernelINS0_14default_configENS1_21merge_config_selectorINS0_5tupleIJyyEEENS0_10empty_typeEEEZNS1_10merge_implIS3_NS0_12zip_iteratorINS5_IJN6thrust23THRUST_200600_302600_NS6detail15normal_iteratorINSC_10device_ptrIKyEEEESI_EEEEESK_NSA_INS5_IJNSE_INSF_IyEEEESM_EEEEEPS7_SP_SP_NSC_11hip_rocprim7__merge17predicate_wrapperIyyNSC_7greaterImEEEEEE10hipError_tPvRmT0_T1_T2_T3_T4_T5_mmT6_P12ihipStream_tbEUlT_E0_NS1_11comp_targetILNS1_3genE2ELNS1_11target_archE906ELNS1_3gpuE6ELNS1_3repE0EEENS1_30default_config_static_selectorELNS0_4arch9wavefront6targetE0EEEvS10_,@function
_ZN7rocprim17ROCPRIM_400000_NS6detail17trampoline_kernelINS0_14default_configENS1_21merge_config_selectorINS0_5tupleIJyyEEENS0_10empty_typeEEEZNS1_10merge_implIS3_NS0_12zip_iteratorINS5_IJN6thrust23THRUST_200600_302600_NS6detail15normal_iteratorINSC_10device_ptrIKyEEEESI_EEEEESK_NSA_INS5_IJNSE_INSF_IyEEEESM_EEEEEPS7_SP_SP_NSC_11hip_rocprim7__merge17predicate_wrapperIyyNSC_7greaterImEEEEEE10hipError_tPvRmT0_T1_T2_T3_T4_T5_mmT6_P12ihipStream_tbEUlT_E0_NS1_11comp_targetILNS1_3genE2ELNS1_11target_archE906ELNS1_3gpuE6ELNS1_3repE0EEENS1_30default_config_static_selectorELNS0_4arch9wavefront6targetE0EEEvS10_: ; @_ZN7rocprim17ROCPRIM_400000_NS6detail17trampoline_kernelINS0_14default_configENS1_21merge_config_selectorINS0_5tupleIJyyEEENS0_10empty_typeEEEZNS1_10merge_implIS3_NS0_12zip_iteratorINS5_IJN6thrust23THRUST_200600_302600_NS6detail15normal_iteratorINSC_10device_ptrIKyEEEESI_EEEEESK_NSA_INS5_IJNSE_INSF_IyEEEESM_EEEEEPS7_SP_SP_NSC_11hip_rocprim7__merge17predicate_wrapperIyyNSC_7greaterImEEEEEE10hipError_tPvRmT0_T1_T2_T3_T4_T5_mmT6_P12ihipStream_tbEUlT_E0_NS1_11comp_targetILNS1_3genE2ELNS1_11target_archE906ELNS1_3gpuE6ELNS1_3repE0EEENS1_30default_config_static_selectorELNS0_4arch9wavefront6targetE0EEEvS10_
; %bb.0:
	.section	.rodata,"a",@progbits
	.p2align	6, 0x0
	.amdhsa_kernel _ZN7rocprim17ROCPRIM_400000_NS6detail17trampoline_kernelINS0_14default_configENS1_21merge_config_selectorINS0_5tupleIJyyEEENS0_10empty_typeEEEZNS1_10merge_implIS3_NS0_12zip_iteratorINS5_IJN6thrust23THRUST_200600_302600_NS6detail15normal_iteratorINSC_10device_ptrIKyEEEESI_EEEEESK_NSA_INS5_IJNSE_INSF_IyEEEESM_EEEEEPS7_SP_SP_NSC_11hip_rocprim7__merge17predicate_wrapperIyyNSC_7greaterImEEEEEE10hipError_tPvRmT0_T1_T2_T3_T4_T5_mmT6_P12ihipStream_tbEUlT_E0_NS1_11comp_targetILNS1_3genE2ELNS1_11target_archE906ELNS1_3gpuE6ELNS1_3repE0EEENS1_30default_config_static_selectorELNS0_4arch9wavefront6targetE0EEEvS10_
		.amdhsa_group_segment_fixed_size 0
		.amdhsa_private_segment_fixed_size 0
		.amdhsa_kernarg_size 112
		.amdhsa_user_sgpr_count 2
		.amdhsa_user_sgpr_dispatch_ptr 0
		.amdhsa_user_sgpr_queue_ptr 0
		.amdhsa_user_sgpr_kernarg_segment_ptr 1
		.amdhsa_user_sgpr_dispatch_id 0
		.amdhsa_user_sgpr_kernarg_preload_length 0
		.amdhsa_user_sgpr_kernarg_preload_offset 0
		.amdhsa_user_sgpr_private_segment_size 0
		.amdhsa_wavefront_size32 1
		.amdhsa_uses_dynamic_stack 0
		.amdhsa_enable_private_segment 0
		.amdhsa_system_sgpr_workgroup_id_x 1
		.amdhsa_system_sgpr_workgroup_id_y 0
		.amdhsa_system_sgpr_workgroup_id_z 0
		.amdhsa_system_sgpr_workgroup_info 0
		.amdhsa_system_vgpr_workitem_id 0
		.amdhsa_next_free_vgpr 1
		.amdhsa_next_free_sgpr 1
		.amdhsa_named_barrier_count 0
		.amdhsa_reserve_vcc 0
		.amdhsa_float_round_mode_32 0
		.amdhsa_float_round_mode_16_64 0
		.amdhsa_float_denorm_mode_32 3
		.amdhsa_float_denorm_mode_16_64 3
		.amdhsa_fp16_overflow 0
		.amdhsa_memory_ordered 1
		.amdhsa_forward_progress 1
		.amdhsa_inst_pref_size 0
		.amdhsa_round_robin_scheduling 0
		.amdhsa_exception_fp_ieee_invalid_op 0
		.amdhsa_exception_fp_denorm_src 0
		.amdhsa_exception_fp_ieee_div_zero 0
		.amdhsa_exception_fp_ieee_overflow 0
		.amdhsa_exception_fp_ieee_underflow 0
		.amdhsa_exception_fp_ieee_inexact 0
		.amdhsa_exception_int_div_zero 0
	.end_amdhsa_kernel
	.section	.text._ZN7rocprim17ROCPRIM_400000_NS6detail17trampoline_kernelINS0_14default_configENS1_21merge_config_selectorINS0_5tupleIJyyEEENS0_10empty_typeEEEZNS1_10merge_implIS3_NS0_12zip_iteratorINS5_IJN6thrust23THRUST_200600_302600_NS6detail15normal_iteratorINSC_10device_ptrIKyEEEESI_EEEEESK_NSA_INS5_IJNSE_INSF_IyEEEESM_EEEEEPS7_SP_SP_NSC_11hip_rocprim7__merge17predicate_wrapperIyyNSC_7greaterImEEEEEE10hipError_tPvRmT0_T1_T2_T3_T4_T5_mmT6_P12ihipStream_tbEUlT_E0_NS1_11comp_targetILNS1_3genE2ELNS1_11target_archE906ELNS1_3gpuE6ELNS1_3repE0EEENS1_30default_config_static_selectorELNS0_4arch9wavefront6targetE0EEEvS10_,"axG",@progbits,_ZN7rocprim17ROCPRIM_400000_NS6detail17trampoline_kernelINS0_14default_configENS1_21merge_config_selectorINS0_5tupleIJyyEEENS0_10empty_typeEEEZNS1_10merge_implIS3_NS0_12zip_iteratorINS5_IJN6thrust23THRUST_200600_302600_NS6detail15normal_iteratorINSC_10device_ptrIKyEEEESI_EEEEESK_NSA_INS5_IJNSE_INSF_IyEEEESM_EEEEEPS7_SP_SP_NSC_11hip_rocprim7__merge17predicate_wrapperIyyNSC_7greaterImEEEEEE10hipError_tPvRmT0_T1_T2_T3_T4_T5_mmT6_P12ihipStream_tbEUlT_E0_NS1_11comp_targetILNS1_3genE2ELNS1_11target_archE906ELNS1_3gpuE6ELNS1_3repE0EEENS1_30default_config_static_selectorELNS0_4arch9wavefront6targetE0EEEvS10_,comdat
.Lfunc_end366:
	.size	_ZN7rocprim17ROCPRIM_400000_NS6detail17trampoline_kernelINS0_14default_configENS1_21merge_config_selectorINS0_5tupleIJyyEEENS0_10empty_typeEEEZNS1_10merge_implIS3_NS0_12zip_iteratorINS5_IJN6thrust23THRUST_200600_302600_NS6detail15normal_iteratorINSC_10device_ptrIKyEEEESI_EEEEESK_NSA_INS5_IJNSE_INSF_IyEEEESM_EEEEEPS7_SP_SP_NSC_11hip_rocprim7__merge17predicate_wrapperIyyNSC_7greaterImEEEEEE10hipError_tPvRmT0_T1_T2_T3_T4_T5_mmT6_P12ihipStream_tbEUlT_E0_NS1_11comp_targetILNS1_3genE2ELNS1_11target_archE906ELNS1_3gpuE6ELNS1_3repE0EEENS1_30default_config_static_selectorELNS0_4arch9wavefront6targetE0EEEvS10_, .Lfunc_end366-_ZN7rocprim17ROCPRIM_400000_NS6detail17trampoline_kernelINS0_14default_configENS1_21merge_config_selectorINS0_5tupleIJyyEEENS0_10empty_typeEEEZNS1_10merge_implIS3_NS0_12zip_iteratorINS5_IJN6thrust23THRUST_200600_302600_NS6detail15normal_iteratorINSC_10device_ptrIKyEEEESI_EEEEESK_NSA_INS5_IJNSE_INSF_IyEEEESM_EEEEEPS7_SP_SP_NSC_11hip_rocprim7__merge17predicate_wrapperIyyNSC_7greaterImEEEEEE10hipError_tPvRmT0_T1_T2_T3_T4_T5_mmT6_P12ihipStream_tbEUlT_E0_NS1_11comp_targetILNS1_3genE2ELNS1_11target_archE906ELNS1_3gpuE6ELNS1_3repE0EEENS1_30default_config_static_selectorELNS0_4arch9wavefront6targetE0EEEvS10_
                                        ; -- End function
	.set _ZN7rocprim17ROCPRIM_400000_NS6detail17trampoline_kernelINS0_14default_configENS1_21merge_config_selectorINS0_5tupleIJyyEEENS0_10empty_typeEEEZNS1_10merge_implIS3_NS0_12zip_iteratorINS5_IJN6thrust23THRUST_200600_302600_NS6detail15normal_iteratorINSC_10device_ptrIKyEEEESI_EEEEESK_NSA_INS5_IJNSE_INSF_IyEEEESM_EEEEEPS7_SP_SP_NSC_11hip_rocprim7__merge17predicate_wrapperIyyNSC_7greaterImEEEEEE10hipError_tPvRmT0_T1_T2_T3_T4_T5_mmT6_P12ihipStream_tbEUlT_E0_NS1_11comp_targetILNS1_3genE2ELNS1_11target_archE906ELNS1_3gpuE6ELNS1_3repE0EEENS1_30default_config_static_selectorELNS0_4arch9wavefront6targetE0EEEvS10_.num_vgpr, 0
	.set _ZN7rocprim17ROCPRIM_400000_NS6detail17trampoline_kernelINS0_14default_configENS1_21merge_config_selectorINS0_5tupleIJyyEEENS0_10empty_typeEEEZNS1_10merge_implIS3_NS0_12zip_iteratorINS5_IJN6thrust23THRUST_200600_302600_NS6detail15normal_iteratorINSC_10device_ptrIKyEEEESI_EEEEESK_NSA_INS5_IJNSE_INSF_IyEEEESM_EEEEEPS7_SP_SP_NSC_11hip_rocprim7__merge17predicate_wrapperIyyNSC_7greaterImEEEEEE10hipError_tPvRmT0_T1_T2_T3_T4_T5_mmT6_P12ihipStream_tbEUlT_E0_NS1_11comp_targetILNS1_3genE2ELNS1_11target_archE906ELNS1_3gpuE6ELNS1_3repE0EEENS1_30default_config_static_selectorELNS0_4arch9wavefront6targetE0EEEvS10_.num_agpr, 0
	.set _ZN7rocprim17ROCPRIM_400000_NS6detail17trampoline_kernelINS0_14default_configENS1_21merge_config_selectorINS0_5tupleIJyyEEENS0_10empty_typeEEEZNS1_10merge_implIS3_NS0_12zip_iteratorINS5_IJN6thrust23THRUST_200600_302600_NS6detail15normal_iteratorINSC_10device_ptrIKyEEEESI_EEEEESK_NSA_INS5_IJNSE_INSF_IyEEEESM_EEEEEPS7_SP_SP_NSC_11hip_rocprim7__merge17predicate_wrapperIyyNSC_7greaterImEEEEEE10hipError_tPvRmT0_T1_T2_T3_T4_T5_mmT6_P12ihipStream_tbEUlT_E0_NS1_11comp_targetILNS1_3genE2ELNS1_11target_archE906ELNS1_3gpuE6ELNS1_3repE0EEENS1_30default_config_static_selectorELNS0_4arch9wavefront6targetE0EEEvS10_.numbered_sgpr, 0
	.set _ZN7rocprim17ROCPRIM_400000_NS6detail17trampoline_kernelINS0_14default_configENS1_21merge_config_selectorINS0_5tupleIJyyEEENS0_10empty_typeEEEZNS1_10merge_implIS3_NS0_12zip_iteratorINS5_IJN6thrust23THRUST_200600_302600_NS6detail15normal_iteratorINSC_10device_ptrIKyEEEESI_EEEEESK_NSA_INS5_IJNSE_INSF_IyEEEESM_EEEEEPS7_SP_SP_NSC_11hip_rocprim7__merge17predicate_wrapperIyyNSC_7greaterImEEEEEE10hipError_tPvRmT0_T1_T2_T3_T4_T5_mmT6_P12ihipStream_tbEUlT_E0_NS1_11comp_targetILNS1_3genE2ELNS1_11target_archE906ELNS1_3gpuE6ELNS1_3repE0EEENS1_30default_config_static_selectorELNS0_4arch9wavefront6targetE0EEEvS10_.num_named_barrier, 0
	.set _ZN7rocprim17ROCPRIM_400000_NS6detail17trampoline_kernelINS0_14default_configENS1_21merge_config_selectorINS0_5tupleIJyyEEENS0_10empty_typeEEEZNS1_10merge_implIS3_NS0_12zip_iteratorINS5_IJN6thrust23THRUST_200600_302600_NS6detail15normal_iteratorINSC_10device_ptrIKyEEEESI_EEEEESK_NSA_INS5_IJNSE_INSF_IyEEEESM_EEEEEPS7_SP_SP_NSC_11hip_rocprim7__merge17predicate_wrapperIyyNSC_7greaterImEEEEEE10hipError_tPvRmT0_T1_T2_T3_T4_T5_mmT6_P12ihipStream_tbEUlT_E0_NS1_11comp_targetILNS1_3genE2ELNS1_11target_archE906ELNS1_3gpuE6ELNS1_3repE0EEENS1_30default_config_static_selectorELNS0_4arch9wavefront6targetE0EEEvS10_.private_seg_size, 0
	.set _ZN7rocprim17ROCPRIM_400000_NS6detail17trampoline_kernelINS0_14default_configENS1_21merge_config_selectorINS0_5tupleIJyyEEENS0_10empty_typeEEEZNS1_10merge_implIS3_NS0_12zip_iteratorINS5_IJN6thrust23THRUST_200600_302600_NS6detail15normal_iteratorINSC_10device_ptrIKyEEEESI_EEEEESK_NSA_INS5_IJNSE_INSF_IyEEEESM_EEEEEPS7_SP_SP_NSC_11hip_rocprim7__merge17predicate_wrapperIyyNSC_7greaterImEEEEEE10hipError_tPvRmT0_T1_T2_T3_T4_T5_mmT6_P12ihipStream_tbEUlT_E0_NS1_11comp_targetILNS1_3genE2ELNS1_11target_archE906ELNS1_3gpuE6ELNS1_3repE0EEENS1_30default_config_static_selectorELNS0_4arch9wavefront6targetE0EEEvS10_.uses_vcc, 0
	.set _ZN7rocprim17ROCPRIM_400000_NS6detail17trampoline_kernelINS0_14default_configENS1_21merge_config_selectorINS0_5tupleIJyyEEENS0_10empty_typeEEEZNS1_10merge_implIS3_NS0_12zip_iteratorINS5_IJN6thrust23THRUST_200600_302600_NS6detail15normal_iteratorINSC_10device_ptrIKyEEEESI_EEEEESK_NSA_INS5_IJNSE_INSF_IyEEEESM_EEEEEPS7_SP_SP_NSC_11hip_rocprim7__merge17predicate_wrapperIyyNSC_7greaterImEEEEEE10hipError_tPvRmT0_T1_T2_T3_T4_T5_mmT6_P12ihipStream_tbEUlT_E0_NS1_11comp_targetILNS1_3genE2ELNS1_11target_archE906ELNS1_3gpuE6ELNS1_3repE0EEENS1_30default_config_static_selectorELNS0_4arch9wavefront6targetE0EEEvS10_.uses_flat_scratch, 0
	.set _ZN7rocprim17ROCPRIM_400000_NS6detail17trampoline_kernelINS0_14default_configENS1_21merge_config_selectorINS0_5tupleIJyyEEENS0_10empty_typeEEEZNS1_10merge_implIS3_NS0_12zip_iteratorINS5_IJN6thrust23THRUST_200600_302600_NS6detail15normal_iteratorINSC_10device_ptrIKyEEEESI_EEEEESK_NSA_INS5_IJNSE_INSF_IyEEEESM_EEEEEPS7_SP_SP_NSC_11hip_rocprim7__merge17predicate_wrapperIyyNSC_7greaterImEEEEEE10hipError_tPvRmT0_T1_T2_T3_T4_T5_mmT6_P12ihipStream_tbEUlT_E0_NS1_11comp_targetILNS1_3genE2ELNS1_11target_archE906ELNS1_3gpuE6ELNS1_3repE0EEENS1_30default_config_static_selectorELNS0_4arch9wavefront6targetE0EEEvS10_.has_dyn_sized_stack, 0
	.set _ZN7rocprim17ROCPRIM_400000_NS6detail17trampoline_kernelINS0_14default_configENS1_21merge_config_selectorINS0_5tupleIJyyEEENS0_10empty_typeEEEZNS1_10merge_implIS3_NS0_12zip_iteratorINS5_IJN6thrust23THRUST_200600_302600_NS6detail15normal_iteratorINSC_10device_ptrIKyEEEESI_EEEEESK_NSA_INS5_IJNSE_INSF_IyEEEESM_EEEEEPS7_SP_SP_NSC_11hip_rocprim7__merge17predicate_wrapperIyyNSC_7greaterImEEEEEE10hipError_tPvRmT0_T1_T2_T3_T4_T5_mmT6_P12ihipStream_tbEUlT_E0_NS1_11comp_targetILNS1_3genE2ELNS1_11target_archE906ELNS1_3gpuE6ELNS1_3repE0EEENS1_30default_config_static_selectorELNS0_4arch9wavefront6targetE0EEEvS10_.has_recursion, 0
	.set _ZN7rocprim17ROCPRIM_400000_NS6detail17trampoline_kernelINS0_14default_configENS1_21merge_config_selectorINS0_5tupleIJyyEEENS0_10empty_typeEEEZNS1_10merge_implIS3_NS0_12zip_iteratorINS5_IJN6thrust23THRUST_200600_302600_NS6detail15normal_iteratorINSC_10device_ptrIKyEEEESI_EEEEESK_NSA_INS5_IJNSE_INSF_IyEEEESM_EEEEEPS7_SP_SP_NSC_11hip_rocprim7__merge17predicate_wrapperIyyNSC_7greaterImEEEEEE10hipError_tPvRmT0_T1_T2_T3_T4_T5_mmT6_P12ihipStream_tbEUlT_E0_NS1_11comp_targetILNS1_3genE2ELNS1_11target_archE906ELNS1_3gpuE6ELNS1_3repE0EEENS1_30default_config_static_selectorELNS0_4arch9wavefront6targetE0EEEvS10_.has_indirect_call, 0
	.section	.AMDGPU.csdata,"",@progbits
; Kernel info:
; codeLenInByte = 0
; TotalNumSgprs: 0
; NumVgprs: 0
; ScratchSize: 0
; MemoryBound: 0
; FloatMode: 240
; IeeeMode: 1
; LDSByteSize: 0 bytes/workgroup (compile time only)
; SGPRBlocks: 0
; VGPRBlocks: 0
; NumSGPRsForWavesPerEU: 1
; NumVGPRsForWavesPerEU: 1
; NamedBarCnt: 0
; Occupancy: 16
; WaveLimiterHint : 0
; COMPUTE_PGM_RSRC2:SCRATCH_EN: 0
; COMPUTE_PGM_RSRC2:USER_SGPR: 2
; COMPUTE_PGM_RSRC2:TRAP_HANDLER: 0
; COMPUTE_PGM_RSRC2:TGID_X_EN: 1
; COMPUTE_PGM_RSRC2:TGID_Y_EN: 0
; COMPUTE_PGM_RSRC2:TGID_Z_EN: 0
; COMPUTE_PGM_RSRC2:TIDIG_COMP_CNT: 0
	.section	.text._ZN7rocprim17ROCPRIM_400000_NS6detail17trampoline_kernelINS0_14default_configENS1_21merge_config_selectorINS0_5tupleIJyyEEENS0_10empty_typeEEEZNS1_10merge_implIS3_NS0_12zip_iteratorINS5_IJN6thrust23THRUST_200600_302600_NS6detail15normal_iteratorINSC_10device_ptrIKyEEEESI_EEEEESK_NSA_INS5_IJNSE_INSF_IyEEEESM_EEEEEPS7_SP_SP_NSC_11hip_rocprim7__merge17predicate_wrapperIyyNSC_7greaterImEEEEEE10hipError_tPvRmT0_T1_T2_T3_T4_T5_mmT6_P12ihipStream_tbEUlT_E0_NS1_11comp_targetILNS1_3genE10ELNS1_11target_archE1201ELNS1_3gpuE5ELNS1_3repE0EEENS1_30default_config_static_selectorELNS0_4arch9wavefront6targetE0EEEvS10_,"axG",@progbits,_ZN7rocprim17ROCPRIM_400000_NS6detail17trampoline_kernelINS0_14default_configENS1_21merge_config_selectorINS0_5tupleIJyyEEENS0_10empty_typeEEEZNS1_10merge_implIS3_NS0_12zip_iteratorINS5_IJN6thrust23THRUST_200600_302600_NS6detail15normal_iteratorINSC_10device_ptrIKyEEEESI_EEEEESK_NSA_INS5_IJNSE_INSF_IyEEEESM_EEEEEPS7_SP_SP_NSC_11hip_rocprim7__merge17predicate_wrapperIyyNSC_7greaterImEEEEEE10hipError_tPvRmT0_T1_T2_T3_T4_T5_mmT6_P12ihipStream_tbEUlT_E0_NS1_11comp_targetILNS1_3genE10ELNS1_11target_archE1201ELNS1_3gpuE5ELNS1_3repE0EEENS1_30default_config_static_selectorELNS0_4arch9wavefront6targetE0EEEvS10_,comdat
	.protected	_ZN7rocprim17ROCPRIM_400000_NS6detail17trampoline_kernelINS0_14default_configENS1_21merge_config_selectorINS0_5tupleIJyyEEENS0_10empty_typeEEEZNS1_10merge_implIS3_NS0_12zip_iteratorINS5_IJN6thrust23THRUST_200600_302600_NS6detail15normal_iteratorINSC_10device_ptrIKyEEEESI_EEEEESK_NSA_INS5_IJNSE_INSF_IyEEEESM_EEEEEPS7_SP_SP_NSC_11hip_rocprim7__merge17predicate_wrapperIyyNSC_7greaterImEEEEEE10hipError_tPvRmT0_T1_T2_T3_T4_T5_mmT6_P12ihipStream_tbEUlT_E0_NS1_11comp_targetILNS1_3genE10ELNS1_11target_archE1201ELNS1_3gpuE5ELNS1_3repE0EEENS1_30default_config_static_selectorELNS0_4arch9wavefront6targetE0EEEvS10_ ; -- Begin function _ZN7rocprim17ROCPRIM_400000_NS6detail17trampoline_kernelINS0_14default_configENS1_21merge_config_selectorINS0_5tupleIJyyEEENS0_10empty_typeEEEZNS1_10merge_implIS3_NS0_12zip_iteratorINS5_IJN6thrust23THRUST_200600_302600_NS6detail15normal_iteratorINSC_10device_ptrIKyEEEESI_EEEEESK_NSA_INS5_IJNSE_INSF_IyEEEESM_EEEEEPS7_SP_SP_NSC_11hip_rocprim7__merge17predicate_wrapperIyyNSC_7greaterImEEEEEE10hipError_tPvRmT0_T1_T2_T3_T4_T5_mmT6_P12ihipStream_tbEUlT_E0_NS1_11comp_targetILNS1_3genE10ELNS1_11target_archE1201ELNS1_3gpuE5ELNS1_3repE0EEENS1_30default_config_static_selectorELNS0_4arch9wavefront6targetE0EEEvS10_
	.globl	_ZN7rocprim17ROCPRIM_400000_NS6detail17trampoline_kernelINS0_14default_configENS1_21merge_config_selectorINS0_5tupleIJyyEEENS0_10empty_typeEEEZNS1_10merge_implIS3_NS0_12zip_iteratorINS5_IJN6thrust23THRUST_200600_302600_NS6detail15normal_iteratorINSC_10device_ptrIKyEEEESI_EEEEESK_NSA_INS5_IJNSE_INSF_IyEEEESM_EEEEEPS7_SP_SP_NSC_11hip_rocprim7__merge17predicate_wrapperIyyNSC_7greaterImEEEEEE10hipError_tPvRmT0_T1_T2_T3_T4_T5_mmT6_P12ihipStream_tbEUlT_E0_NS1_11comp_targetILNS1_3genE10ELNS1_11target_archE1201ELNS1_3gpuE5ELNS1_3repE0EEENS1_30default_config_static_selectorELNS0_4arch9wavefront6targetE0EEEvS10_
	.p2align	8
	.type	_ZN7rocprim17ROCPRIM_400000_NS6detail17trampoline_kernelINS0_14default_configENS1_21merge_config_selectorINS0_5tupleIJyyEEENS0_10empty_typeEEEZNS1_10merge_implIS3_NS0_12zip_iteratorINS5_IJN6thrust23THRUST_200600_302600_NS6detail15normal_iteratorINSC_10device_ptrIKyEEEESI_EEEEESK_NSA_INS5_IJNSE_INSF_IyEEEESM_EEEEEPS7_SP_SP_NSC_11hip_rocprim7__merge17predicate_wrapperIyyNSC_7greaterImEEEEEE10hipError_tPvRmT0_T1_T2_T3_T4_T5_mmT6_P12ihipStream_tbEUlT_E0_NS1_11comp_targetILNS1_3genE10ELNS1_11target_archE1201ELNS1_3gpuE5ELNS1_3repE0EEENS1_30default_config_static_selectorELNS0_4arch9wavefront6targetE0EEEvS10_,@function
_ZN7rocprim17ROCPRIM_400000_NS6detail17trampoline_kernelINS0_14default_configENS1_21merge_config_selectorINS0_5tupleIJyyEEENS0_10empty_typeEEEZNS1_10merge_implIS3_NS0_12zip_iteratorINS5_IJN6thrust23THRUST_200600_302600_NS6detail15normal_iteratorINSC_10device_ptrIKyEEEESI_EEEEESK_NSA_INS5_IJNSE_INSF_IyEEEESM_EEEEEPS7_SP_SP_NSC_11hip_rocprim7__merge17predicate_wrapperIyyNSC_7greaterImEEEEEE10hipError_tPvRmT0_T1_T2_T3_T4_T5_mmT6_P12ihipStream_tbEUlT_E0_NS1_11comp_targetILNS1_3genE10ELNS1_11target_archE1201ELNS1_3gpuE5ELNS1_3repE0EEENS1_30default_config_static_selectorELNS0_4arch9wavefront6targetE0EEEvS10_: ; @_ZN7rocprim17ROCPRIM_400000_NS6detail17trampoline_kernelINS0_14default_configENS1_21merge_config_selectorINS0_5tupleIJyyEEENS0_10empty_typeEEEZNS1_10merge_implIS3_NS0_12zip_iteratorINS5_IJN6thrust23THRUST_200600_302600_NS6detail15normal_iteratorINSC_10device_ptrIKyEEEESI_EEEEESK_NSA_INS5_IJNSE_INSF_IyEEEESM_EEEEEPS7_SP_SP_NSC_11hip_rocprim7__merge17predicate_wrapperIyyNSC_7greaterImEEEEEE10hipError_tPvRmT0_T1_T2_T3_T4_T5_mmT6_P12ihipStream_tbEUlT_E0_NS1_11comp_targetILNS1_3genE10ELNS1_11target_archE1201ELNS1_3gpuE5ELNS1_3repE0EEENS1_30default_config_static_selectorELNS0_4arch9wavefront6targetE0EEEvS10_
; %bb.0:
	.section	.rodata,"a",@progbits
	.p2align	6, 0x0
	.amdhsa_kernel _ZN7rocprim17ROCPRIM_400000_NS6detail17trampoline_kernelINS0_14default_configENS1_21merge_config_selectorINS0_5tupleIJyyEEENS0_10empty_typeEEEZNS1_10merge_implIS3_NS0_12zip_iteratorINS5_IJN6thrust23THRUST_200600_302600_NS6detail15normal_iteratorINSC_10device_ptrIKyEEEESI_EEEEESK_NSA_INS5_IJNSE_INSF_IyEEEESM_EEEEEPS7_SP_SP_NSC_11hip_rocprim7__merge17predicate_wrapperIyyNSC_7greaterImEEEEEE10hipError_tPvRmT0_T1_T2_T3_T4_T5_mmT6_P12ihipStream_tbEUlT_E0_NS1_11comp_targetILNS1_3genE10ELNS1_11target_archE1201ELNS1_3gpuE5ELNS1_3repE0EEENS1_30default_config_static_selectorELNS0_4arch9wavefront6targetE0EEEvS10_
		.amdhsa_group_segment_fixed_size 0
		.amdhsa_private_segment_fixed_size 0
		.amdhsa_kernarg_size 112
		.amdhsa_user_sgpr_count 2
		.amdhsa_user_sgpr_dispatch_ptr 0
		.amdhsa_user_sgpr_queue_ptr 0
		.amdhsa_user_sgpr_kernarg_segment_ptr 1
		.amdhsa_user_sgpr_dispatch_id 0
		.amdhsa_user_sgpr_kernarg_preload_length 0
		.amdhsa_user_sgpr_kernarg_preload_offset 0
		.amdhsa_user_sgpr_private_segment_size 0
		.amdhsa_wavefront_size32 1
		.amdhsa_uses_dynamic_stack 0
		.amdhsa_enable_private_segment 0
		.amdhsa_system_sgpr_workgroup_id_x 1
		.amdhsa_system_sgpr_workgroup_id_y 0
		.amdhsa_system_sgpr_workgroup_id_z 0
		.amdhsa_system_sgpr_workgroup_info 0
		.amdhsa_system_vgpr_workitem_id 0
		.amdhsa_next_free_vgpr 1
		.amdhsa_next_free_sgpr 1
		.amdhsa_named_barrier_count 0
		.amdhsa_reserve_vcc 0
		.amdhsa_float_round_mode_32 0
		.amdhsa_float_round_mode_16_64 0
		.amdhsa_float_denorm_mode_32 3
		.amdhsa_float_denorm_mode_16_64 3
		.amdhsa_fp16_overflow 0
		.amdhsa_memory_ordered 1
		.amdhsa_forward_progress 1
		.amdhsa_inst_pref_size 0
		.amdhsa_round_robin_scheduling 0
		.amdhsa_exception_fp_ieee_invalid_op 0
		.amdhsa_exception_fp_denorm_src 0
		.amdhsa_exception_fp_ieee_div_zero 0
		.amdhsa_exception_fp_ieee_overflow 0
		.amdhsa_exception_fp_ieee_underflow 0
		.amdhsa_exception_fp_ieee_inexact 0
		.amdhsa_exception_int_div_zero 0
	.end_amdhsa_kernel
	.section	.text._ZN7rocprim17ROCPRIM_400000_NS6detail17trampoline_kernelINS0_14default_configENS1_21merge_config_selectorINS0_5tupleIJyyEEENS0_10empty_typeEEEZNS1_10merge_implIS3_NS0_12zip_iteratorINS5_IJN6thrust23THRUST_200600_302600_NS6detail15normal_iteratorINSC_10device_ptrIKyEEEESI_EEEEESK_NSA_INS5_IJNSE_INSF_IyEEEESM_EEEEEPS7_SP_SP_NSC_11hip_rocprim7__merge17predicate_wrapperIyyNSC_7greaterImEEEEEE10hipError_tPvRmT0_T1_T2_T3_T4_T5_mmT6_P12ihipStream_tbEUlT_E0_NS1_11comp_targetILNS1_3genE10ELNS1_11target_archE1201ELNS1_3gpuE5ELNS1_3repE0EEENS1_30default_config_static_selectorELNS0_4arch9wavefront6targetE0EEEvS10_,"axG",@progbits,_ZN7rocprim17ROCPRIM_400000_NS6detail17trampoline_kernelINS0_14default_configENS1_21merge_config_selectorINS0_5tupleIJyyEEENS0_10empty_typeEEEZNS1_10merge_implIS3_NS0_12zip_iteratorINS5_IJN6thrust23THRUST_200600_302600_NS6detail15normal_iteratorINSC_10device_ptrIKyEEEESI_EEEEESK_NSA_INS5_IJNSE_INSF_IyEEEESM_EEEEEPS7_SP_SP_NSC_11hip_rocprim7__merge17predicate_wrapperIyyNSC_7greaterImEEEEEE10hipError_tPvRmT0_T1_T2_T3_T4_T5_mmT6_P12ihipStream_tbEUlT_E0_NS1_11comp_targetILNS1_3genE10ELNS1_11target_archE1201ELNS1_3gpuE5ELNS1_3repE0EEENS1_30default_config_static_selectorELNS0_4arch9wavefront6targetE0EEEvS10_,comdat
.Lfunc_end367:
	.size	_ZN7rocprim17ROCPRIM_400000_NS6detail17trampoline_kernelINS0_14default_configENS1_21merge_config_selectorINS0_5tupleIJyyEEENS0_10empty_typeEEEZNS1_10merge_implIS3_NS0_12zip_iteratorINS5_IJN6thrust23THRUST_200600_302600_NS6detail15normal_iteratorINSC_10device_ptrIKyEEEESI_EEEEESK_NSA_INS5_IJNSE_INSF_IyEEEESM_EEEEEPS7_SP_SP_NSC_11hip_rocprim7__merge17predicate_wrapperIyyNSC_7greaterImEEEEEE10hipError_tPvRmT0_T1_T2_T3_T4_T5_mmT6_P12ihipStream_tbEUlT_E0_NS1_11comp_targetILNS1_3genE10ELNS1_11target_archE1201ELNS1_3gpuE5ELNS1_3repE0EEENS1_30default_config_static_selectorELNS0_4arch9wavefront6targetE0EEEvS10_, .Lfunc_end367-_ZN7rocprim17ROCPRIM_400000_NS6detail17trampoline_kernelINS0_14default_configENS1_21merge_config_selectorINS0_5tupleIJyyEEENS0_10empty_typeEEEZNS1_10merge_implIS3_NS0_12zip_iteratorINS5_IJN6thrust23THRUST_200600_302600_NS6detail15normal_iteratorINSC_10device_ptrIKyEEEESI_EEEEESK_NSA_INS5_IJNSE_INSF_IyEEEESM_EEEEEPS7_SP_SP_NSC_11hip_rocprim7__merge17predicate_wrapperIyyNSC_7greaterImEEEEEE10hipError_tPvRmT0_T1_T2_T3_T4_T5_mmT6_P12ihipStream_tbEUlT_E0_NS1_11comp_targetILNS1_3genE10ELNS1_11target_archE1201ELNS1_3gpuE5ELNS1_3repE0EEENS1_30default_config_static_selectorELNS0_4arch9wavefront6targetE0EEEvS10_
                                        ; -- End function
	.set _ZN7rocprim17ROCPRIM_400000_NS6detail17trampoline_kernelINS0_14default_configENS1_21merge_config_selectorINS0_5tupleIJyyEEENS0_10empty_typeEEEZNS1_10merge_implIS3_NS0_12zip_iteratorINS5_IJN6thrust23THRUST_200600_302600_NS6detail15normal_iteratorINSC_10device_ptrIKyEEEESI_EEEEESK_NSA_INS5_IJNSE_INSF_IyEEEESM_EEEEEPS7_SP_SP_NSC_11hip_rocprim7__merge17predicate_wrapperIyyNSC_7greaterImEEEEEE10hipError_tPvRmT0_T1_T2_T3_T4_T5_mmT6_P12ihipStream_tbEUlT_E0_NS1_11comp_targetILNS1_3genE10ELNS1_11target_archE1201ELNS1_3gpuE5ELNS1_3repE0EEENS1_30default_config_static_selectorELNS0_4arch9wavefront6targetE0EEEvS10_.num_vgpr, 0
	.set _ZN7rocprim17ROCPRIM_400000_NS6detail17trampoline_kernelINS0_14default_configENS1_21merge_config_selectorINS0_5tupleIJyyEEENS0_10empty_typeEEEZNS1_10merge_implIS3_NS0_12zip_iteratorINS5_IJN6thrust23THRUST_200600_302600_NS6detail15normal_iteratorINSC_10device_ptrIKyEEEESI_EEEEESK_NSA_INS5_IJNSE_INSF_IyEEEESM_EEEEEPS7_SP_SP_NSC_11hip_rocprim7__merge17predicate_wrapperIyyNSC_7greaterImEEEEEE10hipError_tPvRmT0_T1_T2_T3_T4_T5_mmT6_P12ihipStream_tbEUlT_E0_NS1_11comp_targetILNS1_3genE10ELNS1_11target_archE1201ELNS1_3gpuE5ELNS1_3repE0EEENS1_30default_config_static_selectorELNS0_4arch9wavefront6targetE0EEEvS10_.num_agpr, 0
	.set _ZN7rocprim17ROCPRIM_400000_NS6detail17trampoline_kernelINS0_14default_configENS1_21merge_config_selectorINS0_5tupleIJyyEEENS0_10empty_typeEEEZNS1_10merge_implIS3_NS0_12zip_iteratorINS5_IJN6thrust23THRUST_200600_302600_NS6detail15normal_iteratorINSC_10device_ptrIKyEEEESI_EEEEESK_NSA_INS5_IJNSE_INSF_IyEEEESM_EEEEEPS7_SP_SP_NSC_11hip_rocprim7__merge17predicate_wrapperIyyNSC_7greaterImEEEEEE10hipError_tPvRmT0_T1_T2_T3_T4_T5_mmT6_P12ihipStream_tbEUlT_E0_NS1_11comp_targetILNS1_3genE10ELNS1_11target_archE1201ELNS1_3gpuE5ELNS1_3repE0EEENS1_30default_config_static_selectorELNS0_4arch9wavefront6targetE0EEEvS10_.numbered_sgpr, 0
	.set _ZN7rocprim17ROCPRIM_400000_NS6detail17trampoline_kernelINS0_14default_configENS1_21merge_config_selectorINS0_5tupleIJyyEEENS0_10empty_typeEEEZNS1_10merge_implIS3_NS0_12zip_iteratorINS5_IJN6thrust23THRUST_200600_302600_NS6detail15normal_iteratorINSC_10device_ptrIKyEEEESI_EEEEESK_NSA_INS5_IJNSE_INSF_IyEEEESM_EEEEEPS7_SP_SP_NSC_11hip_rocprim7__merge17predicate_wrapperIyyNSC_7greaterImEEEEEE10hipError_tPvRmT0_T1_T2_T3_T4_T5_mmT6_P12ihipStream_tbEUlT_E0_NS1_11comp_targetILNS1_3genE10ELNS1_11target_archE1201ELNS1_3gpuE5ELNS1_3repE0EEENS1_30default_config_static_selectorELNS0_4arch9wavefront6targetE0EEEvS10_.num_named_barrier, 0
	.set _ZN7rocprim17ROCPRIM_400000_NS6detail17trampoline_kernelINS0_14default_configENS1_21merge_config_selectorINS0_5tupleIJyyEEENS0_10empty_typeEEEZNS1_10merge_implIS3_NS0_12zip_iteratorINS5_IJN6thrust23THRUST_200600_302600_NS6detail15normal_iteratorINSC_10device_ptrIKyEEEESI_EEEEESK_NSA_INS5_IJNSE_INSF_IyEEEESM_EEEEEPS7_SP_SP_NSC_11hip_rocprim7__merge17predicate_wrapperIyyNSC_7greaterImEEEEEE10hipError_tPvRmT0_T1_T2_T3_T4_T5_mmT6_P12ihipStream_tbEUlT_E0_NS1_11comp_targetILNS1_3genE10ELNS1_11target_archE1201ELNS1_3gpuE5ELNS1_3repE0EEENS1_30default_config_static_selectorELNS0_4arch9wavefront6targetE0EEEvS10_.private_seg_size, 0
	.set _ZN7rocprim17ROCPRIM_400000_NS6detail17trampoline_kernelINS0_14default_configENS1_21merge_config_selectorINS0_5tupleIJyyEEENS0_10empty_typeEEEZNS1_10merge_implIS3_NS0_12zip_iteratorINS5_IJN6thrust23THRUST_200600_302600_NS6detail15normal_iteratorINSC_10device_ptrIKyEEEESI_EEEEESK_NSA_INS5_IJNSE_INSF_IyEEEESM_EEEEEPS7_SP_SP_NSC_11hip_rocprim7__merge17predicate_wrapperIyyNSC_7greaterImEEEEEE10hipError_tPvRmT0_T1_T2_T3_T4_T5_mmT6_P12ihipStream_tbEUlT_E0_NS1_11comp_targetILNS1_3genE10ELNS1_11target_archE1201ELNS1_3gpuE5ELNS1_3repE0EEENS1_30default_config_static_selectorELNS0_4arch9wavefront6targetE0EEEvS10_.uses_vcc, 0
	.set _ZN7rocprim17ROCPRIM_400000_NS6detail17trampoline_kernelINS0_14default_configENS1_21merge_config_selectorINS0_5tupleIJyyEEENS0_10empty_typeEEEZNS1_10merge_implIS3_NS0_12zip_iteratorINS5_IJN6thrust23THRUST_200600_302600_NS6detail15normal_iteratorINSC_10device_ptrIKyEEEESI_EEEEESK_NSA_INS5_IJNSE_INSF_IyEEEESM_EEEEEPS7_SP_SP_NSC_11hip_rocprim7__merge17predicate_wrapperIyyNSC_7greaterImEEEEEE10hipError_tPvRmT0_T1_T2_T3_T4_T5_mmT6_P12ihipStream_tbEUlT_E0_NS1_11comp_targetILNS1_3genE10ELNS1_11target_archE1201ELNS1_3gpuE5ELNS1_3repE0EEENS1_30default_config_static_selectorELNS0_4arch9wavefront6targetE0EEEvS10_.uses_flat_scratch, 0
	.set _ZN7rocprim17ROCPRIM_400000_NS6detail17trampoline_kernelINS0_14default_configENS1_21merge_config_selectorINS0_5tupleIJyyEEENS0_10empty_typeEEEZNS1_10merge_implIS3_NS0_12zip_iteratorINS5_IJN6thrust23THRUST_200600_302600_NS6detail15normal_iteratorINSC_10device_ptrIKyEEEESI_EEEEESK_NSA_INS5_IJNSE_INSF_IyEEEESM_EEEEEPS7_SP_SP_NSC_11hip_rocprim7__merge17predicate_wrapperIyyNSC_7greaterImEEEEEE10hipError_tPvRmT0_T1_T2_T3_T4_T5_mmT6_P12ihipStream_tbEUlT_E0_NS1_11comp_targetILNS1_3genE10ELNS1_11target_archE1201ELNS1_3gpuE5ELNS1_3repE0EEENS1_30default_config_static_selectorELNS0_4arch9wavefront6targetE0EEEvS10_.has_dyn_sized_stack, 0
	.set _ZN7rocprim17ROCPRIM_400000_NS6detail17trampoline_kernelINS0_14default_configENS1_21merge_config_selectorINS0_5tupleIJyyEEENS0_10empty_typeEEEZNS1_10merge_implIS3_NS0_12zip_iteratorINS5_IJN6thrust23THRUST_200600_302600_NS6detail15normal_iteratorINSC_10device_ptrIKyEEEESI_EEEEESK_NSA_INS5_IJNSE_INSF_IyEEEESM_EEEEEPS7_SP_SP_NSC_11hip_rocprim7__merge17predicate_wrapperIyyNSC_7greaterImEEEEEE10hipError_tPvRmT0_T1_T2_T3_T4_T5_mmT6_P12ihipStream_tbEUlT_E0_NS1_11comp_targetILNS1_3genE10ELNS1_11target_archE1201ELNS1_3gpuE5ELNS1_3repE0EEENS1_30default_config_static_selectorELNS0_4arch9wavefront6targetE0EEEvS10_.has_recursion, 0
	.set _ZN7rocprim17ROCPRIM_400000_NS6detail17trampoline_kernelINS0_14default_configENS1_21merge_config_selectorINS0_5tupleIJyyEEENS0_10empty_typeEEEZNS1_10merge_implIS3_NS0_12zip_iteratorINS5_IJN6thrust23THRUST_200600_302600_NS6detail15normal_iteratorINSC_10device_ptrIKyEEEESI_EEEEESK_NSA_INS5_IJNSE_INSF_IyEEEESM_EEEEEPS7_SP_SP_NSC_11hip_rocprim7__merge17predicate_wrapperIyyNSC_7greaterImEEEEEE10hipError_tPvRmT0_T1_T2_T3_T4_T5_mmT6_P12ihipStream_tbEUlT_E0_NS1_11comp_targetILNS1_3genE10ELNS1_11target_archE1201ELNS1_3gpuE5ELNS1_3repE0EEENS1_30default_config_static_selectorELNS0_4arch9wavefront6targetE0EEEvS10_.has_indirect_call, 0
	.section	.AMDGPU.csdata,"",@progbits
; Kernel info:
; codeLenInByte = 0
; TotalNumSgprs: 0
; NumVgprs: 0
; ScratchSize: 0
; MemoryBound: 0
; FloatMode: 240
; IeeeMode: 1
; LDSByteSize: 0 bytes/workgroup (compile time only)
; SGPRBlocks: 0
; VGPRBlocks: 0
; NumSGPRsForWavesPerEU: 1
; NumVGPRsForWavesPerEU: 1
; NamedBarCnt: 0
; Occupancy: 16
; WaveLimiterHint : 0
; COMPUTE_PGM_RSRC2:SCRATCH_EN: 0
; COMPUTE_PGM_RSRC2:USER_SGPR: 2
; COMPUTE_PGM_RSRC2:TRAP_HANDLER: 0
; COMPUTE_PGM_RSRC2:TGID_X_EN: 1
; COMPUTE_PGM_RSRC2:TGID_Y_EN: 0
; COMPUTE_PGM_RSRC2:TGID_Z_EN: 0
; COMPUTE_PGM_RSRC2:TIDIG_COMP_CNT: 0
	.section	.text._ZN7rocprim17ROCPRIM_400000_NS6detail17trampoline_kernelINS0_14default_configENS1_21merge_config_selectorINS0_5tupleIJyyEEENS0_10empty_typeEEEZNS1_10merge_implIS3_NS0_12zip_iteratorINS5_IJN6thrust23THRUST_200600_302600_NS6detail15normal_iteratorINSC_10device_ptrIKyEEEESI_EEEEESK_NSA_INS5_IJNSE_INSF_IyEEEESM_EEEEEPS7_SP_SP_NSC_11hip_rocprim7__merge17predicate_wrapperIyyNSC_7greaterImEEEEEE10hipError_tPvRmT0_T1_T2_T3_T4_T5_mmT6_P12ihipStream_tbEUlT_E0_NS1_11comp_targetILNS1_3genE10ELNS1_11target_archE1200ELNS1_3gpuE4ELNS1_3repE0EEENS1_30default_config_static_selectorELNS0_4arch9wavefront6targetE0EEEvS10_,"axG",@progbits,_ZN7rocprim17ROCPRIM_400000_NS6detail17trampoline_kernelINS0_14default_configENS1_21merge_config_selectorINS0_5tupleIJyyEEENS0_10empty_typeEEEZNS1_10merge_implIS3_NS0_12zip_iteratorINS5_IJN6thrust23THRUST_200600_302600_NS6detail15normal_iteratorINSC_10device_ptrIKyEEEESI_EEEEESK_NSA_INS5_IJNSE_INSF_IyEEEESM_EEEEEPS7_SP_SP_NSC_11hip_rocprim7__merge17predicate_wrapperIyyNSC_7greaterImEEEEEE10hipError_tPvRmT0_T1_T2_T3_T4_T5_mmT6_P12ihipStream_tbEUlT_E0_NS1_11comp_targetILNS1_3genE10ELNS1_11target_archE1200ELNS1_3gpuE4ELNS1_3repE0EEENS1_30default_config_static_selectorELNS0_4arch9wavefront6targetE0EEEvS10_,comdat
	.protected	_ZN7rocprim17ROCPRIM_400000_NS6detail17trampoline_kernelINS0_14default_configENS1_21merge_config_selectorINS0_5tupleIJyyEEENS0_10empty_typeEEEZNS1_10merge_implIS3_NS0_12zip_iteratorINS5_IJN6thrust23THRUST_200600_302600_NS6detail15normal_iteratorINSC_10device_ptrIKyEEEESI_EEEEESK_NSA_INS5_IJNSE_INSF_IyEEEESM_EEEEEPS7_SP_SP_NSC_11hip_rocprim7__merge17predicate_wrapperIyyNSC_7greaterImEEEEEE10hipError_tPvRmT0_T1_T2_T3_T4_T5_mmT6_P12ihipStream_tbEUlT_E0_NS1_11comp_targetILNS1_3genE10ELNS1_11target_archE1200ELNS1_3gpuE4ELNS1_3repE0EEENS1_30default_config_static_selectorELNS0_4arch9wavefront6targetE0EEEvS10_ ; -- Begin function _ZN7rocprim17ROCPRIM_400000_NS6detail17trampoline_kernelINS0_14default_configENS1_21merge_config_selectorINS0_5tupleIJyyEEENS0_10empty_typeEEEZNS1_10merge_implIS3_NS0_12zip_iteratorINS5_IJN6thrust23THRUST_200600_302600_NS6detail15normal_iteratorINSC_10device_ptrIKyEEEESI_EEEEESK_NSA_INS5_IJNSE_INSF_IyEEEESM_EEEEEPS7_SP_SP_NSC_11hip_rocprim7__merge17predicate_wrapperIyyNSC_7greaterImEEEEEE10hipError_tPvRmT0_T1_T2_T3_T4_T5_mmT6_P12ihipStream_tbEUlT_E0_NS1_11comp_targetILNS1_3genE10ELNS1_11target_archE1200ELNS1_3gpuE4ELNS1_3repE0EEENS1_30default_config_static_selectorELNS0_4arch9wavefront6targetE0EEEvS10_
	.globl	_ZN7rocprim17ROCPRIM_400000_NS6detail17trampoline_kernelINS0_14default_configENS1_21merge_config_selectorINS0_5tupleIJyyEEENS0_10empty_typeEEEZNS1_10merge_implIS3_NS0_12zip_iteratorINS5_IJN6thrust23THRUST_200600_302600_NS6detail15normal_iteratorINSC_10device_ptrIKyEEEESI_EEEEESK_NSA_INS5_IJNSE_INSF_IyEEEESM_EEEEEPS7_SP_SP_NSC_11hip_rocprim7__merge17predicate_wrapperIyyNSC_7greaterImEEEEEE10hipError_tPvRmT0_T1_T2_T3_T4_T5_mmT6_P12ihipStream_tbEUlT_E0_NS1_11comp_targetILNS1_3genE10ELNS1_11target_archE1200ELNS1_3gpuE4ELNS1_3repE0EEENS1_30default_config_static_selectorELNS0_4arch9wavefront6targetE0EEEvS10_
	.p2align	8
	.type	_ZN7rocprim17ROCPRIM_400000_NS6detail17trampoline_kernelINS0_14default_configENS1_21merge_config_selectorINS0_5tupleIJyyEEENS0_10empty_typeEEEZNS1_10merge_implIS3_NS0_12zip_iteratorINS5_IJN6thrust23THRUST_200600_302600_NS6detail15normal_iteratorINSC_10device_ptrIKyEEEESI_EEEEESK_NSA_INS5_IJNSE_INSF_IyEEEESM_EEEEEPS7_SP_SP_NSC_11hip_rocprim7__merge17predicate_wrapperIyyNSC_7greaterImEEEEEE10hipError_tPvRmT0_T1_T2_T3_T4_T5_mmT6_P12ihipStream_tbEUlT_E0_NS1_11comp_targetILNS1_3genE10ELNS1_11target_archE1200ELNS1_3gpuE4ELNS1_3repE0EEENS1_30default_config_static_selectorELNS0_4arch9wavefront6targetE0EEEvS10_,@function
_ZN7rocprim17ROCPRIM_400000_NS6detail17trampoline_kernelINS0_14default_configENS1_21merge_config_selectorINS0_5tupleIJyyEEENS0_10empty_typeEEEZNS1_10merge_implIS3_NS0_12zip_iteratorINS5_IJN6thrust23THRUST_200600_302600_NS6detail15normal_iteratorINSC_10device_ptrIKyEEEESI_EEEEESK_NSA_INS5_IJNSE_INSF_IyEEEESM_EEEEEPS7_SP_SP_NSC_11hip_rocprim7__merge17predicate_wrapperIyyNSC_7greaterImEEEEEE10hipError_tPvRmT0_T1_T2_T3_T4_T5_mmT6_P12ihipStream_tbEUlT_E0_NS1_11comp_targetILNS1_3genE10ELNS1_11target_archE1200ELNS1_3gpuE4ELNS1_3repE0EEENS1_30default_config_static_selectorELNS0_4arch9wavefront6targetE0EEEvS10_: ; @_ZN7rocprim17ROCPRIM_400000_NS6detail17trampoline_kernelINS0_14default_configENS1_21merge_config_selectorINS0_5tupleIJyyEEENS0_10empty_typeEEEZNS1_10merge_implIS3_NS0_12zip_iteratorINS5_IJN6thrust23THRUST_200600_302600_NS6detail15normal_iteratorINSC_10device_ptrIKyEEEESI_EEEEESK_NSA_INS5_IJNSE_INSF_IyEEEESM_EEEEEPS7_SP_SP_NSC_11hip_rocprim7__merge17predicate_wrapperIyyNSC_7greaterImEEEEEE10hipError_tPvRmT0_T1_T2_T3_T4_T5_mmT6_P12ihipStream_tbEUlT_E0_NS1_11comp_targetILNS1_3genE10ELNS1_11target_archE1200ELNS1_3gpuE4ELNS1_3repE0EEENS1_30default_config_static_selectorELNS0_4arch9wavefront6targetE0EEEvS10_
; %bb.0:
	.section	.rodata,"a",@progbits
	.p2align	6, 0x0
	.amdhsa_kernel _ZN7rocprim17ROCPRIM_400000_NS6detail17trampoline_kernelINS0_14default_configENS1_21merge_config_selectorINS0_5tupleIJyyEEENS0_10empty_typeEEEZNS1_10merge_implIS3_NS0_12zip_iteratorINS5_IJN6thrust23THRUST_200600_302600_NS6detail15normal_iteratorINSC_10device_ptrIKyEEEESI_EEEEESK_NSA_INS5_IJNSE_INSF_IyEEEESM_EEEEEPS7_SP_SP_NSC_11hip_rocprim7__merge17predicate_wrapperIyyNSC_7greaterImEEEEEE10hipError_tPvRmT0_T1_T2_T3_T4_T5_mmT6_P12ihipStream_tbEUlT_E0_NS1_11comp_targetILNS1_3genE10ELNS1_11target_archE1200ELNS1_3gpuE4ELNS1_3repE0EEENS1_30default_config_static_selectorELNS0_4arch9wavefront6targetE0EEEvS10_
		.amdhsa_group_segment_fixed_size 0
		.amdhsa_private_segment_fixed_size 0
		.amdhsa_kernarg_size 112
		.amdhsa_user_sgpr_count 2
		.amdhsa_user_sgpr_dispatch_ptr 0
		.amdhsa_user_sgpr_queue_ptr 0
		.amdhsa_user_sgpr_kernarg_segment_ptr 1
		.amdhsa_user_sgpr_dispatch_id 0
		.amdhsa_user_sgpr_kernarg_preload_length 0
		.amdhsa_user_sgpr_kernarg_preload_offset 0
		.amdhsa_user_sgpr_private_segment_size 0
		.amdhsa_wavefront_size32 1
		.amdhsa_uses_dynamic_stack 0
		.amdhsa_enable_private_segment 0
		.amdhsa_system_sgpr_workgroup_id_x 1
		.amdhsa_system_sgpr_workgroup_id_y 0
		.amdhsa_system_sgpr_workgroup_id_z 0
		.amdhsa_system_sgpr_workgroup_info 0
		.amdhsa_system_vgpr_workitem_id 0
		.amdhsa_next_free_vgpr 1
		.amdhsa_next_free_sgpr 1
		.amdhsa_named_barrier_count 0
		.amdhsa_reserve_vcc 0
		.amdhsa_float_round_mode_32 0
		.amdhsa_float_round_mode_16_64 0
		.amdhsa_float_denorm_mode_32 3
		.amdhsa_float_denorm_mode_16_64 3
		.amdhsa_fp16_overflow 0
		.amdhsa_memory_ordered 1
		.amdhsa_forward_progress 1
		.amdhsa_inst_pref_size 0
		.amdhsa_round_robin_scheduling 0
		.amdhsa_exception_fp_ieee_invalid_op 0
		.amdhsa_exception_fp_denorm_src 0
		.amdhsa_exception_fp_ieee_div_zero 0
		.amdhsa_exception_fp_ieee_overflow 0
		.amdhsa_exception_fp_ieee_underflow 0
		.amdhsa_exception_fp_ieee_inexact 0
		.amdhsa_exception_int_div_zero 0
	.end_amdhsa_kernel
	.section	.text._ZN7rocprim17ROCPRIM_400000_NS6detail17trampoline_kernelINS0_14default_configENS1_21merge_config_selectorINS0_5tupleIJyyEEENS0_10empty_typeEEEZNS1_10merge_implIS3_NS0_12zip_iteratorINS5_IJN6thrust23THRUST_200600_302600_NS6detail15normal_iteratorINSC_10device_ptrIKyEEEESI_EEEEESK_NSA_INS5_IJNSE_INSF_IyEEEESM_EEEEEPS7_SP_SP_NSC_11hip_rocprim7__merge17predicate_wrapperIyyNSC_7greaterImEEEEEE10hipError_tPvRmT0_T1_T2_T3_T4_T5_mmT6_P12ihipStream_tbEUlT_E0_NS1_11comp_targetILNS1_3genE10ELNS1_11target_archE1200ELNS1_3gpuE4ELNS1_3repE0EEENS1_30default_config_static_selectorELNS0_4arch9wavefront6targetE0EEEvS10_,"axG",@progbits,_ZN7rocprim17ROCPRIM_400000_NS6detail17trampoline_kernelINS0_14default_configENS1_21merge_config_selectorINS0_5tupleIJyyEEENS0_10empty_typeEEEZNS1_10merge_implIS3_NS0_12zip_iteratorINS5_IJN6thrust23THRUST_200600_302600_NS6detail15normal_iteratorINSC_10device_ptrIKyEEEESI_EEEEESK_NSA_INS5_IJNSE_INSF_IyEEEESM_EEEEEPS7_SP_SP_NSC_11hip_rocprim7__merge17predicate_wrapperIyyNSC_7greaterImEEEEEE10hipError_tPvRmT0_T1_T2_T3_T4_T5_mmT6_P12ihipStream_tbEUlT_E0_NS1_11comp_targetILNS1_3genE10ELNS1_11target_archE1200ELNS1_3gpuE4ELNS1_3repE0EEENS1_30default_config_static_selectorELNS0_4arch9wavefront6targetE0EEEvS10_,comdat
.Lfunc_end368:
	.size	_ZN7rocprim17ROCPRIM_400000_NS6detail17trampoline_kernelINS0_14default_configENS1_21merge_config_selectorINS0_5tupleIJyyEEENS0_10empty_typeEEEZNS1_10merge_implIS3_NS0_12zip_iteratorINS5_IJN6thrust23THRUST_200600_302600_NS6detail15normal_iteratorINSC_10device_ptrIKyEEEESI_EEEEESK_NSA_INS5_IJNSE_INSF_IyEEEESM_EEEEEPS7_SP_SP_NSC_11hip_rocprim7__merge17predicate_wrapperIyyNSC_7greaterImEEEEEE10hipError_tPvRmT0_T1_T2_T3_T4_T5_mmT6_P12ihipStream_tbEUlT_E0_NS1_11comp_targetILNS1_3genE10ELNS1_11target_archE1200ELNS1_3gpuE4ELNS1_3repE0EEENS1_30default_config_static_selectorELNS0_4arch9wavefront6targetE0EEEvS10_, .Lfunc_end368-_ZN7rocprim17ROCPRIM_400000_NS6detail17trampoline_kernelINS0_14default_configENS1_21merge_config_selectorINS0_5tupleIJyyEEENS0_10empty_typeEEEZNS1_10merge_implIS3_NS0_12zip_iteratorINS5_IJN6thrust23THRUST_200600_302600_NS6detail15normal_iteratorINSC_10device_ptrIKyEEEESI_EEEEESK_NSA_INS5_IJNSE_INSF_IyEEEESM_EEEEEPS7_SP_SP_NSC_11hip_rocprim7__merge17predicate_wrapperIyyNSC_7greaterImEEEEEE10hipError_tPvRmT0_T1_T2_T3_T4_T5_mmT6_P12ihipStream_tbEUlT_E0_NS1_11comp_targetILNS1_3genE10ELNS1_11target_archE1200ELNS1_3gpuE4ELNS1_3repE0EEENS1_30default_config_static_selectorELNS0_4arch9wavefront6targetE0EEEvS10_
                                        ; -- End function
	.set _ZN7rocprim17ROCPRIM_400000_NS6detail17trampoline_kernelINS0_14default_configENS1_21merge_config_selectorINS0_5tupleIJyyEEENS0_10empty_typeEEEZNS1_10merge_implIS3_NS0_12zip_iteratorINS5_IJN6thrust23THRUST_200600_302600_NS6detail15normal_iteratorINSC_10device_ptrIKyEEEESI_EEEEESK_NSA_INS5_IJNSE_INSF_IyEEEESM_EEEEEPS7_SP_SP_NSC_11hip_rocprim7__merge17predicate_wrapperIyyNSC_7greaterImEEEEEE10hipError_tPvRmT0_T1_T2_T3_T4_T5_mmT6_P12ihipStream_tbEUlT_E0_NS1_11comp_targetILNS1_3genE10ELNS1_11target_archE1200ELNS1_3gpuE4ELNS1_3repE0EEENS1_30default_config_static_selectorELNS0_4arch9wavefront6targetE0EEEvS10_.num_vgpr, 0
	.set _ZN7rocprim17ROCPRIM_400000_NS6detail17trampoline_kernelINS0_14default_configENS1_21merge_config_selectorINS0_5tupleIJyyEEENS0_10empty_typeEEEZNS1_10merge_implIS3_NS0_12zip_iteratorINS5_IJN6thrust23THRUST_200600_302600_NS6detail15normal_iteratorINSC_10device_ptrIKyEEEESI_EEEEESK_NSA_INS5_IJNSE_INSF_IyEEEESM_EEEEEPS7_SP_SP_NSC_11hip_rocprim7__merge17predicate_wrapperIyyNSC_7greaterImEEEEEE10hipError_tPvRmT0_T1_T2_T3_T4_T5_mmT6_P12ihipStream_tbEUlT_E0_NS1_11comp_targetILNS1_3genE10ELNS1_11target_archE1200ELNS1_3gpuE4ELNS1_3repE0EEENS1_30default_config_static_selectorELNS0_4arch9wavefront6targetE0EEEvS10_.num_agpr, 0
	.set _ZN7rocprim17ROCPRIM_400000_NS6detail17trampoline_kernelINS0_14default_configENS1_21merge_config_selectorINS0_5tupleIJyyEEENS0_10empty_typeEEEZNS1_10merge_implIS3_NS0_12zip_iteratorINS5_IJN6thrust23THRUST_200600_302600_NS6detail15normal_iteratorINSC_10device_ptrIKyEEEESI_EEEEESK_NSA_INS5_IJNSE_INSF_IyEEEESM_EEEEEPS7_SP_SP_NSC_11hip_rocprim7__merge17predicate_wrapperIyyNSC_7greaterImEEEEEE10hipError_tPvRmT0_T1_T2_T3_T4_T5_mmT6_P12ihipStream_tbEUlT_E0_NS1_11comp_targetILNS1_3genE10ELNS1_11target_archE1200ELNS1_3gpuE4ELNS1_3repE0EEENS1_30default_config_static_selectorELNS0_4arch9wavefront6targetE0EEEvS10_.numbered_sgpr, 0
	.set _ZN7rocprim17ROCPRIM_400000_NS6detail17trampoline_kernelINS0_14default_configENS1_21merge_config_selectorINS0_5tupleIJyyEEENS0_10empty_typeEEEZNS1_10merge_implIS3_NS0_12zip_iteratorINS5_IJN6thrust23THRUST_200600_302600_NS6detail15normal_iteratorINSC_10device_ptrIKyEEEESI_EEEEESK_NSA_INS5_IJNSE_INSF_IyEEEESM_EEEEEPS7_SP_SP_NSC_11hip_rocprim7__merge17predicate_wrapperIyyNSC_7greaterImEEEEEE10hipError_tPvRmT0_T1_T2_T3_T4_T5_mmT6_P12ihipStream_tbEUlT_E0_NS1_11comp_targetILNS1_3genE10ELNS1_11target_archE1200ELNS1_3gpuE4ELNS1_3repE0EEENS1_30default_config_static_selectorELNS0_4arch9wavefront6targetE0EEEvS10_.num_named_barrier, 0
	.set _ZN7rocprim17ROCPRIM_400000_NS6detail17trampoline_kernelINS0_14default_configENS1_21merge_config_selectorINS0_5tupleIJyyEEENS0_10empty_typeEEEZNS1_10merge_implIS3_NS0_12zip_iteratorINS5_IJN6thrust23THRUST_200600_302600_NS6detail15normal_iteratorINSC_10device_ptrIKyEEEESI_EEEEESK_NSA_INS5_IJNSE_INSF_IyEEEESM_EEEEEPS7_SP_SP_NSC_11hip_rocprim7__merge17predicate_wrapperIyyNSC_7greaterImEEEEEE10hipError_tPvRmT0_T1_T2_T3_T4_T5_mmT6_P12ihipStream_tbEUlT_E0_NS1_11comp_targetILNS1_3genE10ELNS1_11target_archE1200ELNS1_3gpuE4ELNS1_3repE0EEENS1_30default_config_static_selectorELNS0_4arch9wavefront6targetE0EEEvS10_.private_seg_size, 0
	.set _ZN7rocprim17ROCPRIM_400000_NS6detail17trampoline_kernelINS0_14default_configENS1_21merge_config_selectorINS0_5tupleIJyyEEENS0_10empty_typeEEEZNS1_10merge_implIS3_NS0_12zip_iteratorINS5_IJN6thrust23THRUST_200600_302600_NS6detail15normal_iteratorINSC_10device_ptrIKyEEEESI_EEEEESK_NSA_INS5_IJNSE_INSF_IyEEEESM_EEEEEPS7_SP_SP_NSC_11hip_rocprim7__merge17predicate_wrapperIyyNSC_7greaterImEEEEEE10hipError_tPvRmT0_T1_T2_T3_T4_T5_mmT6_P12ihipStream_tbEUlT_E0_NS1_11comp_targetILNS1_3genE10ELNS1_11target_archE1200ELNS1_3gpuE4ELNS1_3repE0EEENS1_30default_config_static_selectorELNS0_4arch9wavefront6targetE0EEEvS10_.uses_vcc, 0
	.set _ZN7rocprim17ROCPRIM_400000_NS6detail17trampoline_kernelINS0_14default_configENS1_21merge_config_selectorINS0_5tupleIJyyEEENS0_10empty_typeEEEZNS1_10merge_implIS3_NS0_12zip_iteratorINS5_IJN6thrust23THRUST_200600_302600_NS6detail15normal_iteratorINSC_10device_ptrIKyEEEESI_EEEEESK_NSA_INS5_IJNSE_INSF_IyEEEESM_EEEEEPS7_SP_SP_NSC_11hip_rocprim7__merge17predicate_wrapperIyyNSC_7greaterImEEEEEE10hipError_tPvRmT0_T1_T2_T3_T4_T5_mmT6_P12ihipStream_tbEUlT_E0_NS1_11comp_targetILNS1_3genE10ELNS1_11target_archE1200ELNS1_3gpuE4ELNS1_3repE0EEENS1_30default_config_static_selectorELNS0_4arch9wavefront6targetE0EEEvS10_.uses_flat_scratch, 0
	.set _ZN7rocprim17ROCPRIM_400000_NS6detail17trampoline_kernelINS0_14default_configENS1_21merge_config_selectorINS0_5tupleIJyyEEENS0_10empty_typeEEEZNS1_10merge_implIS3_NS0_12zip_iteratorINS5_IJN6thrust23THRUST_200600_302600_NS6detail15normal_iteratorINSC_10device_ptrIKyEEEESI_EEEEESK_NSA_INS5_IJNSE_INSF_IyEEEESM_EEEEEPS7_SP_SP_NSC_11hip_rocprim7__merge17predicate_wrapperIyyNSC_7greaterImEEEEEE10hipError_tPvRmT0_T1_T2_T3_T4_T5_mmT6_P12ihipStream_tbEUlT_E0_NS1_11comp_targetILNS1_3genE10ELNS1_11target_archE1200ELNS1_3gpuE4ELNS1_3repE0EEENS1_30default_config_static_selectorELNS0_4arch9wavefront6targetE0EEEvS10_.has_dyn_sized_stack, 0
	.set _ZN7rocprim17ROCPRIM_400000_NS6detail17trampoline_kernelINS0_14default_configENS1_21merge_config_selectorINS0_5tupleIJyyEEENS0_10empty_typeEEEZNS1_10merge_implIS3_NS0_12zip_iteratorINS5_IJN6thrust23THRUST_200600_302600_NS6detail15normal_iteratorINSC_10device_ptrIKyEEEESI_EEEEESK_NSA_INS5_IJNSE_INSF_IyEEEESM_EEEEEPS7_SP_SP_NSC_11hip_rocprim7__merge17predicate_wrapperIyyNSC_7greaterImEEEEEE10hipError_tPvRmT0_T1_T2_T3_T4_T5_mmT6_P12ihipStream_tbEUlT_E0_NS1_11comp_targetILNS1_3genE10ELNS1_11target_archE1200ELNS1_3gpuE4ELNS1_3repE0EEENS1_30default_config_static_selectorELNS0_4arch9wavefront6targetE0EEEvS10_.has_recursion, 0
	.set _ZN7rocprim17ROCPRIM_400000_NS6detail17trampoline_kernelINS0_14default_configENS1_21merge_config_selectorINS0_5tupleIJyyEEENS0_10empty_typeEEEZNS1_10merge_implIS3_NS0_12zip_iteratorINS5_IJN6thrust23THRUST_200600_302600_NS6detail15normal_iteratorINSC_10device_ptrIKyEEEESI_EEEEESK_NSA_INS5_IJNSE_INSF_IyEEEESM_EEEEEPS7_SP_SP_NSC_11hip_rocprim7__merge17predicate_wrapperIyyNSC_7greaterImEEEEEE10hipError_tPvRmT0_T1_T2_T3_T4_T5_mmT6_P12ihipStream_tbEUlT_E0_NS1_11comp_targetILNS1_3genE10ELNS1_11target_archE1200ELNS1_3gpuE4ELNS1_3repE0EEENS1_30default_config_static_selectorELNS0_4arch9wavefront6targetE0EEEvS10_.has_indirect_call, 0
	.section	.AMDGPU.csdata,"",@progbits
; Kernel info:
; codeLenInByte = 0
; TotalNumSgprs: 0
; NumVgprs: 0
; ScratchSize: 0
; MemoryBound: 0
; FloatMode: 240
; IeeeMode: 1
; LDSByteSize: 0 bytes/workgroup (compile time only)
; SGPRBlocks: 0
; VGPRBlocks: 0
; NumSGPRsForWavesPerEU: 1
; NumVGPRsForWavesPerEU: 1
; NamedBarCnt: 0
; Occupancy: 16
; WaveLimiterHint : 0
; COMPUTE_PGM_RSRC2:SCRATCH_EN: 0
; COMPUTE_PGM_RSRC2:USER_SGPR: 2
; COMPUTE_PGM_RSRC2:TRAP_HANDLER: 0
; COMPUTE_PGM_RSRC2:TGID_X_EN: 1
; COMPUTE_PGM_RSRC2:TGID_Y_EN: 0
; COMPUTE_PGM_RSRC2:TGID_Z_EN: 0
; COMPUTE_PGM_RSRC2:TIDIG_COMP_CNT: 0
	.section	.text._ZN7rocprim17ROCPRIM_400000_NS6detail17trampoline_kernelINS0_14default_configENS1_21merge_config_selectorINS0_5tupleIJyyEEENS0_10empty_typeEEEZNS1_10merge_implIS3_NS0_12zip_iteratorINS5_IJN6thrust23THRUST_200600_302600_NS6detail15normal_iteratorINSC_10device_ptrIKyEEEESI_EEEEESK_NSA_INS5_IJNSE_INSF_IyEEEESM_EEEEEPS7_SP_SP_NSC_11hip_rocprim7__merge17predicate_wrapperIyyNSC_7greaterImEEEEEE10hipError_tPvRmT0_T1_T2_T3_T4_T5_mmT6_P12ihipStream_tbEUlT_E0_NS1_11comp_targetILNS1_3genE9ELNS1_11target_archE1100ELNS1_3gpuE3ELNS1_3repE0EEENS1_30default_config_static_selectorELNS0_4arch9wavefront6targetE0EEEvS10_,"axG",@progbits,_ZN7rocprim17ROCPRIM_400000_NS6detail17trampoline_kernelINS0_14default_configENS1_21merge_config_selectorINS0_5tupleIJyyEEENS0_10empty_typeEEEZNS1_10merge_implIS3_NS0_12zip_iteratorINS5_IJN6thrust23THRUST_200600_302600_NS6detail15normal_iteratorINSC_10device_ptrIKyEEEESI_EEEEESK_NSA_INS5_IJNSE_INSF_IyEEEESM_EEEEEPS7_SP_SP_NSC_11hip_rocprim7__merge17predicate_wrapperIyyNSC_7greaterImEEEEEE10hipError_tPvRmT0_T1_T2_T3_T4_T5_mmT6_P12ihipStream_tbEUlT_E0_NS1_11comp_targetILNS1_3genE9ELNS1_11target_archE1100ELNS1_3gpuE3ELNS1_3repE0EEENS1_30default_config_static_selectorELNS0_4arch9wavefront6targetE0EEEvS10_,comdat
	.protected	_ZN7rocprim17ROCPRIM_400000_NS6detail17trampoline_kernelINS0_14default_configENS1_21merge_config_selectorINS0_5tupleIJyyEEENS0_10empty_typeEEEZNS1_10merge_implIS3_NS0_12zip_iteratorINS5_IJN6thrust23THRUST_200600_302600_NS6detail15normal_iteratorINSC_10device_ptrIKyEEEESI_EEEEESK_NSA_INS5_IJNSE_INSF_IyEEEESM_EEEEEPS7_SP_SP_NSC_11hip_rocprim7__merge17predicate_wrapperIyyNSC_7greaterImEEEEEE10hipError_tPvRmT0_T1_T2_T3_T4_T5_mmT6_P12ihipStream_tbEUlT_E0_NS1_11comp_targetILNS1_3genE9ELNS1_11target_archE1100ELNS1_3gpuE3ELNS1_3repE0EEENS1_30default_config_static_selectorELNS0_4arch9wavefront6targetE0EEEvS10_ ; -- Begin function _ZN7rocprim17ROCPRIM_400000_NS6detail17trampoline_kernelINS0_14default_configENS1_21merge_config_selectorINS0_5tupleIJyyEEENS0_10empty_typeEEEZNS1_10merge_implIS3_NS0_12zip_iteratorINS5_IJN6thrust23THRUST_200600_302600_NS6detail15normal_iteratorINSC_10device_ptrIKyEEEESI_EEEEESK_NSA_INS5_IJNSE_INSF_IyEEEESM_EEEEEPS7_SP_SP_NSC_11hip_rocprim7__merge17predicate_wrapperIyyNSC_7greaterImEEEEEE10hipError_tPvRmT0_T1_T2_T3_T4_T5_mmT6_P12ihipStream_tbEUlT_E0_NS1_11comp_targetILNS1_3genE9ELNS1_11target_archE1100ELNS1_3gpuE3ELNS1_3repE0EEENS1_30default_config_static_selectorELNS0_4arch9wavefront6targetE0EEEvS10_
	.globl	_ZN7rocprim17ROCPRIM_400000_NS6detail17trampoline_kernelINS0_14default_configENS1_21merge_config_selectorINS0_5tupleIJyyEEENS0_10empty_typeEEEZNS1_10merge_implIS3_NS0_12zip_iteratorINS5_IJN6thrust23THRUST_200600_302600_NS6detail15normal_iteratorINSC_10device_ptrIKyEEEESI_EEEEESK_NSA_INS5_IJNSE_INSF_IyEEEESM_EEEEEPS7_SP_SP_NSC_11hip_rocprim7__merge17predicate_wrapperIyyNSC_7greaterImEEEEEE10hipError_tPvRmT0_T1_T2_T3_T4_T5_mmT6_P12ihipStream_tbEUlT_E0_NS1_11comp_targetILNS1_3genE9ELNS1_11target_archE1100ELNS1_3gpuE3ELNS1_3repE0EEENS1_30default_config_static_selectorELNS0_4arch9wavefront6targetE0EEEvS10_
	.p2align	8
	.type	_ZN7rocprim17ROCPRIM_400000_NS6detail17trampoline_kernelINS0_14default_configENS1_21merge_config_selectorINS0_5tupleIJyyEEENS0_10empty_typeEEEZNS1_10merge_implIS3_NS0_12zip_iteratorINS5_IJN6thrust23THRUST_200600_302600_NS6detail15normal_iteratorINSC_10device_ptrIKyEEEESI_EEEEESK_NSA_INS5_IJNSE_INSF_IyEEEESM_EEEEEPS7_SP_SP_NSC_11hip_rocprim7__merge17predicate_wrapperIyyNSC_7greaterImEEEEEE10hipError_tPvRmT0_T1_T2_T3_T4_T5_mmT6_P12ihipStream_tbEUlT_E0_NS1_11comp_targetILNS1_3genE9ELNS1_11target_archE1100ELNS1_3gpuE3ELNS1_3repE0EEENS1_30default_config_static_selectorELNS0_4arch9wavefront6targetE0EEEvS10_,@function
_ZN7rocprim17ROCPRIM_400000_NS6detail17trampoline_kernelINS0_14default_configENS1_21merge_config_selectorINS0_5tupleIJyyEEENS0_10empty_typeEEEZNS1_10merge_implIS3_NS0_12zip_iteratorINS5_IJN6thrust23THRUST_200600_302600_NS6detail15normal_iteratorINSC_10device_ptrIKyEEEESI_EEEEESK_NSA_INS5_IJNSE_INSF_IyEEEESM_EEEEEPS7_SP_SP_NSC_11hip_rocprim7__merge17predicate_wrapperIyyNSC_7greaterImEEEEEE10hipError_tPvRmT0_T1_T2_T3_T4_T5_mmT6_P12ihipStream_tbEUlT_E0_NS1_11comp_targetILNS1_3genE9ELNS1_11target_archE1100ELNS1_3gpuE3ELNS1_3repE0EEENS1_30default_config_static_selectorELNS0_4arch9wavefront6targetE0EEEvS10_: ; @_ZN7rocprim17ROCPRIM_400000_NS6detail17trampoline_kernelINS0_14default_configENS1_21merge_config_selectorINS0_5tupleIJyyEEENS0_10empty_typeEEEZNS1_10merge_implIS3_NS0_12zip_iteratorINS5_IJN6thrust23THRUST_200600_302600_NS6detail15normal_iteratorINSC_10device_ptrIKyEEEESI_EEEEESK_NSA_INS5_IJNSE_INSF_IyEEEESM_EEEEEPS7_SP_SP_NSC_11hip_rocprim7__merge17predicate_wrapperIyyNSC_7greaterImEEEEEE10hipError_tPvRmT0_T1_T2_T3_T4_T5_mmT6_P12ihipStream_tbEUlT_E0_NS1_11comp_targetILNS1_3genE9ELNS1_11target_archE1100ELNS1_3gpuE3ELNS1_3repE0EEENS1_30default_config_static_selectorELNS0_4arch9wavefront6targetE0EEEvS10_
; %bb.0:
	.section	.rodata,"a",@progbits
	.p2align	6, 0x0
	.amdhsa_kernel _ZN7rocprim17ROCPRIM_400000_NS6detail17trampoline_kernelINS0_14default_configENS1_21merge_config_selectorINS0_5tupleIJyyEEENS0_10empty_typeEEEZNS1_10merge_implIS3_NS0_12zip_iteratorINS5_IJN6thrust23THRUST_200600_302600_NS6detail15normal_iteratorINSC_10device_ptrIKyEEEESI_EEEEESK_NSA_INS5_IJNSE_INSF_IyEEEESM_EEEEEPS7_SP_SP_NSC_11hip_rocprim7__merge17predicate_wrapperIyyNSC_7greaterImEEEEEE10hipError_tPvRmT0_T1_T2_T3_T4_T5_mmT6_P12ihipStream_tbEUlT_E0_NS1_11comp_targetILNS1_3genE9ELNS1_11target_archE1100ELNS1_3gpuE3ELNS1_3repE0EEENS1_30default_config_static_selectorELNS0_4arch9wavefront6targetE0EEEvS10_
		.amdhsa_group_segment_fixed_size 0
		.amdhsa_private_segment_fixed_size 0
		.amdhsa_kernarg_size 112
		.amdhsa_user_sgpr_count 2
		.amdhsa_user_sgpr_dispatch_ptr 0
		.amdhsa_user_sgpr_queue_ptr 0
		.amdhsa_user_sgpr_kernarg_segment_ptr 1
		.amdhsa_user_sgpr_dispatch_id 0
		.amdhsa_user_sgpr_kernarg_preload_length 0
		.amdhsa_user_sgpr_kernarg_preload_offset 0
		.amdhsa_user_sgpr_private_segment_size 0
		.amdhsa_wavefront_size32 1
		.amdhsa_uses_dynamic_stack 0
		.amdhsa_enable_private_segment 0
		.amdhsa_system_sgpr_workgroup_id_x 1
		.amdhsa_system_sgpr_workgroup_id_y 0
		.amdhsa_system_sgpr_workgroup_id_z 0
		.amdhsa_system_sgpr_workgroup_info 0
		.amdhsa_system_vgpr_workitem_id 0
		.amdhsa_next_free_vgpr 1
		.amdhsa_next_free_sgpr 1
		.amdhsa_named_barrier_count 0
		.amdhsa_reserve_vcc 0
		.amdhsa_float_round_mode_32 0
		.amdhsa_float_round_mode_16_64 0
		.amdhsa_float_denorm_mode_32 3
		.amdhsa_float_denorm_mode_16_64 3
		.amdhsa_fp16_overflow 0
		.amdhsa_memory_ordered 1
		.amdhsa_forward_progress 1
		.amdhsa_inst_pref_size 0
		.amdhsa_round_robin_scheduling 0
		.amdhsa_exception_fp_ieee_invalid_op 0
		.amdhsa_exception_fp_denorm_src 0
		.amdhsa_exception_fp_ieee_div_zero 0
		.amdhsa_exception_fp_ieee_overflow 0
		.amdhsa_exception_fp_ieee_underflow 0
		.amdhsa_exception_fp_ieee_inexact 0
		.amdhsa_exception_int_div_zero 0
	.end_amdhsa_kernel
	.section	.text._ZN7rocprim17ROCPRIM_400000_NS6detail17trampoline_kernelINS0_14default_configENS1_21merge_config_selectorINS0_5tupleIJyyEEENS0_10empty_typeEEEZNS1_10merge_implIS3_NS0_12zip_iteratorINS5_IJN6thrust23THRUST_200600_302600_NS6detail15normal_iteratorINSC_10device_ptrIKyEEEESI_EEEEESK_NSA_INS5_IJNSE_INSF_IyEEEESM_EEEEEPS7_SP_SP_NSC_11hip_rocprim7__merge17predicate_wrapperIyyNSC_7greaterImEEEEEE10hipError_tPvRmT0_T1_T2_T3_T4_T5_mmT6_P12ihipStream_tbEUlT_E0_NS1_11comp_targetILNS1_3genE9ELNS1_11target_archE1100ELNS1_3gpuE3ELNS1_3repE0EEENS1_30default_config_static_selectorELNS0_4arch9wavefront6targetE0EEEvS10_,"axG",@progbits,_ZN7rocprim17ROCPRIM_400000_NS6detail17trampoline_kernelINS0_14default_configENS1_21merge_config_selectorINS0_5tupleIJyyEEENS0_10empty_typeEEEZNS1_10merge_implIS3_NS0_12zip_iteratorINS5_IJN6thrust23THRUST_200600_302600_NS6detail15normal_iteratorINSC_10device_ptrIKyEEEESI_EEEEESK_NSA_INS5_IJNSE_INSF_IyEEEESM_EEEEEPS7_SP_SP_NSC_11hip_rocprim7__merge17predicate_wrapperIyyNSC_7greaterImEEEEEE10hipError_tPvRmT0_T1_T2_T3_T4_T5_mmT6_P12ihipStream_tbEUlT_E0_NS1_11comp_targetILNS1_3genE9ELNS1_11target_archE1100ELNS1_3gpuE3ELNS1_3repE0EEENS1_30default_config_static_selectorELNS0_4arch9wavefront6targetE0EEEvS10_,comdat
.Lfunc_end369:
	.size	_ZN7rocprim17ROCPRIM_400000_NS6detail17trampoline_kernelINS0_14default_configENS1_21merge_config_selectorINS0_5tupleIJyyEEENS0_10empty_typeEEEZNS1_10merge_implIS3_NS0_12zip_iteratorINS5_IJN6thrust23THRUST_200600_302600_NS6detail15normal_iteratorINSC_10device_ptrIKyEEEESI_EEEEESK_NSA_INS5_IJNSE_INSF_IyEEEESM_EEEEEPS7_SP_SP_NSC_11hip_rocprim7__merge17predicate_wrapperIyyNSC_7greaterImEEEEEE10hipError_tPvRmT0_T1_T2_T3_T4_T5_mmT6_P12ihipStream_tbEUlT_E0_NS1_11comp_targetILNS1_3genE9ELNS1_11target_archE1100ELNS1_3gpuE3ELNS1_3repE0EEENS1_30default_config_static_selectorELNS0_4arch9wavefront6targetE0EEEvS10_, .Lfunc_end369-_ZN7rocprim17ROCPRIM_400000_NS6detail17trampoline_kernelINS0_14default_configENS1_21merge_config_selectorINS0_5tupleIJyyEEENS0_10empty_typeEEEZNS1_10merge_implIS3_NS0_12zip_iteratorINS5_IJN6thrust23THRUST_200600_302600_NS6detail15normal_iteratorINSC_10device_ptrIKyEEEESI_EEEEESK_NSA_INS5_IJNSE_INSF_IyEEEESM_EEEEEPS7_SP_SP_NSC_11hip_rocprim7__merge17predicate_wrapperIyyNSC_7greaterImEEEEEE10hipError_tPvRmT0_T1_T2_T3_T4_T5_mmT6_P12ihipStream_tbEUlT_E0_NS1_11comp_targetILNS1_3genE9ELNS1_11target_archE1100ELNS1_3gpuE3ELNS1_3repE0EEENS1_30default_config_static_selectorELNS0_4arch9wavefront6targetE0EEEvS10_
                                        ; -- End function
	.set _ZN7rocprim17ROCPRIM_400000_NS6detail17trampoline_kernelINS0_14default_configENS1_21merge_config_selectorINS0_5tupleIJyyEEENS0_10empty_typeEEEZNS1_10merge_implIS3_NS0_12zip_iteratorINS5_IJN6thrust23THRUST_200600_302600_NS6detail15normal_iteratorINSC_10device_ptrIKyEEEESI_EEEEESK_NSA_INS5_IJNSE_INSF_IyEEEESM_EEEEEPS7_SP_SP_NSC_11hip_rocprim7__merge17predicate_wrapperIyyNSC_7greaterImEEEEEE10hipError_tPvRmT0_T1_T2_T3_T4_T5_mmT6_P12ihipStream_tbEUlT_E0_NS1_11comp_targetILNS1_3genE9ELNS1_11target_archE1100ELNS1_3gpuE3ELNS1_3repE0EEENS1_30default_config_static_selectorELNS0_4arch9wavefront6targetE0EEEvS10_.num_vgpr, 0
	.set _ZN7rocprim17ROCPRIM_400000_NS6detail17trampoline_kernelINS0_14default_configENS1_21merge_config_selectorINS0_5tupleIJyyEEENS0_10empty_typeEEEZNS1_10merge_implIS3_NS0_12zip_iteratorINS5_IJN6thrust23THRUST_200600_302600_NS6detail15normal_iteratorINSC_10device_ptrIKyEEEESI_EEEEESK_NSA_INS5_IJNSE_INSF_IyEEEESM_EEEEEPS7_SP_SP_NSC_11hip_rocprim7__merge17predicate_wrapperIyyNSC_7greaterImEEEEEE10hipError_tPvRmT0_T1_T2_T3_T4_T5_mmT6_P12ihipStream_tbEUlT_E0_NS1_11comp_targetILNS1_3genE9ELNS1_11target_archE1100ELNS1_3gpuE3ELNS1_3repE0EEENS1_30default_config_static_selectorELNS0_4arch9wavefront6targetE0EEEvS10_.num_agpr, 0
	.set _ZN7rocprim17ROCPRIM_400000_NS6detail17trampoline_kernelINS0_14default_configENS1_21merge_config_selectorINS0_5tupleIJyyEEENS0_10empty_typeEEEZNS1_10merge_implIS3_NS0_12zip_iteratorINS5_IJN6thrust23THRUST_200600_302600_NS6detail15normal_iteratorINSC_10device_ptrIKyEEEESI_EEEEESK_NSA_INS5_IJNSE_INSF_IyEEEESM_EEEEEPS7_SP_SP_NSC_11hip_rocprim7__merge17predicate_wrapperIyyNSC_7greaterImEEEEEE10hipError_tPvRmT0_T1_T2_T3_T4_T5_mmT6_P12ihipStream_tbEUlT_E0_NS1_11comp_targetILNS1_3genE9ELNS1_11target_archE1100ELNS1_3gpuE3ELNS1_3repE0EEENS1_30default_config_static_selectorELNS0_4arch9wavefront6targetE0EEEvS10_.numbered_sgpr, 0
	.set _ZN7rocprim17ROCPRIM_400000_NS6detail17trampoline_kernelINS0_14default_configENS1_21merge_config_selectorINS0_5tupleIJyyEEENS0_10empty_typeEEEZNS1_10merge_implIS3_NS0_12zip_iteratorINS5_IJN6thrust23THRUST_200600_302600_NS6detail15normal_iteratorINSC_10device_ptrIKyEEEESI_EEEEESK_NSA_INS5_IJNSE_INSF_IyEEEESM_EEEEEPS7_SP_SP_NSC_11hip_rocprim7__merge17predicate_wrapperIyyNSC_7greaterImEEEEEE10hipError_tPvRmT0_T1_T2_T3_T4_T5_mmT6_P12ihipStream_tbEUlT_E0_NS1_11comp_targetILNS1_3genE9ELNS1_11target_archE1100ELNS1_3gpuE3ELNS1_3repE0EEENS1_30default_config_static_selectorELNS0_4arch9wavefront6targetE0EEEvS10_.num_named_barrier, 0
	.set _ZN7rocprim17ROCPRIM_400000_NS6detail17trampoline_kernelINS0_14default_configENS1_21merge_config_selectorINS0_5tupleIJyyEEENS0_10empty_typeEEEZNS1_10merge_implIS3_NS0_12zip_iteratorINS5_IJN6thrust23THRUST_200600_302600_NS6detail15normal_iteratorINSC_10device_ptrIKyEEEESI_EEEEESK_NSA_INS5_IJNSE_INSF_IyEEEESM_EEEEEPS7_SP_SP_NSC_11hip_rocprim7__merge17predicate_wrapperIyyNSC_7greaterImEEEEEE10hipError_tPvRmT0_T1_T2_T3_T4_T5_mmT6_P12ihipStream_tbEUlT_E0_NS1_11comp_targetILNS1_3genE9ELNS1_11target_archE1100ELNS1_3gpuE3ELNS1_3repE0EEENS1_30default_config_static_selectorELNS0_4arch9wavefront6targetE0EEEvS10_.private_seg_size, 0
	.set _ZN7rocprim17ROCPRIM_400000_NS6detail17trampoline_kernelINS0_14default_configENS1_21merge_config_selectorINS0_5tupleIJyyEEENS0_10empty_typeEEEZNS1_10merge_implIS3_NS0_12zip_iteratorINS5_IJN6thrust23THRUST_200600_302600_NS6detail15normal_iteratorINSC_10device_ptrIKyEEEESI_EEEEESK_NSA_INS5_IJNSE_INSF_IyEEEESM_EEEEEPS7_SP_SP_NSC_11hip_rocprim7__merge17predicate_wrapperIyyNSC_7greaterImEEEEEE10hipError_tPvRmT0_T1_T2_T3_T4_T5_mmT6_P12ihipStream_tbEUlT_E0_NS1_11comp_targetILNS1_3genE9ELNS1_11target_archE1100ELNS1_3gpuE3ELNS1_3repE0EEENS1_30default_config_static_selectorELNS0_4arch9wavefront6targetE0EEEvS10_.uses_vcc, 0
	.set _ZN7rocprim17ROCPRIM_400000_NS6detail17trampoline_kernelINS0_14default_configENS1_21merge_config_selectorINS0_5tupleIJyyEEENS0_10empty_typeEEEZNS1_10merge_implIS3_NS0_12zip_iteratorINS5_IJN6thrust23THRUST_200600_302600_NS6detail15normal_iteratorINSC_10device_ptrIKyEEEESI_EEEEESK_NSA_INS5_IJNSE_INSF_IyEEEESM_EEEEEPS7_SP_SP_NSC_11hip_rocprim7__merge17predicate_wrapperIyyNSC_7greaterImEEEEEE10hipError_tPvRmT0_T1_T2_T3_T4_T5_mmT6_P12ihipStream_tbEUlT_E0_NS1_11comp_targetILNS1_3genE9ELNS1_11target_archE1100ELNS1_3gpuE3ELNS1_3repE0EEENS1_30default_config_static_selectorELNS0_4arch9wavefront6targetE0EEEvS10_.uses_flat_scratch, 0
	.set _ZN7rocprim17ROCPRIM_400000_NS6detail17trampoline_kernelINS0_14default_configENS1_21merge_config_selectorINS0_5tupleIJyyEEENS0_10empty_typeEEEZNS1_10merge_implIS3_NS0_12zip_iteratorINS5_IJN6thrust23THRUST_200600_302600_NS6detail15normal_iteratorINSC_10device_ptrIKyEEEESI_EEEEESK_NSA_INS5_IJNSE_INSF_IyEEEESM_EEEEEPS7_SP_SP_NSC_11hip_rocprim7__merge17predicate_wrapperIyyNSC_7greaterImEEEEEE10hipError_tPvRmT0_T1_T2_T3_T4_T5_mmT6_P12ihipStream_tbEUlT_E0_NS1_11comp_targetILNS1_3genE9ELNS1_11target_archE1100ELNS1_3gpuE3ELNS1_3repE0EEENS1_30default_config_static_selectorELNS0_4arch9wavefront6targetE0EEEvS10_.has_dyn_sized_stack, 0
	.set _ZN7rocprim17ROCPRIM_400000_NS6detail17trampoline_kernelINS0_14default_configENS1_21merge_config_selectorINS0_5tupleIJyyEEENS0_10empty_typeEEEZNS1_10merge_implIS3_NS0_12zip_iteratorINS5_IJN6thrust23THRUST_200600_302600_NS6detail15normal_iteratorINSC_10device_ptrIKyEEEESI_EEEEESK_NSA_INS5_IJNSE_INSF_IyEEEESM_EEEEEPS7_SP_SP_NSC_11hip_rocprim7__merge17predicate_wrapperIyyNSC_7greaterImEEEEEE10hipError_tPvRmT0_T1_T2_T3_T4_T5_mmT6_P12ihipStream_tbEUlT_E0_NS1_11comp_targetILNS1_3genE9ELNS1_11target_archE1100ELNS1_3gpuE3ELNS1_3repE0EEENS1_30default_config_static_selectorELNS0_4arch9wavefront6targetE0EEEvS10_.has_recursion, 0
	.set _ZN7rocprim17ROCPRIM_400000_NS6detail17trampoline_kernelINS0_14default_configENS1_21merge_config_selectorINS0_5tupleIJyyEEENS0_10empty_typeEEEZNS1_10merge_implIS3_NS0_12zip_iteratorINS5_IJN6thrust23THRUST_200600_302600_NS6detail15normal_iteratorINSC_10device_ptrIKyEEEESI_EEEEESK_NSA_INS5_IJNSE_INSF_IyEEEESM_EEEEEPS7_SP_SP_NSC_11hip_rocprim7__merge17predicate_wrapperIyyNSC_7greaterImEEEEEE10hipError_tPvRmT0_T1_T2_T3_T4_T5_mmT6_P12ihipStream_tbEUlT_E0_NS1_11comp_targetILNS1_3genE9ELNS1_11target_archE1100ELNS1_3gpuE3ELNS1_3repE0EEENS1_30default_config_static_selectorELNS0_4arch9wavefront6targetE0EEEvS10_.has_indirect_call, 0
	.section	.AMDGPU.csdata,"",@progbits
; Kernel info:
; codeLenInByte = 0
; TotalNumSgprs: 0
; NumVgprs: 0
; ScratchSize: 0
; MemoryBound: 0
; FloatMode: 240
; IeeeMode: 1
; LDSByteSize: 0 bytes/workgroup (compile time only)
; SGPRBlocks: 0
; VGPRBlocks: 0
; NumSGPRsForWavesPerEU: 1
; NumVGPRsForWavesPerEU: 1
; NamedBarCnt: 0
; Occupancy: 16
; WaveLimiterHint : 0
; COMPUTE_PGM_RSRC2:SCRATCH_EN: 0
; COMPUTE_PGM_RSRC2:USER_SGPR: 2
; COMPUTE_PGM_RSRC2:TRAP_HANDLER: 0
; COMPUTE_PGM_RSRC2:TGID_X_EN: 1
; COMPUTE_PGM_RSRC2:TGID_Y_EN: 0
; COMPUTE_PGM_RSRC2:TGID_Z_EN: 0
; COMPUTE_PGM_RSRC2:TIDIG_COMP_CNT: 0
	.section	.text._ZN7rocprim17ROCPRIM_400000_NS6detail17trampoline_kernelINS0_14default_configENS1_21merge_config_selectorINS0_5tupleIJyyEEENS0_10empty_typeEEEZNS1_10merge_implIS3_NS0_12zip_iteratorINS5_IJN6thrust23THRUST_200600_302600_NS6detail15normal_iteratorINSC_10device_ptrIKyEEEESI_EEEEESK_NSA_INS5_IJNSE_INSF_IyEEEESM_EEEEEPS7_SP_SP_NSC_11hip_rocprim7__merge17predicate_wrapperIyyNSC_7greaterImEEEEEE10hipError_tPvRmT0_T1_T2_T3_T4_T5_mmT6_P12ihipStream_tbEUlT_E0_NS1_11comp_targetILNS1_3genE8ELNS1_11target_archE1030ELNS1_3gpuE2ELNS1_3repE0EEENS1_30default_config_static_selectorELNS0_4arch9wavefront6targetE0EEEvS10_,"axG",@progbits,_ZN7rocprim17ROCPRIM_400000_NS6detail17trampoline_kernelINS0_14default_configENS1_21merge_config_selectorINS0_5tupleIJyyEEENS0_10empty_typeEEEZNS1_10merge_implIS3_NS0_12zip_iteratorINS5_IJN6thrust23THRUST_200600_302600_NS6detail15normal_iteratorINSC_10device_ptrIKyEEEESI_EEEEESK_NSA_INS5_IJNSE_INSF_IyEEEESM_EEEEEPS7_SP_SP_NSC_11hip_rocprim7__merge17predicate_wrapperIyyNSC_7greaterImEEEEEE10hipError_tPvRmT0_T1_T2_T3_T4_T5_mmT6_P12ihipStream_tbEUlT_E0_NS1_11comp_targetILNS1_3genE8ELNS1_11target_archE1030ELNS1_3gpuE2ELNS1_3repE0EEENS1_30default_config_static_selectorELNS0_4arch9wavefront6targetE0EEEvS10_,comdat
	.protected	_ZN7rocprim17ROCPRIM_400000_NS6detail17trampoline_kernelINS0_14default_configENS1_21merge_config_selectorINS0_5tupleIJyyEEENS0_10empty_typeEEEZNS1_10merge_implIS3_NS0_12zip_iteratorINS5_IJN6thrust23THRUST_200600_302600_NS6detail15normal_iteratorINSC_10device_ptrIKyEEEESI_EEEEESK_NSA_INS5_IJNSE_INSF_IyEEEESM_EEEEEPS7_SP_SP_NSC_11hip_rocprim7__merge17predicate_wrapperIyyNSC_7greaterImEEEEEE10hipError_tPvRmT0_T1_T2_T3_T4_T5_mmT6_P12ihipStream_tbEUlT_E0_NS1_11comp_targetILNS1_3genE8ELNS1_11target_archE1030ELNS1_3gpuE2ELNS1_3repE0EEENS1_30default_config_static_selectorELNS0_4arch9wavefront6targetE0EEEvS10_ ; -- Begin function _ZN7rocprim17ROCPRIM_400000_NS6detail17trampoline_kernelINS0_14default_configENS1_21merge_config_selectorINS0_5tupleIJyyEEENS0_10empty_typeEEEZNS1_10merge_implIS3_NS0_12zip_iteratorINS5_IJN6thrust23THRUST_200600_302600_NS6detail15normal_iteratorINSC_10device_ptrIKyEEEESI_EEEEESK_NSA_INS5_IJNSE_INSF_IyEEEESM_EEEEEPS7_SP_SP_NSC_11hip_rocprim7__merge17predicate_wrapperIyyNSC_7greaterImEEEEEE10hipError_tPvRmT0_T1_T2_T3_T4_T5_mmT6_P12ihipStream_tbEUlT_E0_NS1_11comp_targetILNS1_3genE8ELNS1_11target_archE1030ELNS1_3gpuE2ELNS1_3repE0EEENS1_30default_config_static_selectorELNS0_4arch9wavefront6targetE0EEEvS10_
	.globl	_ZN7rocprim17ROCPRIM_400000_NS6detail17trampoline_kernelINS0_14default_configENS1_21merge_config_selectorINS0_5tupleIJyyEEENS0_10empty_typeEEEZNS1_10merge_implIS3_NS0_12zip_iteratorINS5_IJN6thrust23THRUST_200600_302600_NS6detail15normal_iteratorINSC_10device_ptrIKyEEEESI_EEEEESK_NSA_INS5_IJNSE_INSF_IyEEEESM_EEEEEPS7_SP_SP_NSC_11hip_rocprim7__merge17predicate_wrapperIyyNSC_7greaterImEEEEEE10hipError_tPvRmT0_T1_T2_T3_T4_T5_mmT6_P12ihipStream_tbEUlT_E0_NS1_11comp_targetILNS1_3genE8ELNS1_11target_archE1030ELNS1_3gpuE2ELNS1_3repE0EEENS1_30default_config_static_selectorELNS0_4arch9wavefront6targetE0EEEvS10_
	.p2align	8
	.type	_ZN7rocprim17ROCPRIM_400000_NS6detail17trampoline_kernelINS0_14default_configENS1_21merge_config_selectorINS0_5tupleIJyyEEENS0_10empty_typeEEEZNS1_10merge_implIS3_NS0_12zip_iteratorINS5_IJN6thrust23THRUST_200600_302600_NS6detail15normal_iteratorINSC_10device_ptrIKyEEEESI_EEEEESK_NSA_INS5_IJNSE_INSF_IyEEEESM_EEEEEPS7_SP_SP_NSC_11hip_rocprim7__merge17predicate_wrapperIyyNSC_7greaterImEEEEEE10hipError_tPvRmT0_T1_T2_T3_T4_T5_mmT6_P12ihipStream_tbEUlT_E0_NS1_11comp_targetILNS1_3genE8ELNS1_11target_archE1030ELNS1_3gpuE2ELNS1_3repE0EEENS1_30default_config_static_selectorELNS0_4arch9wavefront6targetE0EEEvS10_,@function
_ZN7rocprim17ROCPRIM_400000_NS6detail17trampoline_kernelINS0_14default_configENS1_21merge_config_selectorINS0_5tupleIJyyEEENS0_10empty_typeEEEZNS1_10merge_implIS3_NS0_12zip_iteratorINS5_IJN6thrust23THRUST_200600_302600_NS6detail15normal_iteratorINSC_10device_ptrIKyEEEESI_EEEEESK_NSA_INS5_IJNSE_INSF_IyEEEESM_EEEEEPS7_SP_SP_NSC_11hip_rocprim7__merge17predicate_wrapperIyyNSC_7greaterImEEEEEE10hipError_tPvRmT0_T1_T2_T3_T4_T5_mmT6_P12ihipStream_tbEUlT_E0_NS1_11comp_targetILNS1_3genE8ELNS1_11target_archE1030ELNS1_3gpuE2ELNS1_3repE0EEENS1_30default_config_static_selectorELNS0_4arch9wavefront6targetE0EEEvS10_: ; @_ZN7rocprim17ROCPRIM_400000_NS6detail17trampoline_kernelINS0_14default_configENS1_21merge_config_selectorINS0_5tupleIJyyEEENS0_10empty_typeEEEZNS1_10merge_implIS3_NS0_12zip_iteratorINS5_IJN6thrust23THRUST_200600_302600_NS6detail15normal_iteratorINSC_10device_ptrIKyEEEESI_EEEEESK_NSA_INS5_IJNSE_INSF_IyEEEESM_EEEEEPS7_SP_SP_NSC_11hip_rocprim7__merge17predicate_wrapperIyyNSC_7greaterImEEEEEE10hipError_tPvRmT0_T1_T2_T3_T4_T5_mmT6_P12ihipStream_tbEUlT_E0_NS1_11comp_targetILNS1_3genE8ELNS1_11target_archE1030ELNS1_3gpuE2ELNS1_3repE0EEENS1_30default_config_static_selectorELNS0_4arch9wavefront6targetE0EEEvS10_
; %bb.0:
	.section	.rodata,"a",@progbits
	.p2align	6, 0x0
	.amdhsa_kernel _ZN7rocprim17ROCPRIM_400000_NS6detail17trampoline_kernelINS0_14default_configENS1_21merge_config_selectorINS0_5tupleIJyyEEENS0_10empty_typeEEEZNS1_10merge_implIS3_NS0_12zip_iteratorINS5_IJN6thrust23THRUST_200600_302600_NS6detail15normal_iteratorINSC_10device_ptrIKyEEEESI_EEEEESK_NSA_INS5_IJNSE_INSF_IyEEEESM_EEEEEPS7_SP_SP_NSC_11hip_rocprim7__merge17predicate_wrapperIyyNSC_7greaterImEEEEEE10hipError_tPvRmT0_T1_T2_T3_T4_T5_mmT6_P12ihipStream_tbEUlT_E0_NS1_11comp_targetILNS1_3genE8ELNS1_11target_archE1030ELNS1_3gpuE2ELNS1_3repE0EEENS1_30default_config_static_selectorELNS0_4arch9wavefront6targetE0EEEvS10_
		.amdhsa_group_segment_fixed_size 0
		.amdhsa_private_segment_fixed_size 0
		.amdhsa_kernarg_size 112
		.amdhsa_user_sgpr_count 2
		.amdhsa_user_sgpr_dispatch_ptr 0
		.amdhsa_user_sgpr_queue_ptr 0
		.amdhsa_user_sgpr_kernarg_segment_ptr 1
		.amdhsa_user_sgpr_dispatch_id 0
		.amdhsa_user_sgpr_kernarg_preload_length 0
		.amdhsa_user_sgpr_kernarg_preload_offset 0
		.amdhsa_user_sgpr_private_segment_size 0
		.amdhsa_wavefront_size32 1
		.amdhsa_uses_dynamic_stack 0
		.amdhsa_enable_private_segment 0
		.amdhsa_system_sgpr_workgroup_id_x 1
		.amdhsa_system_sgpr_workgroup_id_y 0
		.amdhsa_system_sgpr_workgroup_id_z 0
		.amdhsa_system_sgpr_workgroup_info 0
		.amdhsa_system_vgpr_workitem_id 0
		.amdhsa_next_free_vgpr 1
		.amdhsa_next_free_sgpr 1
		.amdhsa_named_barrier_count 0
		.amdhsa_reserve_vcc 0
		.amdhsa_float_round_mode_32 0
		.amdhsa_float_round_mode_16_64 0
		.amdhsa_float_denorm_mode_32 3
		.amdhsa_float_denorm_mode_16_64 3
		.amdhsa_fp16_overflow 0
		.amdhsa_memory_ordered 1
		.amdhsa_forward_progress 1
		.amdhsa_inst_pref_size 0
		.amdhsa_round_robin_scheduling 0
		.amdhsa_exception_fp_ieee_invalid_op 0
		.amdhsa_exception_fp_denorm_src 0
		.amdhsa_exception_fp_ieee_div_zero 0
		.amdhsa_exception_fp_ieee_overflow 0
		.amdhsa_exception_fp_ieee_underflow 0
		.amdhsa_exception_fp_ieee_inexact 0
		.amdhsa_exception_int_div_zero 0
	.end_amdhsa_kernel
	.section	.text._ZN7rocprim17ROCPRIM_400000_NS6detail17trampoline_kernelINS0_14default_configENS1_21merge_config_selectorINS0_5tupleIJyyEEENS0_10empty_typeEEEZNS1_10merge_implIS3_NS0_12zip_iteratorINS5_IJN6thrust23THRUST_200600_302600_NS6detail15normal_iteratorINSC_10device_ptrIKyEEEESI_EEEEESK_NSA_INS5_IJNSE_INSF_IyEEEESM_EEEEEPS7_SP_SP_NSC_11hip_rocprim7__merge17predicate_wrapperIyyNSC_7greaterImEEEEEE10hipError_tPvRmT0_T1_T2_T3_T4_T5_mmT6_P12ihipStream_tbEUlT_E0_NS1_11comp_targetILNS1_3genE8ELNS1_11target_archE1030ELNS1_3gpuE2ELNS1_3repE0EEENS1_30default_config_static_selectorELNS0_4arch9wavefront6targetE0EEEvS10_,"axG",@progbits,_ZN7rocprim17ROCPRIM_400000_NS6detail17trampoline_kernelINS0_14default_configENS1_21merge_config_selectorINS0_5tupleIJyyEEENS0_10empty_typeEEEZNS1_10merge_implIS3_NS0_12zip_iteratorINS5_IJN6thrust23THRUST_200600_302600_NS6detail15normal_iteratorINSC_10device_ptrIKyEEEESI_EEEEESK_NSA_INS5_IJNSE_INSF_IyEEEESM_EEEEEPS7_SP_SP_NSC_11hip_rocprim7__merge17predicate_wrapperIyyNSC_7greaterImEEEEEE10hipError_tPvRmT0_T1_T2_T3_T4_T5_mmT6_P12ihipStream_tbEUlT_E0_NS1_11comp_targetILNS1_3genE8ELNS1_11target_archE1030ELNS1_3gpuE2ELNS1_3repE0EEENS1_30default_config_static_selectorELNS0_4arch9wavefront6targetE0EEEvS10_,comdat
.Lfunc_end370:
	.size	_ZN7rocprim17ROCPRIM_400000_NS6detail17trampoline_kernelINS0_14default_configENS1_21merge_config_selectorINS0_5tupleIJyyEEENS0_10empty_typeEEEZNS1_10merge_implIS3_NS0_12zip_iteratorINS5_IJN6thrust23THRUST_200600_302600_NS6detail15normal_iteratorINSC_10device_ptrIKyEEEESI_EEEEESK_NSA_INS5_IJNSE_INSF_IyEEEESM_EEEEEPS7_SP_SP_NSC_11hip_rocprim7__merge17predicate_wrapperIyyNSC_7greaterImEEEEEE10hipError_tPvRmT0_T1_T2_T3_T4_T5_mmT6_P12ihipStream_tbEUlT_E0_NS1_11comp_targetILNS1_3genE8ELNS1_11target_archE1030ELNS1_3gpuE2ELNS1_3repE0EEENS1_30default_config_static_selectorELNS0_4arch9wavefront6targetE0EEEvS10_, .Lfunc_end370-_ZN7rocprim17ROCPRIM_400000_NS6detail17trampoline_kernelINS0_14default_configENS1_21merge_config_selectorINS0_5tupleIJyyEEENS0_10empty_typeEEEZNS1_10merge_implIS3_NS0_12zip_iteratorINS5_IJN6thrust23THRUST_200600_302600_NS6detail15normal_iteratorINSC_10device_ptrIKyEEEESI_EEEEESK_NSA_INS5_IJNSE_INSF_IyEEEESM_EEEEEPS7_SP_SP_NSC_11hip_rocprim7__merge17predicate_wrapperIyyNSC_7greaterImEEEEEE10hipError_tPvRmT0_T1_T2_T3_T4_T5_mmT6_P12ihipStream_tbEUlT_E0_NS1_11comp_targetILNS1_3genE8ELNS1_11target_archE1030ELNS1_3gpuE2ELNS1_3repE0EEENS1_30default_config_static_selectorELNS0_4arch9wavefront6targetE0EEEvS10_
                                        ; -- End function
	.set _ZN7rocprim17ROCPRIM_400000_NS6detail17trampoline_kernelINS0_14default_configENS1_21merge_config_selectorINS0_5tupleIJyyEEENS0_10empty_typeEEEZNS1_10merge_implIS3_NS0_12zip_iteratorINS5_IJN6thrust23THRUST_200600_302600_NS6detail15normal_iteratorINSC_10device_ptrIKyEEEESI_EEEEESK_NSA_INS5_IJNSE_INSF_IyEEEESM_EEEEEPS7_SP_SP_NSC_11hip_rocprim7__merge17predicate_wrapperIyyNSC_7greaterImEEEEEE10hipError_tPvRmT0_T1_T2_T3_T4_T5_mmT6_P12ihipStream_tbEUlT_E0_NS1_11comp_targetILNS1_3genE8ELNS1_11target_archE1030ELNS1_3gpuE2ELNS1_3repE0EEENS1_30default_config_static_selectorELNS0_4arch9wavefront6targetE0EEEvS10_.num_vgpr, 0
	.set _ZN7rocprim17ROCPRIM_400000_NS6detail17trampoline_kernelINS0_14default_configENS1_21merge_config_selectorINS0_5tupleIJyyEEENS0_10empty_typeEEEZNS1_10merge_implIS3_NS0_12zip_iteratorINS5_IJN6thrust23THRUST_200600_302600_NS6detail15normal_iteratorINSC_10device_ptrIKyEEEESI_EEEEESK_NSA_INS5_IJNSE_INSF_IyEEEESM_EEEEEPS7_SP_SP_NSC_11hip_rocprim7__merge17predicate_wrapperIyyNSC_7greaterImEEEEEE10hipError_tPvRmT0_T1_T2_T3_T4_T5_mmT6_P12ihipStream_tbEUlT_E0_NS1_11comp_targetILNS1_3genE8ELNS1_11target_archE1030ELNS1_3gpuE2ELNS1_3repE0EEENS1_30default_config_static_selectorELNS0_4arch9wavefront6targetE0EEEvS10_.num_agpr, 0
	.set _ZN7rocprim17ROCPRIM_400000_NS6detail17trampoline_kernelINS0_14default_configENS1_21merge_config_selectorINS0_5tupleIJyyEEENS0_10empty_typeEEEZNS1_10merge_implIS3_NS0_12zip_iteratorINS5_IJN6thrust23THRUST_200600_302600_NS6detail15normal_iteratorINSC_10device_ptrIKyEEEESI_EEEEESK_NSA_INS5_IJNSE_INSF_IyEEEESM_EEEEEPS7_SP_SP_NSC_11hip_rocprim7__merge17predicate_wrapperIyyNSC_7greaterImEEEEEE10hipError_tPvRmT0_T1_T2_T3_T4_T5_mmT6_P12ihipStream_tbEUlT_E0_NS1_11comp_targetILNS1_3genE8ELNS1_11target_archE1030ELNS1_3gpuE2ELNS1_3repE0EEENS1_30default_config_static_selectorELNS0_4arch9wavefront6targetE0EEEvS10_.numbered_sgpr, 0
	.set _ZN7rocprim17ROCPRIM_400000_NS6detail17trampoline_kernelINS0_14default_configENS1_21merge_config_selectorINS0_5tupleIJyyEEENS0_10empty_typeEEEZNS1_10merge_implIS3_NS0_12zip_iteratorINS5_IJN6thrust23THRUST_200600_302600_NS6detail15normal_iteratorINSC_10device_ptrIKyEEEESI_EEEEESK_NSA_INS5_IJNSE_INSF_IyEEEESM_EEEEEPS7_SP_SP_NSC_11hip_rocprim7__merge17predicate_wrapperIyyNSC_7greaterImEEEEEE10hipError_tPvRmT0_T1_T2_T3_T4_T5_mmT6_P12ihipStream_tbEUlT_E0_NS1_11comp_targetILNS1_3genE8ELNS1_11target_archE1030ELNS1_3gpuE2ELNS1_3repE0EEENS1_30default_config_static_selectorELNS0_4arch9wavefront6targetE0EEEvS10_.num_named_barrier, 0
	.set _ZN7rocprim17ROCPRIM_400000_NS6detail17trampoline_kernelINS0_14default_configENS1_21merge_config_selectorINS0_5tupleIJyyEEENS0_10empty_typeEEEZNS1_10merge_implIS3_NS0_12zip_iteratorINS5_IJN6thrust23THRUST_200600_302600_NS6detail15normal_iteratorINSC_10device_ptrIKyEEEESI_EEEEESK_NSA_INS5_IJNSE_INSF_IyEEEESM_EEEEEPS7_SP_SP_NSC_11hip_rocprim7__merge17predicate_wrapperIyyNSC_7greaterImEEEEEE10hipError_tPvRmT0_T1_T2_T3_T4_T5_mmT6_P12ihipStream_tbEUlT_E0_NS1_11comp_targetILNS1_3genE8ELNS1_11target_archE1030ELNS1_3gpuE2ELNS1_3repE0EEENS1_30default_config_static_selectorELNS0_4arch9wavefront6targetE0EEEvS10_.private_seg_size, 0
	.set _ZN7rocprim17ROCPRIM_400000_NS6detail17trampoline_kernelINS0_14default_configENS1_21merge_config_selectorINS0_5tupleIJyyEEENS0_10empty_typeEEEZNS1_10merge_implIS3_NS0_12zip_iteratorINS5_IJN6thrust23THRUST_200600_302600_NS6detail15normal_iteratorINSC_10device_ptrIKyEEEESI_EEEEESK_NSA_INS5_IJNSE_INSF_IyEEEESM_EEEEEPS7_SP_SP_NSC_11hip_rocprim7__merge17predicate_wrapperIyyNSC_7greaterImEEEEEE10hipError_tPvRmT0_T1_T2_T3_T4_T5_mmT6_P12ihipStream_tbEUlT_E0_NS1_11comp_targetILNS1_3genE8ELNS1_11target_archE1030ELNS1_3gpuE2ELNS1_3repE0EEENS1_30default_config_static_selectorELNS0_4arch9wavefront6targetE0EEEvS10_.uses_vcc, 0
	.set _ZN7rocprim17ROCPRIM_400000_NS6detail17trampoline_kernelINS0_14default_configENS1_21merge_config_selectorINS0_5tupleIJyyEEENS0_10empty_typeEEEZNS1_10merge_implIS3_NS0_12zip_iteratorINS5_IJN6thrust23THRUST_200600_302600_NS6detail15normal_iteratorINSC_10device_ptrIKyEEEESI_EEEEESK_NSA_INS5_IJNSE_INSF_IyEEEESM_EEEEEPS7_SP_SP_NSC_11hip_rocprim7__merge17predicate_wrapperIyyNSC_7greaterImEEEEEE10hipError_tPvRmT0_T1_T2_T3_T4_T5_mmT6_P12ihipStream_tbEUlT_E0_NS1_11comp_targetILNS1_3genE8ELNS1_11target_archE1030ELNS1_3gpuE2ELNS1_3repE0EEENS1_30default_config_static_selectorELNS0_4arch9wavefront6targetE0EEEvS10_.uses_flat_scratch, 0
	.set _ZN7rocprim17ROCPRIM_400000_NS6detail17trampoline_kernelINS0_14default_configENS1_21merge_config_selectorINS0_5tupleIJyyEEENS0_10empty_typeEEEZNS1_10merge_implIS3_NS0_12zip_iteratorINS5_IJN6thrust23THRUST_200600_302600_NS6detail15normal_iteratorINSC_10device_ptrIKyEEEESI_EEEEESK_NSA_INS5_IJNSE_INSF_IyEEEESM_EEEEEPS7_SP_SP_NSC_11hip_rocprim7__merge17predicate_wrapperIyyNSC_7greaterImEEEEEE10hipError_tPvRmT0_T1_T2_T3_T4_T5_mmT6_P12ihipStream_tbEUlT_E0_NS1_11comp_targetILNS1_3genE8ELNS1_11target_archE1030ELNS1_3gpuE2ELNS1_3repE0EEENS1_30default_config_static_selectorELNS0_4arch9wavefront6targetE0EEEvS10_.has_dyn_sized_stack, 0
	.set _ZN7rocprim17ROCPRIM_400000_NS6detail17trampoline_kernelINS0_14default_configENS1_21merge_config_selectorINS0_5tupleIJyyEEENS0_10empty_typeEEEZNS1_10merge_implIS3_NS0_12zip_iteratorINS5_IJN6thrust23THRUST_200600_302600_NS6detail15normal_iteratorINSC_10device_ptrIKyEEEESI_EEEEESK_NSA_INS5_IJNSE_INSF_IyEEEESM_EEEEEPS7_SP_SP_NSC_11hip_rocprim7__merge17predicate_wrapperIyyNSC_7greaterImEEEEEE10hipError_tPvRmT0_T1_T2_T3_T4_T5_mmT6_P12ihipStream_tbEUlT_E0_NS1_11comp_targetILNS1_3genE8ELNS1_11target_archE1030ELNS1_3gpuE2ELNS1_3repE0EEENS1_30default_config_static_selectorELNS0_4arch9wavefront6targetE0EEEvS10_.has_recursion, 0
	.set _ZN7rocprim17ROCPRIM_400000_NS6detail17trampoline_kernelINS0_14default_configENS1_21merge_config_selectorINS0_5tupleIJyyEEENS0_10empty_typeEEEZNS1_10merge_implIS3_NS0_12zip_iteratorINS5_IJN6thrust23THRUST_200600_302600_NS6detail15normal_iteratorINSC_10device_ptrIKyEEEESI_EEEEESK_NSA_INS5_IJNSE_INSF_IyEEEESM_EEEEEPS7_SP_SP_NSC_11hip_rocprim7__merge17predicate_wrapperIyyNSC_7greaterImEEEEEE10hipError_tPvRmT0_T1_T2_T3_T4_T5_mmT6_P12ihipStream_tbEUlT_E0_NS1_11comp_targetILNS1_3genE8ELNS1_11target_archE1030ELNS1_3gpuE2ELNS1_3repE0EEENS1_30default_config_static_selectorELNS0_4arch9wavefront6targetE0EEEvS10_.has_indirect_call, 0
	.section	.AMDGPU.csdata,"",@progbits
; Kernel info:
; codeLenInByte = 0
; TotalNumSgprs: 0
; NumVgprs: 0
; ScratchSize: 0
; MemoryBound: 0
; FloatMode: 240
; IeeeMode: 1
; LDSByteSize: 0 bytes/workgroup (compile time only)
; SGPRBlocks: 0
; VGPRBlocks: 0
; NumSGPRsForWavesPerEU: 1
; NumVGPRsForWavesPerEU: 1
; NamedBarCnt: 0
; Occupancy: 16
; WaveLimiterHint : 0
; COMPUTE_PGM_RSRC2:SCRATCH_EN: 0
; COMPUTE_PGM_RSRC2:USER_SGPR: 2
; COMPUTE_PGM_RSRC2:TRAP_HANDLER: 0
; COMPUTE_PGM_RSRC2:TGID_X_EN: 1
; COMPUTE_PGM_RSRC2:TGID_Y_EN: 0
; COMPUTE_PGM_RSRC2:TGID_Z_EN: 0
; COMPUTE_PGM_RSRC2:TIDIG_COMP_CNT: 0
	.section	.text._ZN7rocprim17ROCPRIM_400000_NS6detail17trampoline_kernelINS0_14default_configENS1_21merge_config_selectorINS0_5tupleIJjjEEENS0_10empty_typeEEEZNS1_10merge_implIS3_NS0_12zip_iteratorINS5_IJN6thrust23THRUST_200600_302600_NS6detail15normal_iteratorINSC_10device_ptrIKjEEEESI_EEEEESK_NSA_INS5_IJNSE_INSF_IjEEEESM_EEEEEPS7_SP_SP_NSC_11hip_rocprim7__merge17predicate_wrapperIjjNSC_7greaterIjEEEEEE10hipError_tPvRmT0_T1_T2_T3_T4_T5_mmT6_P12ihipStream_tbEUlT_E_NS1_11comp_targetILNS1_3genE0ELNS1_11target_archE4294967295ELNS1_3gpuE0ELNS1_3repE0EEENS1_30default_config_static_selectorELNS0_4arch9wavefront6targetE0EEEvS10_,"axG",@progbits,_ZN7rocprim17ROCPRIM_400000_NS6detail17trampoline_kernelINS0_14default_configENS1_21merge_config_selectorINS0_5tupleIJjjEEENS0_10empty_typeEEEZNS1_10merge_implIS3_NS0_12zip_iteratorINS5_IJN6thrust23THRUST_200600_302600_NS6detail15normal_iteratorINSC_10device_ptrIKjEEEESI_EEEEESK_NSA_INS5_IJNSE_INSF_IjEEEESM_EEEEEPS7_SP_SP_NSC_11hip_rocprim7__merge17predicate_wrapperIjjNSC_7greaterIjEEEEEE10hipError_tPvRmT0_T1_T2_T3_T4_T5_mmT6_P12ihipStream_tbEUlT_E_NS1_11comp_targetILNS1_3genE0ELNS1_11target_archE4294967295ELNS1_3gpuE0ELNS1_3repE0EEENS1_30default_config_static_selectorELNS0_4arch9wavefront6targetE0EEEvS10_,comdat
	.protected	_ZN7rocprim17ROCPRIM_400000_NS6detail17trampoline_kernelINS0_14default_configENS1_21merge_config_selectorINS0_5tupleIJjjEEENS0_10empty_typeEEEZNS1_10merge_implIS3_NS0_12zip_iteratorINS5_IJN6thrust23THRUST_200600_302600_NS6detail15normal_iteratorINSC_10device_ptrIKjEEEESI_EEEEESK_NSA_INS5_IJNSE_INSF_IjEEEESM_EEEEEPS7_SP_SP_NSC_11hip_rocprim7__merge17predicate_wrapperIjjNSC_7greaterIjEEEEEE10hipError_tPvRmT0_T1_T2_T3_T4_T5_mmT6_P12ihipStream_tbEUlT_E_NS1_11comp_targetILNS1_3genE0ELNS1_11target_archE4294967295ELNS1_3gpuE0ELNS1_3repE0EEENS1_30default_config_static_selectorELNS0_4arch9wavefront6targetE0EEEvS10_ ; -- Begin function _ZN7rocprim17ROCPRIM_400000_NS6detail17trampoline_kernelINS0_14default_configENS1_21merge_config_selectorINS0_5tupleIJjjEEENS0_10empty_typeEEEZNS1_10merge_implIS3_NS0_12zip_iteratorINS5_IJN6thrust23THRUST_200600_302600_NS6detail15normal_iteratorINSC_10device_ptrIKjEEEESI_EEEEESK_NSA_INS5_IJNSE_INSF_IjEEEESM_EEEEEPS7_SP_SP_NSC_11hip_rocprim7__merge17predicate_wrapperIjjNSC_7greaterIjEEEEEE10hipError_tPvRmT0_T1_T2_T3_T4_T5_mmT6_P12ihipStream_tbEUlT_E_NS1_11comp_targetILNS1_3genE0ELNS1_11target_archE4294967295ELNS1_3gpuE0ELNS1_3repE0EEENS1_30default_config_static_selectorELNS0_4arch9wavefront6targetE0EEEvS10_
	.globl	_ZN7rocprim17ROCPRIM_400000_NS6detail17trampoline_kernelINS0_14default_configENS1_21merge_config_selectorINS0_5tupleIJjjEEENS0_10empty_typeEEEZNS1_10merge_implIS3_NS0_12zip_iteratorINS5_IJN6thrust23THRUST_200600_302600_NS6detail15normal_iteratorINSC_10device_ptrIKjEEEESI_EEEEESK_NSA_INS5_IJNSE_INSF_IjEEEESM_EEEEEPS7_SP_SP_NSC_11hip_rocprim7__merge17predicate_wrapperIjjNSC_7greaterIjEEEEEE10hipError_tPvRmT0_T1_T2_T3_T4_T5_mmT6_P12ihipStream_tbEUlT_E_NS1_11comp_targetILNS1_3genE0ELNS1_11target_archE4294967295ELNS1_3gpuE0ELNS1_3repE0EEENS1_30default_config_static_selectorELNS0_4arch9wavefront6targetE0EEEvS10_
	.p2align	8
	.type	_ZN7rocprim17ROCPRIM_400000_NS6detail17trampoline_kernelINS0_14default_configENS1_21merge_config_selectorINS0_5tupleIJjjEEENS0_10empty_typeEEEZNS1_10merge_implIS3_NS0_12zip_iteratorINS5_IJN6thrust23THRUST_200600_302600_NS6detail15normal_iteratorINSC_10device_ptrIKjEEEESI_EEEEESK_NSA_INS5_IJNSE_INSF_IjEEEESM_EEEEEPS7_SP_SP_NSC_11hip_rocprim7__merge17predicate_wrapperIjjNSC_7greaterIjEEEEEE10hipError_tPvRmT0_T1_T2_T3_T4_T5_mmT6_P12ihipStream_tbEUlT_E_NS1_11comp_targetILNS1_3genE0ELNS1_11target_archE4294967295ELNS1_3gpuE0ELNS1_3repE0EEENS1_30default_config_static_selectorELNS0_4arch9wavefront6targetE0EEEvS10_,@function
_ZN7rocprim17ROCPRIM_400000_NS6detail17trampoline_kernelINS0_14default_configENS1_21merge_config_selectorINS0_5tupleIJjjEEENS0_10empty_typeEEEZNS1_10merge_implIS3_NS0_12zip_iteratorINS5_IJN6thrust23THRUST_200600_302600_NS6detail15normal_iteratorINSC_10device_ptrIKjEEEESI_EEEEESK_NSA_INS5_IJNSE_INSF_IjEEEESM_EEEEEPS7_SP_SP_NSC_11hip_rocprim7__merge17predicate_wrapperIjjNSC_7greaterIjEEEEEE10hipError_tPvRmT0_T1_T2_T3_T4_T5_mmT6_P12ihipStream_tbEUlT_E_NS1_11comp_targetILNS1_3genE0ELNS1_11target_archE4294967295ELNS1_3gpuE0ELNS1_3repE0EEENS1_30default_config_static_selectorELNS0_4arch9wavefront6targetE0EEEvS10_: ; @_ZN7rocprim17ROCPRIM_400000_NS6detail17trampoline_kernelINS0_14default_configENS1_21merge_config_selectorINS0_5tupleIJjjEEENS0_10empty_typeEEEZNS1_10merge_implIS3_NS0_12zip_iteratorINS5_IJN6thrust23THRUST_200600_302600_NS6detail15normal_iteratorINSC_10device_ptrIKjEEEESI_EEEEESK_NSA_INS5_IJNSE_INSF_IjEEEESM_EEEEEPS7_SP_SP_NSC_11hip_rocprim7__merge17predicate_wrapperIjjNSC_7greaterIjEEEEEE10hipError_tPvRmT0_T1_T2_T3_T4_T5_mmT6_P12ihipStream_tbEUlT_E_NS1_11comp_targetILNS1_3genE0ELNS1_11target_archE4294967295ELNS1_3gpuE0ELNS1_3repE0EEENS1_30default_config_static_selectorELNS0_4arch9wavefront6targetE0EEEvS10_
; %bb.0:
	s_clause 0x2
	s_load_b32 s4, s[0:1], 0x38
	s_load_b32 s2, s[0:1], 0x4c
	s_load_b128 s[8:11], s[0:1], 0x28
	s_getreg_b32 s7, hwreg(HW_REG_IB_STS2, 6, 4)
	s_wait_kmcnt 0x0
	s_cvt_f32_u32 s3, s4
	s_and_b32 s6, s2, 0xffff
	s_and_b32 s2, ttmp6, 15
	s_delay_alu instid0(SALU_CYCLE_1) | instskip(SKIP_1) | instid1(SALU_CYCLE_1)
	v_rcp_iflag_f32_e32 v1, s3
	s_bfe_u32 s3, ttmp6, 0x4000c
	s_add_co_i32 s3, s3, 1
	s_delay_alu instid0(SALU_CYCLE_1) | instskip(NEXT) | instid1(SALU_CYCLE_1)
	s_mul_i32 s3, ttmp9, s3
	s_add_co_i32 s2, s2, s3
	v_nop
	s_delay_alu instid0(TRANS32_DEP_1)
	v_readfirstlane_b32 s5, v1
	s_cmp_eq_u32 s7, 0
	s_cselect_b32 s7, ttmp9, s2
	s_sub_co_i32 s12, 0, s4
	s_mul_f32 s5, s5, 0x4f7ffffe
	s_add_nc_u64 s[2:3], s[10:11], s[8:9]
	v_mad_u32 v6, s7, s6, v0
	s_add_co_i32 s13, s4, s2
	s_cvt_u32_f32 s5, s5
	s_add_co_i32 s13, s13, -1
	s_delay_alu instid0(SALU_CYCLE_2) | instskip(NEXT) | instid1(SALU_CYCLE_1)
	s_mul_i32 s12, s12, s5
	s_mul_hi_u32 s12, s5, s12
	s_delay_alu instid0(SALU_CYCLE_1) | instskip(NEXT) | instid1(SALU_CYCLE_1)
	s_add_co_i32 s5, s5, s12
	s_mul_hi_u32 s5, s13, s5
	s_delay_alu instid0(SALU_CYCLE_1) | instskip(SKIP_2) | instid1(SALU_CYCLE_1)
	s_mul_i32 s12, s5, s4
	s_add_co_i32 s7, s5, 1
	s_sub_co_i32 s6, s13, s12
	s_sub_co_i32 s12, s6, s4
	s_cmp_ge_u32 s6, s4
	s_cselect_b32 s5, s7, s5
	s_cselect_b32 s6, s12, s6
	s_add_co_i32 s7, s5, 1
	s_cmp_ge_u32 s6, s4
	s_cselect_b32 s5, s7, s5
	s_delay_alu instid0(SALU_CYCLE_1)
	v_cmp_ge_u32_e32 vcc_lo, s5, v6
	s_and_saveexec_b32 s5, vcc_lo
	s_cbranch_execz .LBB371_6
; %bb.1:
	v_mul_lo_u32 v0, v6, s4
	v_mov_b32_e32 v1, 0
	s_load_b128 s[4:7], s[0:1], 0x0
	s_delay_alu instid0(VALU_DEP_1) | instskip(SKIP_1) | instid1(VALU_DEP_1)
	v_min_u64 v[4:5], v[0:1], s[2:3]
	s_mov_b32 s2, exec_lo
	v_max_u64 v[0:1], v[4:5], s[10:11]
	v_min_u64 v[2:3], v[4:5], s[8:9]
	s_delay_alu instid0(VALU_DEP_2) | instskip(NEXT) | instid1(VALU_DEP_1)
	v_sub_nc_u64_e64 v[0:1], v[0:1], s[10:11]
	v_cmpx_lt_u64_e64 v[0:1], v[2:3]
	s_cbranch_execz .LBB371_5
; %bb.2:
	s_wait_xcnt 0x0
	s_load_b64 s[0:1], s[0:1], 0x18
	s_wait_kmcnt 0x0
	v_lshl_add_u64 v[4:5], v[4:5], 2, s[0:1]
	s_mov_b32 s0, 0
.LBB371_3:                              ; =>This Inner Loop Header: Depth=1
	v_add_nc_u64_e32 v[8:9], v[2:3], v[0:1]
	s_delay_alu instid0(VALU_DEP_1) | instskip(NEXT) | instid1(VALU_DEP_1)
	v_lshrrev_b64 v[8:9], 1, v[8:9]
	v_lshlrev_b64_e32 v[10:11], 2, v[8:9]
	s_delay_alu instid0(VALU_DEP_1) | instskip(NEXT) | instid1(VALU_DEP_2)
	v_xor_b32_e32 v13, -1, v11
	v_xor_b32_e32 v12, -4, v10
	v_add_nc_u64_e32 v[10:11], s[6:7], v[10:11]
	s_delay_alu instid0(VALU_DEP_2)
	v_add_nc_u64_e32 v[12:13], v[4:5], v[12:13]
	global_load_b32 v7, v[10:11], off
	global_load_b32 v14, v[12:13], off
	s_wait_xcnt 0x1
	v_add_nc_u64_e32 v[10:11], 1, v[8:9]
	s_wait_loadcnt 0x0
	v_cmp_gt_u32_e32 vcc_lo, v14, v7
	v_dual_cndmask_b32 v3, v3, v9 :: v_dual_cndmask_b32 v2, v2, v8
	s_delay_alu instid0(VALU_DEP_3) | instskip(NEXT) | instid1(VALU_DEP_1)
	v_dual_cndmask_b32 v1, v11, v1 :: v_dual_cndmask_b32 v0, v10, v0
	v_cmp_ge_u64_e32 vcc_lo, v[0:1], v[2:3]
	s_or_b32 s0, vcc_lo, s0
	s_delay_alu instid0(SALU_CYCLE_1)
	s_and_not1_b32 exec_lo, exec_lo, s0
	s_cbranch_execnz .LBB371_3
; %bb.4:
	s_or_b32 exec_lo, exec_lo, s0
.LBB371_5:
	s_delay_alu instid0(SALU_CYCLE_1)
	s_or_b32 exec_lo, exec_lo, s2
	s_wait_kmcnt 0x0
	global_store_b32 v6, v0, s[4:5] scale_offset
.LBB371_6:
	s_endpgm
	.section	.rodata,"a",@progbits
	.p2align	6, 0x0
	.amdhsa_kernel _ZN7rocprim17ROCPRIM_400000_NS6detail17trampoline_kernelINS0_14default_configENS1_21merge_config_selectorINS0_5tupleIJjjEEENS0_10empty_typeEEEZNS1_10merge_implIS3_NS0_12zip_iteratorINS5_IJN6thrust23THRUST_200600_302600_NS6detail15normal_iteratorINSC_10device_ptrIKjEEEESI_EEEEESK_NSA_INS5_IJNSE_INSF_IjEEEESM_EEEEEPS7_SP_SP_NSC_11hip_rocprim7__merge17predicate_wrapperIjjNSC_7greaterIjEEEEEE10hipError_tPvRmT0_T1_T2_T3_T4_T5_mmT6_P12ihipStream_tbEUlT_E_NS1_11comp_targetILNS1_3genE0ELNS1_11target_archE4294967295ELNS1_3gpuE0ELNS1_3repE0EEENS1_30default_config_static_selectorELNS0_4arch9wavefront6targetE0EEEvS10_
		.amdhsa_group_segment_fixed_size 0
		.amdhsa_private_segment_fixed_size 0
		.amdhsa_kernarg_size 320
		.amdhsa_user_sgpr_count 2
		.amdhsa_user_sgpr_dispatch_ptr 0
		.amdhsa_user_sgpr_queue_ptr 0
		.amdhsa_user_sgpr_kernarg_segment_ptr 1
		.amdhsa_user_sgpr_dispatch_id 0
		.amdhsa_user_sgpr_kernarg_preload_length 0
		.amdhsa_user_sgpr_kernarg_preload_offset 0
		.amdhsa_user_sgpr_private_segment_size 0
		.amdhsa_wavefront_size32 1
		.amdhsa_uses_dynamic_stack 0
		.amdhsa_enable_private_segment 0
		.amdhsa_system_sgpr_workgroup_id_x 1
		.amdhsa_system_sgpr_workgroup_id_y 0
		.amdhsa_system_sgpr_workgroup_id_z 0
		.amdhsa_system_sgpr_workgroup_info 0
		.amdhsa_system_vgpr_workitem_id 0
		.amdhsa_next_free_vgpr 15
		.amdhsa_next_free_sgpr 14
		.amdhsa_named_barrier_count 0
		.amdhsa_reserve_vcc 1
		.amdhsa_float_round_mode_32 0
		.amdhsa_float_round_mode_16_64 0
		.amdhsa_float_denorm_mode_32 3
		.amdhsa_float_denorm_mode_16_64 3
		.amdhsa_fp16_overflow 0
		.amdhsa_memory_ordered 1
		.amdhsa_forward_progress 1
		.amdhsa_inst_pref_size 4
		.amdhsa_round_robin_scheduling 0
		.amdhsa_exception_fp_ieee_invalid_op 0
		.amdhsa_exception_fp_denorm_src 0
		.amdhsa_exception_fp_ieee_div_zero 0
		.amdhsa_exception_fp_ieee_overflow 0
		.amdhsa_exception_fp_ieee_underflow 0
		.amdhsa_exception_fp_ieee_inexact 0
		.amdhsa_exception_int_div_zero 0
	.end_amdhsa_kernel
	.section	.text._ZN7rocprim17ROCPRIM_400000_NS6detail17trampoline_kernelINS0_14default_configENS1_21merge_config_selectorINS0_5tupleIJjjEEENS0_10empty_typeEEEZNS1_10merge_implIS3_NS0_12zip_iteratorINS5_IJN6thrust23THRUST_200600_302600_NS6detail15normal_iteratorINSC_10device_ptrIKjEEEESI_EEEEESK_NSA_INS5_IJNSE_INSF_IjEEEESM_EEEEEPS7_SP_SP_NSC_11hip_rocprim7__merge17predicate_wrapperIjjNSC_7greaterIjEEEEEE10hipError_tPvRmT0_T1_T2_T3_T4_T5_mmT6_P12ihipStream_tbEUlT_E_NS1_11comp_targetILNS1_3genE0ELNS1_11target_archE4294967295ELNS1_3gpuE0ELNS1_3repE0EEENS1_30default_config_static_selectorELNS0_4arch9wavefront6targetE0EEEvS10_,"axG",@progbits,_ZN7rocprim17ROCPRIM_400000_NS6detail17trampoline_kernelINS0_14default_configENS1_21merge_config_selectorINS0_5tupleIJjjEEENS0_10empty_typeEEEZNS1_10merge_implIS3_NS0_12zip_iteratorINS5_IJN6thrust23THRUST_200600_302600_NS6detail15normal_iteratorINSC_10device_ptrIKjEEEESI_EEEEESK_NSA_INS5_IJNSE_INSF_IjEEEESM_EEEEEPS7_SP_SP_NSC_11hip_rocprim7__merge17predicate_wrapperIjjNSC_7greaterIjEEEEEE10hipError_tPvRmT0_T1_T2_T3_T4_T5_mmT6_P12ihipStream_tbEUlT_E_NS1_11comp_targetILNS1_3genE0ELNS1_11target_archE4294967295ELNS1_3gpuE0ELNS1_3repE0EEENS1_30default_config_static_selectorELNS0_4arch9wavefront6targetE0EEEvS10_,comdat
.Lfunc_end371:
	.size	_ZN7rocprim17ROCPRIM_400000_NS6detail17trampoline_kernelINS0_14default_configENS1_21merge_config_selectorINS0_5tupleIJjjEEENS0_10empty_typeEEEZNS1_10merge_implIS3_NS0_12zip_iteratorINS5_IJN6thrust23THRUST_200600_302600_NS6detail15normal_iteratorINSC_10device_ptrIKjEEEESI_EEEEESK_NSA_INS5_IJNSE_INSF_IjEEEESM_EEEEEPS7_SP_SP_NSC_11hip_rocprim7__merge17predicate_wrapperIjjNSC_7greaterIjEEEEEE10hipError_tPvRmT0_T1_T2_T3_T4_T5_mmT6_P12ihipStream_tbEUlT_E_NS1_11comp_targetILNS1_3genE0ELNS1_11target_archE4294967295ELNS1_3gpuE0ELNS1_3repE0EEENS1_30default_config_static_selectorELNS0_4arch9wavefront6targetE0EEEvS10_, .Lfunc_end371-_ZN7rocprim17ROCPRIM_400000_NS6detail17trampoline_kernelINS0_14default_configENS1_21merge_config_selectorINS0_5tupleIJjjEEENS0_10empty_typeEEEZNS1_10merge_implIS3_NS0_12zip_iteratorINS5_IJN6thrust23THRUST_200600_302600_NS6detail15normal_iteratorINSC_10device_ptrIKjEEEESI_EEEEESK_NSA_INS5_IJNSE_INSF_IjEEEESM_EEEEEPS7_SP_SP_NSC_11hip_rocprim7__merge17predicate_wrapperIjjNSC_7greaterIjEEEEEE10hipError_tPvRmT0_T1_T2_T3_T4_T5_mmT6_P12ihipStream_tbEUlT_E_NS1_11comp_targetILNS1_3genE0ELNS1_11target_archE4294967295ELNS1_3gpuE0ELNS1_3repE0EEENS1_30default_config_static_selectorELNS0_4arch9wavefront6targetE0EEEvS10_
                                        ; -- End function
	.set _ZN7rocprim17ROCPRIM_400000_NS6detail17trampoline_kernelINS0_14default_configENS1_21merge_config_selectorINS0_5tupleIJjjEEENS0_10empty_typeEEEZNS1_10merge_implIS3_NS0_12zip_iteratorINS5_IJN6thrust23THRUST_200600_302600_NS6detail15normal_iteratorINSC_10device_ptrIKjEEEESI_EEEEESK_NSA_INS5_IJNSE_INSF_IjEEEESM_EEEEEPS7_SP_SP_NSC_11hip_rocprim7__merge17predicate_wrapperIjjNSC_7greaterIjEEEEEE10hipError_tPvRmT0_T1_T2_T3_T4_T5_mmT6_P12ihipStream_tbEUlT_E_NS1_11comp_targetILNS1_3genE0ELNS1_11target_archE4294967295ELNS1_3gpuE0ELNS1_3repE0EEENS1_30default_config_static_selectorELNS0_4arch9wavefront6targetE0EEEvS10_.num_vgpr, 15
	.set _ZN7rocprim17ROCPRIM_400000_NS6detail17trampoline_kernelINS0_14default_configENS1_21merge_config_selectorINS0_5tupleIJjjEEENS0_10empty_typeEEEZNS1_10merge_implIS3_NS0_12zip_iteratorINS5_IJN6thrust23THRUST_200600_302600_NS6detail15normal_iteratorINSC_10device_ptrIKjEEEESI_EEEEESK_NSA_INS5_IJNSE_INSF_IjEEEESM_EEEEEPS7_SP_SP_NSC_11hip_rocprim7__merge17predicate_wrapperIjjNSC_7greaterIjEEEEEE10hipError_tPvRmT0_T1_T2_T3_T4_T5_mmT6_P12ihipStream_tbEUlT_E_NS1_11comp_targetILNS1_3genE0ELNS1_11target_archE4294967295ELNS1_3gpuE0ELNS1_3repE0EEENS1_30default_config_static_selectorELNS0_4arch9wavefront6targetE0EEEvS10_.num_agpr, 0
	.set _ZN7rocprim17ROCPRIM_400000_NS6detail17trampoline_kernelINS0_14default_configENS1_21merge_config_selectorINS0_5tupleIJjjEEENS0_10empty_typeEEEZNS1_10merge_implIS3_NS0_12zip_iteratorINS5_IJN6thrust23THRUST_200600_302600_NS6detail15normal_iteratorINSC_10device_ptrIKjEEEESI_EEEEESK_NSA_INS5_IJNSE_INSF_IjEEEESM_EEEEEPS7_SP_SP_NSC_11hip_rocprim7__merge17predicate_wrapperIjjNSC_7greaterIjEEEEEE10hipError_tPvRmT0_T1_T2_T3_T4_T5_mmT6_P12ihipStream_tbEUlT_E_NS1_11comp_targetILNS1_3genE0ELNS1_11target_archE4294967295ELNS1_3gpuE0ELNS1_3repE0EEENS1_30default_config_static_selectorELNS0_4arch9wavefront6targetE0EEEvS10_.numbered_sgpr, 14
	.set _ZN7rocprim17ROCPRIM_400000_NS6detail17trampoline_kernelINS0_14default_configENS1_21merge_config_selectorINS0_5tupleIJjjEEENS0_10empty_typeEEEZNS1_10merge_implIS3_NS0_12zip_iteratorINS5_IJN6thrust23THRUST_200600_302600_NS6detail15normal_iteratorINSC_10device_ptrIKjEEEESI_EEEEESK_NSA_INS5_IJNSE_INSF_IjEEEESM_EEEEEPS7_SP_SP_NSC_11hip_rocprim7__merge17predicate_wrapperIjjNSC_7greaterIjEEEEEE10hipError_tPvRmT0_T1_T2_T3_T4_T5_mmT6_P12ihipStream_tbEUlT_E_NS1_11comp_targetILNS1_3genE0ELNS1_11target_archE4294967295ELNS1_3gpuE0ELNS1_3repE0EEENS1_30default_config_static_selectorELNS0_4arch9wavefront6targetE0EEEvS10_.num_named_barrier, 0
	.set _ZN7rocprim17ROCPRIM_400000_NS6detail17trampoline_kernelINS0_14default_configENS1_21merge_config_selectorINS0_5tupleIJjjEEENS0_10empty_typeEEEZNS1_10merge_implIS3_NS0_12zip_iteratorINS5_IJN6thrust23THRUST_200600_302600_NS6detail15normal_iteratorINSC_10device_ptrIKjEEEESI_EEEEESK_NSA_INS5_IJNSE_INSF_IjEEEESM_EEEEEPS7_SP_SP_NSC_11hip_rocprim7__merge17predicate_wrapperIjjNSC_7greaterIjEEEEEE10hipError_tPvRmT0_T1_T2_T3_T4_T5_mmT6_P12ihipStream_tbEUlT_E_NS1_11comp_targetILNS1_3genE0ELNS1_11target_archE4294967295ELNS1_3gpuE0ELNS1_3repE0EEENS1_30default_config_static_selectorELNS0_4arch9wavefront6targetE0EEEvS10_.private_seg_size, 0
	.set _ZN7rocprim17ROCPRIM_400000_NS6detail17trampoline_kernelINS0_14default_configENS1_21merge_config_selectorINS0_5tupleIJjjEEENS0_10empty_typeEEEZNS1_10merge_implIS3_NS0_12zip_iteratorINS5_IJN6thrust23THRUST_200600_302600_NS6detail15normal_iteratorINSC_10device_ptrIKjEEEESI_EEEEESK_NSA_INS5_IJNSE_INSF_IjEEEESM_EEEEEPS7_SP_SP_NSC_11hip_rocprim7__merge17predicate_wrapperIjjNSC_7greaterIjEEEEEE10hipError_tPvRmT0_T1_T2_T3_T4_T5_mmT6_P12ihipStream_tbEUlT_E_NS1_11comp_targetILNS1_3genE0ELNS1_11target_archE4294967295ELNS1_3gpuE0ELNS1_3repE0EEENS1_30default_config_static_selectorELNS0_4arch9wavefront6targetE0EEEvS10_.uses_vcc, 1
	.set _ZN7rocprim17ROCPRIM_400000_NS6detail17trampoline_kernelINS0_14default_configENS1_21merge_config_selectorINS0_5tupleIJjjEEENS0_10empty_typeEEEZNS1_10merge_implIS3_NS0_12zip_iteratorINS5_IJN6thrust23THRUST_200600_302600_NS6detail15normal_iteratorINSC_10device_ptrIKjEEEESI_EEEEESK_NSA_INS5_IJNSE_INSF_IjEEEESM_EEEEEPS7_SP_SP_NSC_11hip_rocprim7__merge17predicate_wrapperIjjNSC_7greaterIjEEEEEE10hipError_tPvRmT0_T1_T2_T3_T4_T5_mmT6_P12ihipStream_tbEUlT_E_NS1_11comp_targetILNS1_3genE0ELNS1_11target_archE4294967295ELNS1_3gpuE0ELNS1_3repE0EEENS1_30default_config_static_selectorELNS0_4arch9wavefront6targetE0EEEvS10_.uses_flat_scratch, 0
	.set _ZN7rocprim17ROCPRIM_400000_NS6detail17trampoline_kernelINS0_14default_configENS1_21merge_config_selectorINS0_5tupleIJjjEEENS0_10empty_typeEEEZNS1_10merge_implIS3_NS0_12zip_iteratorINS5_IJN6thrust23THRUST_200600_302600_NS6detail15normal_iteratorINSC_10device_ptrIKjEEEESI_EEEEESK_NSA_INS5_IJNSE_INSF_IjEEEESM_EEEEEPS7_SP_SP_NSC_11hip_rocprim7__merge17predicate_wrapperIjjNSC_7greaterIjEEEEEE10hipError_tPvRmT0_T1_T2_T3_T4_T5_mmT6_P12ihipStream_tbEUlT_E_NS1_11comp_targetILNS1_3genE0ELNS1_11target_archE4294967295ELNS1_3gpuE0ELNS1_3repE0EEENS1_30default_config_static_selectorELNS0_4arch9wavefront6targetE0EEEvS10_.has_dyn_sized_stack, 0
	.set _ZN7rocprim17ROCPRIM_400000_NS6detail17trampoline_kernelINS0_14default_configENS1_21merge_config_selectorINS0_5tupleIJjjEEENS0_10empty_typeEEEZNS1_10merge_implIS3_NS0_12zip_iteratorINS5_IJN6thrust23THRUST_200600_302600_NS6detail15normal_iteratorINSC_10device_ptrIKjEEEESI_EEEEESK_NSA_INS5_IJNSE_INSF_IjEEEESM_EEEEEPS7_SP_SP_NSC_11hip_rocprim7__merge17predicate_wrapperIjjNSC_7greaterIjEEEEEE10hipError_tPvRmT0_T1_T2_T3_T4_T5_mmT6_P12ihipStream_tbEUlT_E_NS1_11comp_targetILNS1_3genE0ELNS1_11target_archE4294967295ELNS1_3gpuE0ELNS1_3repE0EEENS1_30default_config_static_selectorELNS0_4arch9wavefront6targetE0EEEvS10_.has_recursion, 0
	.set _ZN7rocprim17ROCPRIM_400000_NS6detail17trampoline_kernelINS0_14default_configENS1_21merge_config_selectorINS0_5tupleIJjjEEENS0_10empty_typeEEEZNS1_10merge_implIS3_NS0_12zip_iteratorINS5_IJN6thrust23THRUST_200600_302600_NS6detail15normal_iteratorINSC_10device_ptrIKjEEEESI_EEEEESK_NSA_INS5_IJNSE_INSF_IjEEEESM_EEEEEPS7_SP_SP_NSC_11hip_rocprim7__merge17predicate_wrapperIjjNSC_7greaterIjEEEEEE10hipError_tPvRmT0_T1_T2_T3_T4_T5_mmT6_P12ihipStream_tbEUlT_E_NS1_11comp_targetILNS1_3genE0ELNS1_11target_archE4294967295ELNS1_3gpuE0ELNS1_3repE0EEENS1_30default_config_static_selectorELNS0_4arch9wavefront6targetE0EEEvS10_.has_indirect_call, 0
	.section	.AMDGPU.csdata,"",@progbits
; Kernel info:
; codeLenInByte = 484
; TotalNumSgprs: 16
; NumVgprs: 15
; ScratchSize: 0
; MemoryBound: 0
; FloatMode: 240
; IeeeMode: 1
; LDSByteSize: 0 bytes/workgroup (compile time only)
; SGPRBlocks: 0
; VGPRBlocks: 0
; NumSGPRsForWavesPerEU: 16
; NumVGPRsForWavesPerEU: 15
; NamedBarCnt: 0
; Occupancy: 16
; WaveLimiterHint : 0
; COMPUTE_PGM_RSRC2:SCRATCH_EN: 0
; COMPUTE_PGM_RSRC2:USER_SGPR: 2
; COMPUTE_PGM_RSRC2:TRAP_HANDLER: 0
; COMPUTE_PGM_RSRC2:TGID_X_EN: 1
; COMPUTE_PGM_RSRC2:TGID_Y_EN: 0
; COMPUTE_PGM_RSRC2:TGID_Z_EN: 0
; COMPUTE_PGM_RSRC2:TIDIG_COMP_CNT: 0
	.section	.text._ZN7rocprim17ROCPRIM_400000_NS6detail17trampoline_kernelINS0_14default_configENS1_21merge_config_selectorINS0_5tupleIJjjEEENS0_10empty_typeEEEZNS1_10merge_implIS3_NS0_12zip_iteratorINS5_IJN6thrust23THRUST_200600_302600_NS6detail15normal_iteratorINSC_10device_ptrIKjEEEESI_EEEEESK_NSA_INS5_IJNSE_INSF_IjEEEESM_EEEEEPS7_SP_SP_NSC_11hip_rocprim7__merge17predicate_wrapperIjjNSC_7greaterIjEEEEEE10hipError_tPvRmT0_T1_T2_T3_T4_T5_mmT6_P12ihipStream_tbEUlT_E_NS1_11comp_targetILNS1_3genE5ELNS1_11target_archE942ELNS1_3gpuE9ELNS1_3repE0EEENS1_30default_config_static_selectorELNS0_4arch9wavefront6targetE0EEEvS10_,"axG",@progbits,_ZN7rocprim17ROCPRIM_400000_NS6detail17trampoline_kernelINS0_14default_configENS1_21merge_config_selectorINS0_5tupleIJjjEEENS0_10empty_typeEEEZNS1_10merge_implIS3_NS0_12zip_iteratorINS5_IJN6thrust23THRUST_200600_302600_NS6detail15normal_iteratorINSC_10device_ptrIKjEEEESI_EEEEESK_NSA_INS5_IJNSE_INSF_IjEEEESM_EEEEEPS7_SP_SP_NSC_11hip_rocprim7__merge17predicate_wrapperIjjNSC_7greaterIjEEEEEE10hipError_tPvRmT0_T1_T2_T3_T4_T5_mmT6_P12ihipStream_tbEUlT_E_NS1_11comp_targetILNS1_3genE5ELNS1_11target_archE942ELNS1_3gpuE9ELNS1_3repE0EEENS1_30default_config_static_selectorELNS0_4arch9wavefront6targetE0EEEvS10_,comdat
	.protected	_ZN7rocprim17ROCPRIM_400000_NS6detail17trampoline_kernelINS0_14default_configENS1_21merge_config_selectorINS0_5tupleIJjjEEENS0_10empty_typeEEEZNS1_10merge_implIS3_NS0_12zip_iteratorINS5_IJN6thrust23THRUST_200600_302600_NS6detail15normal_iteratorINSC_10device_ptrIKjEEEESI_EEEEESK_NSA_INS5_IJNSE_INSF_IjEEEESM_EEEEEPS7_SP_SP_NSC_11hip_rocprim7__merge17predicate_wrapperIjjNSC_7greaterIjEEEEEE10hipError_tPvRmT0_T1_T2_T3_T4_T5_mmT6_P12ihipStream_tbEUlT_E_NS1_11comp_targetILNS1_3genE5ELNS1_11target_archE942ELNS1_3gpuE9ELNS1_3repE0EEENS1_30default_config_static_selectorELNS0_4arch9wavefront6targetE0EEEvS10_ ; -- Begin function _ZN7rocprim17ROCPRIM_400000_NS6detail17trampoline_kernelINS0_14default_configENS1_21merge_config_selectorINS0_5tupleIJjjEEENS0_10empty_typeEEEZNS1_10merge_implIS3_NS0_12zip_iteratorINS5_IJN6thrust23THRUST_200600_302600_NS6detail15normal_iteratorINSC_10device_ptrIKjEEEESI_EEEEESK_NSA_INS5_IJNSE_INSF_IjEEEESM_EEEEEPS7_SP_SP_NSC_11hip_rocprim7__merge17predicate_wrapperIjjNSC_7greaterIjEEEEEE10hipError_tPvRmT0_T1_T2_T3_T4_T5_mmT6_P12ihipStream_tbEUlT_E_NS1_11comp_targetILNS1_3genE5ELNS1_11target_archE942ELNS1_3gpuE9ELNS1_3repE0EEENS1_30default_config_static_selectorELNS0_4arch9wavefront6targetE0EEEvS10_
	.globl	_ZN7rocprim17ROCPRIM_400000_NS6detail17trampoline_kernelINS0_14default_configENS1_21merge_config_selectorINS0_5tupleIJjjEEENS0_10empty_typeEEEZNS1_10merge_implIS3_NS0_12zip_iteratorINS5_IJN6thrust23THRUST_200600_302600_NS6detail15normal_iteratorINSC_10device_ptrIKjEEEESI_EEEEESK_NSA_INS5_IJNSE_INSF_IjEEEESM_EEEEEPS7_SP_SP_NSC_11hip_rocprim7__merge17predicate_wrapperIjjNSC_7greaterIjEEEEEE10hipError_tPvRmT0_T1_T2_T3_T4_T5_mmT6_P12ihipStream_tbEUlT_E_NS1_11comp_targetILNS1_3genE5ELNS1_11target_archE942ELNS1_3gpuE9ELNS1_3repE0EEENS1_30default_config_static_selectorELNS0_4arch9wavefront6targetE0EEEvS10_
	.p2align	8
	.type	_ZN7rocprim17ROCPRIM_400000_NS6detail17trampoline_kernelINS0_14default_configENS1_21merge_config_selectorINS0_5tupleIJjjEEENS0_10empty_typeEEEZNS1_10merge_implIS3_NS0_12zip_iteratorINS5_IJN6thrust23THRUST_200600_302600_NS6detail15normal_iteratorINSC_10device_ptrIKjEEEESI_EEEEESK_NSA_INS5_IJNSE_INSF_IjEEEESM_EEEEEPS7_SP_SP_NSC_11hip_rocprim7__merge17predicate_wrapperIjjNSC_7greaterIjEEEEEE10hipError_tPvRmT0_T1_T2_T3_T4_T5_mmT6_P12ihipStream_tbEUlT_E_NS1_11comp_targetILNS1_3genE5ELNS1_11target_archE942ELNS1_3gpuE9ELNS1_3repE0EEENS1_30default_config_static_selectorELNS0_4arch9wavefront6targetE0EEEvS10_,@function
_ZN7rocprim17ROCPRIM_400000_NS6detail17trampoline_kernelINS0_14default_configENS1_21merge_config_selectorINS0_5tupleIJjjEEENS0_10empty_typeEEEZNS1_10merge_implIS3_NS0_12zip_iteratorINS5_IJN6thrust23THRUST_200600_302600_NS6detail15normal_iteratorINSC_10device_ptrIKjEEEESI_EEEEESK_NSA_INS5_IJNSE_INSF_IjEEEESM_EEEEEPS7_SP_SP_NSC_11hip_rocprim7__merge17predicate_wrapperIjjNSC_7greaterIjEEEEEE10hipError_tPvRmT0_T1_T2_T3_T4_T5_mmT6_P12ihipStream_tbEUlT_E_NS1_11comp_targetILNS1_3genE5ELNS1_11target_archE942ELNS1_3gpuE9ELNS1_3repE0EEENS1_30default_config_static_selectorELNS0_4arch9wavefront6targetE0EEEvS10_: ; @_ZN7rocprim17ROCPRIM_400000_NS6detail17trampoline_kernelINS0_14default_configENS1_21merge_config_selectorINS0_5tupleIJjjEEENS0_10empty_typeEEEZNS1_10merge_implIS3_NS0_12zip_iteratorINS5_IJN6thrust23THRUST_200600_302600_NS6detail15normal_iteratorINSC_10device_ptrIKjEEEESI_EEEEESK_NSA_INS5_IJNSE_INSF_IjEEEESM_EEEEEPS7_SP_SP_NSC_11hip_rocprim7__merge17predicate_wrapperIjjNSC_7greaterIjEEEEEE10hipError_tPvRmT0_T1_T2_T3_T4_T5_mmT6_P12ihipStream_tbEUlT_E_NS1_11comp_targetILNS1_3genE5ELNS1_11target_archE942ELNS1_3gpuE9ELNS1_3repE0EEENS1_30default_config_static_selectorELNS0_4arch9wavefront6targetE0EEEvS10_
; %bb.0:
	.section	.rodata,"a",@progbits
	.p2align	6, 0x0
	.amdhsa_kernel _ZN7rocprim17ROCPRIM_400000_NS6detail17trampoline_kernelINS0_14default_configENS1_21merge_config_selectorINS0_5tupleIJjjEEENS0_10empty_typeEEEZNS1_10merge_implIS3_NS0_12zip_iteratorINS5_IJN6thrust23THRUST_200600_302600_NS6detail15normal_iteratorINSC_10device_ptrIKjEEEESI_EEEEESK_NSA_INS5_IJNSE_INSF_IjEEEESM_EEEEEPS7_SP_SP_NSC_11hip_rocprim7__merge17predicate_wrapperIjjNSC_7greaterIjEEEEEE10hipError_tPvRmT0_T1_T2_T3_T4_T5_mmT6_P12ihipStream_tbEUlT_E_NS1_11comp_targetILNS1_3genE5ELNS1_11target_archE942ELNS1_3gpuE9ELNS1_3repE0EEENS1_30default_config_static_selectorELNS0_4arch9wavefront6targetE0EEEvS10_
		.amdhsa_group_segment_fixed_size 0
		.amdhsa_private_segment_fixed_size 0
		.amdhsa_kernarg_size 64
		.amdhsa_user_sgpr_count 2
		.amdhsa_user_sgpr_dispatch_ptr 0
		.amdhsa_user_sgpr_queue_ptr 0
		.amdhsa_user_sgpr_kernarg_segment_ptr 1
		.amdhsa_user_sgpr_dispatch_id 0
		.amdhsa_user_sgpr_kernarg_preload_length 0
		.amdhsa_user_sgpr_kernarg_preload_offset 0
		.amdhsa_user_sgpr_private_segment_size 0
		.amdhsa_wavefront_size32 1
		.amdhsa_uses_dynamic_stack 0
		.amdhsa_enable_private_segment 0
		.amdhsa_system_sgpr_workgroup_id_x 1
		.amdhsa_system_sgpr_workgroup_id_y 0
		.amdhsa_system_sgpr_workgroup_id_z 0
		.amdhsa_system_sgpr_workgroup_info 0
		.amdhsa_system_vgpr_workitem_id 0
		.amdhsa_next_free_vgpr 1
		.amdhsa_next_free_sgpr 1
		.amdhsa_named_barrier_count 0
		.amdhsa_reserve_vcc 0
		.amdhsa_float_round_mode_32 0
		.amdhsa_float_round_mode_16_64 0
		.amdhsa_float_denorm_mode_32 3
		.amdhsa_float_denorm_mode_16_64 3
		.amdhsa_fp16_overflow 0
		.amdhsa_memory_ordered 1
		.amdhsa_forward_progress 1
		.amdhsa_inst_pref_size 0
		.amdhsa_round_robin_scheduling 0
		.amdhsa_exception_fp_ieee_invalid_op 0
		.amdhsa_exception_fp_denorm_src 0
		.amdhsa_exception_fp_ieee_div_zero 0
		.amdhsa_exception_fp_ieee_overflow 0
		.amdhsa_exception_fp_ieee_underflow 0
		.amdhsa_exception_fp_ieee_inexact 0
		.amdhsa_exception_int_div_zero 0
	.end_amdhsa_kernel
	.section	.text._ZN7rocprim17ROCPRIM_400000_NS6detail17trampoline_kernelINS0_14default_configENS1_21merge_config_selectorINS0_5tupleIJjjEEENS0_10empty_typeEEEZNS1_10merge_implIS3_NS0_12zip_iteratorINS5_IJN6thrust23THRUST_200600_302600_NS6detail15normal_iteratorINSC_10device_ptrIKjEEEESI_EEEEESK_NSA_INS5_IJNSE_INSF_IjEEEESM_EEEEEPS7_SP_SP_NSC_11hip_rocprim7__merge17predicate_wrapperIjjNSC_7greaterIjEEEEEE10hipError_tPvRmT0_T1_T2_T3_T4_T5_mmT6_P12ihipStream_tbEUlT_E_NS1_11comp_targetILNS1_3genE5ELNS1_11target_archE942ELNS1_3gpuE9ELNS1_3repE0EEENS1_30default_config_static_selectorELNS0_4arch9wavefront6targetE0EEEvS10_,"axG",@progbits,_ZN7rocprim17ROCPRIM_400000_NS6detail17trampoline_kernelINS0_14default_configENS1_21merge_config_selectorINS0_5tupleIJjjEEENS0_10empty_typeEEEZNS1_10merge_implIS3_NS0_12zip_iteratorINS5_IJN6thrust23THRUST_200600_302600_NS6detail15normal_iteratorINSC_10device_ptrIKjEEEESI_EEEEESK_NSA_INS5_IJNSE_INSF_IjEEEESM_EEEEEPS7_SP_SP_NSC_11hip_rocprim7__merge17predicate_wrapperIjjNSC_7greaterIjEEEEEE10hipError_tPvRmT0_T1_T2_T3_T4_T5_mmT6_P12ihipStream_tbEUlT_E_NS1_11comp_targetILNS1_3genE5ELNS1_11target_archE942ELNS1_3gpuE9ELNS1_3repE0EEENS1_30default_config_static_selectorELNS0_4arch9wavefront6targetE0EEEvS10_,comdat
.Lfunc_end372:
	.size	_ZN7rocprim17ROCPRIM_400000_NS6detail17trampoline_kernelINS0_14default_configENS1_21merge_config_selectorINS0_5tupleIJjjEEENS0_10empty_typeEEEZNS1_10merge_implIS3_NS0_12zip_iteratorINS5_IJN6thrust23THRUST_200600_302600_NS6detail15normal_iteratorINSC_10device_ptrIKjEEEESI_EEEEESK_NSA_INS5_IJNSE_INSF_IjEEEESM_EEEEEPS7_SP_SP_NSC_11hip_rocprim7__merge17predicate_wrapperIjjNSC_7greaterIjEEEEEE10hipError_tPvRmT0_T1_T2_T3_T4_T5_mmT6_P12ihipStream_tbEUlT_E_NS1_11comp_targetILNS1_3genE5ELNS1_11target_archE942ELNS1_3gpuE9ELNS1_3repE0EEENS1_30default_config_static_selectorELNS0_4arch9wavefront6targetE0EEEvS10_, .Lfunc_end372-_ZN7rocprim17ROCPRIM_400000_NS6detail17trampoline_kernelINS0_14default_configENS1_21merge_config_selectorINS0_5tupleIJjjEEENS0_10empty_typeEEEZNS1_10merge_implIS3_NS0_12zip_iteratorINS5_IJN6thrust23THRUST_200600_302600_NS6detail15normal_iteratorINSC_10device_ptrIKjEEEESI_EEEEESK_NSA_INS5_IJNSE_INSF_IjEEEESM_EEEEEPS7_SP_SP_NSC_11hip_rocprim7__merge17predicate_wrapperIjjNSC_7greaterIjEEEEEE10hipError_tPvRmT0_T1_T2_T3_T4_T5_mmT6_P12ihipStream_tbEUlT_E_NS1_11comp_targetILNS1_3genE5ELNS1_11target_archE942ELNS1_3gpuE9ELNS1_3repE0EEENS1_30default_config_static_selectorELNS0_4arch9wavefront6targetE0EEEvS10_
                                        ; -- End function
	.set _ZN7rocprim17ROCPRIM_400000_NS6detail17trampoline_kernelINS0_14default_configENS1_21merge_config_selectorINS0_5tupleIJjjEEENS0_10empty_typeEEEZNS1_10merge_implIS3_NS0_12zip_iteratorINS5_IJN6thrust23THRUST_200600_302600_NS6detail15normal_iteratorINSC_10device_ptrIKjEEEESI_EEEEESK_NSA_INS5_IJNSE_INSF_IjEEEESM_EEEEEPS7_SP_SP_NSC_11hip_rocprim7__merge17predicate_wrapperIjjNSC_7greaterIjEEEEEE10hipError_tPvRmT0_T1_T2_T3_T4_T5_mmT6_P12ihipStream_tbEUlT_E_NS1_11comp_targetILNS1_3genE5ELNS1_11target_archE942ELNS1_3gpuE9ELNS1_3repE0EEENS1_30default_config_static_selectorELNS0_4arch9wavefront6targetE0EEEvS10_.num_vgpr, 0
	.set _ZN7rocprim17ROCPRIM_400000_NS6detail17trampoline_kernelINS0_14default_configENS1_21merge_config_selectorINS0_5tupleIJjjEEENS0_10empty_typeEEEZNS1_10merge_implIS3_NS0_12zip_iteratorINS5_IJN6thrust23THRUST_200600_302600_NS6detail15normal_iteratorINSC_10device_ptrIKjEEEESI_EEEEESK_NSA_INS5_IJNSE_INSF_IjEEEESM_EEEEEPS7_SP_SP_NSC_11hip_rocprim7__merge17predicate_wrapperIjjNSC_7greaterIjEEEEEE10hipError_tPvRmT0_T1_T2_T3_T4_T5_mmT6_P12ihipStream_tbEUlT_E_NS1_11comp_targetILNS1_3genE5ELNS1_11target_archE942ELNS1_3gpuE9ELNS1_3repE0EEENS1_30default_config_static_selectorELNS0_4arch9wavefront6targetE0EEEvS10_.num_agpr, 0
	.set _ZN7rocprim17ROCPRIM_400000_NS6detail17trampoline_kernelINS0_14default_configENS1_21merge_config_selectorINS0_5tupleIJjjEEENS0_10empty_typeEEEZNS1_10merge_implIS3_NS0_12zip_iteratorINS5_IJN6thrust23THRUST_200600_302600_NS6detail15normal_iteratorINSC_10device_ptrIKjEEEESI_EEEEESK_NSA_INS5_IJNSE_INSF_IjEEEESM_EEEEEPS7_SP_SP_NSC_11hip_rocprim7__merge17predicate_wrapperIjjNSC_7greaterIjEEEEEE10hipError_tPvRmT0_T1_T2_T3_T4_T5_mmT6_P12ihipStream_tbEUlT_E_NS1_11comp_targetILNS1_3genE5ELNS1_11target_archE942ELNS1_3gpuE9ELNS1_3repE0EEENS1_30default_config_static_selectorELNS0_4arch9wavefront6targetE0EEEvS10_.numbered_sgpr, 0
	.set _ZN7rocprim17ROCPRIM_400000_NS6detail17trampoline_kernelINS0_14default_configENS1_21merge_config_selectorINS0_5tupleIJjjEEENS0_10empty_typeEEEZNS1_10merge_implIS3_NS0_12zip_iteratorINS5_IJN6thrust23THRUST_200600_302600_NS6detail15normal_iteratorINSC_10device_ptrIKjEEEESI_EEEEESK_NSA_INS5_IJNSE_INSF_IjEEEESM_EEEEEPS7_SP_SP_NSC_11hip_rocprim7__merge17predicate_wrapperIjjNSC_7greaterIjEEEEEE10hipError_tPvRmT0_T1_T2_T3_T4_T5_mmT6_P12ihipStream_tbEUlT_E_NS1_11comp_targetILNS1_3genE5ELNS1_11target_archE942ELNS1_3gpuE9ELNS1_3repE0EEENS1_30default_config_static_selectorELNS0_4arch9wavefront6targetE0EEEvS10_.num_named_barrier, 0
	.set _ZN7rocprim17ROCPRIM_400000_NS6detail17trampoline_kernelINS0_14default_configENS1_21merge_config_selectorINS0_5tupleIJjjEEENS0_10empty_typeEEEZNS1_10merge_implIS3_NS0_12zip_iteratorINS5_IJN6thrust23THRUST_200600_302600_NS6detail15normal_iteratorINSC_10device_ptrIKjEEEESI_EEEEESK_NSA_INS5_IJNSE_INSF_IjEEEESM_EEEEEPS7_SP_SP_NSC_11hip_rocprim7__merge17predicate_wrapperIjjNSC_7greaterIjEEEEEE10hipError_tPvRmT0_T1_T2_T3_T4_T5_mmT6_P12ihipStream_tbEUlT_E_NS1_11comp_targetILNS1_3genE5ELNS1_11target_archE942ELNS1_3gpuE9ELNS1_3repE0EEENS1_30default_config_static_selectorELNS0_4arch9wavefront6targetE0EEEvS10_.private_seg_size, 0
	.set _ZN7rocprim17ROCPRIM_400000_NS6detail17trampoline_kernelINS0_14default_configENS1_21merge_config_selectorINS0_5tupleIJjjEEENS0_10empty_typeEEEZNS1_10merge_implIS3_NS0_12zip_iteratorINS5_IJN6thrust23THRUST_200600_302600_NS6detail15normal_iteratorINSC_10device_ptrIKjEEEESI_EEEEESK_NSA_INS5_IJNSE_INSF_IjEEEESM_EEEEEPS7_SP_SP_NSC_11hip_rocprim7__merge17predicate_wrapperIjjNSC_7greaterIjEEEEEE10hipError_tPvRmT0_T1_T2_T3_T4_T5_mmT6_P12ihipStream_tbEUlT_E_NS1_11comp_targetILNS1_3genE5ELNS1_11target_archE942ELNS1_3gpuE9ELNS1_3repE0EEENS1_30default_config_static_selectorELNS0_4arch9wavefront6targetE0EEEvS10_.uses_vcc, 0
	.set _ZN7rocprim17ROCPRIM_400000_NS6detail17trampoline_kernelINS0_14default_configENS1_21merge_config_selectorINS0_5tupleIJjjEEENS0_10empty_typeEEEZNS1_10merge_implIS3_NS0_12zip_iteratorINS5_IJN6thrust23THRUST_200600_302600_NS6detail15normal_iteratorINSC_10device_ptrIKjEEEESI_EEEEESK_NSA_INS5_IJNSE_INSF_IjEEEESM_EEEEEPS7_SP_SP_NSC_11hip_rocprim7__merge17predicate_wrapperIjjNSC_7greaterIjEEEEEE10hipError_tPvRmT0_T1_T2_T3_T4_T5_mmT6_P12ihipStream_tbEUlT_E_NS1_11comp_targetILNS1_3genE5ELNS1_11target_archE942ELNS1_3gpuE9ELNS1_3repE0EEENS1_30default_config_static_selectorELNS0_4arch9wavefront6targetE0EEEvS10_.uses_flat_scratch, 0
	.set _ZN7rocprim17ROCPRIM_400000_NS6detail17trampoline_kernelINS0_14default_configENS1_21merge_config_selectorINS0_5tupleIJjjEEENS0_10empty_typeEEEZNS1_10merge_implIS3_NS0_12zip_iteratorINS5_IJN6thrust23THRUST_200600_302600_NS6detail15normal_iteratorINSC_10device_ptrIKjEEEESI_EEEEESK_NSA_INS5_IJNSE_INSF_IjEEEESM_EEEEEPS7_SP_SP_NSC_11hip_rocprim7__merge17predicate_wrapperIjjNSC_7greaterIjEEEEEE10hipError_tPvRmT0_T1_T2_T3_T4_T5_mmT6_P12ihipStream_tbEUlT_E_NS1_11comp_targetILNS1_3genE5ELNS1_11target_archE942ELNS1_3gpuE9ELNS1_3repE0EEENS1_30default_config_static_selectorELNS0_4arch9wavefront6targetE0EEEvS10_.has_dyn_sized_stack, 0
	.set _ZN7rocprim17ROCPRIM_400000_NS6detail17trampoline_kernelINS0_14default_configENS1_21merge_config_selectorINS0_5tupleIJjjEEENS0_10empty_typeEEEZNS1_10merge_implIS3_NS0_12zip_iteratorINS5_IJN6thrust23THRUST_200600_302600_NS6detail15normal_iteratorINSC_10device_ptrIKjEEEESI_EEEEESK_NSA_INS5_IJNSE_INSF_IjEEEESM_EEEEEPS7_SP_SP_NSC_11hip_rocprim7__merge17predicate_wrapperIjjNSC_7greaterIjEEEEEE10hipError_tPvRmT0_T1_T2_T3_T4_T5_mmT6_P12ihipStream_tbEUlT_E_NS1_11comp_targetILNS1_3genE5ELNS1_11target_archE942ELNS1_3gpuE9ELNS1_3repE0EEENS1_30default_config_static_selectorELNS0_4arch9wavefront6targetE0EEEvS10_.has_recursion, 0
	.set _ZN7rocprim17ROCPRIM_400000_NS6detail17trampoline_kernelINS0_14default_configENS1_21merge_config_selectorINS0_5tupleIJjjEEENS0_10empty_typeEEEZNS1_10merge_implIS3_NS0_12zip_iteratorINS5_IJN6thrust23THRUST_200600_302600_NS6detail15normal_iteratorINSC_10device_ptrIKjEEEESI_EEEEESK_NSA_INS5_IJNSE_INSF_IjEEEESM_EEEEEPS7_SP_SP_NSC_11hip_rocprim7__merge17predicate_wrapperIjjNSC_7greaterIjEEEEEE10hipError_tPvRmT0_T1_T2_T3_T4_T5_mmT6_P12ihipStream_tbEUlT_E_NS1_11comp_targetILNS1_3genE5ELNS1_11target_archE942ELNS1_3gpuE9ELNS1_3repE0EEENS1_30default_config_static_selectorELNS0_4arch9wavefront6targetE0EEEvS10_.has_indirect_call, 0
	.section	.AMDGPU.csdata,"",@progbits
; Kernel info:
; codeLenInByte = 0
; TotalNumSgprs: 0
; NumVgprs: 0
; ScratchSize: 0
; MemoryBound: 0
; FloatMode: 240
; IeeeMode: 1
; LDSByteSize: 0 bytes/workgroup (compile time only)
; SGPRBlocks: 0
; VGPRBlocks: 0
; NumSGPRsForWavesPerEU: 1
; NumVGPRsForWavesPerEU: 1
; NamedBarCnt: 0
; Occupancy: 16
; WaveLimiterHint : 0
; COMPUTE_PGM_RSRC2:SCRATCH_EN: 0
; COMPUTE_PGM_RSRC2:USER_SGPR: 2
; COMPUTE_PGM_RSRC2:TRAP_HANDLER: 0
; COMPUTE_PGM_RSRC2:TGID_X_EN: 1
; COMPUTE_PGM_RSRC2:TGID_Y_EN: 0
; COMPUTE_PGM_RSRC2:TGID_Z_EN: 0
; COMPUTE_PGM_RSRC2:TIDIG_COMP_CNT: 0
	.section	.text._ZN7rocprim17ROCPRIM_400000_NS6detail17trampoline_kernelINS0_14default_configENS1_21merge_config_selectorINS0_5tupleIJjjEEENS0_10empty_typeEEEZNS1_10merge_implIS3_NS0_12zip_iteratorINS5_IJN6thrust23THRUST_200600_302600_NS6detail15normal_iteratorINSC_10device_ptrIKjEEEESI_EEEEESK_NSA_INS5_IJNSE_INSF_IjEEEESM_EEEEEPS7_SP_SP_NSC_11hip_rocprim7__merge17predicate_wrapperIjjNSC_7greaterIjEEEEEE10hipError_tPvRmT0_T1_T2_T3_T4_T5_mmT6_P12ihipStream_tbEUlT_E_NS1_11comp_targetILNS1_3genE4ELNS1_11target_archE910ELNS1_3gpuE8ELNS1_3repE0EEENS1_30default_config_static_selectorELNS0_4arch9wavefront6targetE0EEEvS10_,"axG",@progbits,_ZN7rocprim17ROCPRIM_400000_NS6detail17trampoline_kernelINS0_14default_configENS1_21merge_config_selectorINS0_5tupleIJjjEEENS0_10empty_typeEEEZNS1_10merge_implIS3_NS0_12zip_iteratorINS5_IJN6thrust23THRUST_200600_302600_NS6detail15normal_iteratorINSC_10device_ptrIKjEEEESI_EEEEESK_NSA_INS5_IJNSE_INSF_IjEEEESM_EEEEEPS7_SP_SP_NSC_11hip_rocprim7__merge17predicate_wrapperIjjNSC_7greaterIjEEEEEE10hipError_tPvRmT0_T1_T2_T3_T4_T5_mmT6_P12ihipStream_tbEUlT_E_NS1_11comp_targetILNS1_3genE4ELNS1_11target_archE910ELNS1_3gpuE8ELNS1_3repE0EEENS1_30default_config_static_selectorELNS0_4arch9wavefront6targetE0EEEvS10_,comdat
	.protected	_ZN7rocprim17ROCPRIM_400000_NS6detail17trampoline_kernelINS0_14default_configENS1_21merge_config_selectorINS0_5tupleIJjjEEENS0_10empty_typeEEEZNS1_10merge_implIS3_NS0_12zip_iteratorINS5_IJN6thrust23THRUST_200600_302600_NS6detail15normal_iteratorINSC_10device_ptrIKjEEEESI_EEEEESK_NSA_INS5_IJNSE_INSF_IjEEEESM_EEEEEPS7_SP_SP_NSC_11hip_rocprim7__merge17predicate_wrapperIjjNSC_7greaterIjEEEEEE10hipError_tPvRmT0_T1_T2_T3_T4_T5_mmT6_P12ihipStream_tbEUlT_E_NS1_11comp_targetILNS1_3genE4ELNS1_11target_archE910ELNS1_3gpuE8ELNS1_3repE0EEENS1_30default_config_static_selectorELNS0_4arch9wavefront6targetE0EEEvS10_ ; -- Begin function _ZN7rocprim17ROCPRIM_400000_NS6detail17trampoline_kernelINS0_14default_configENS1_21merge_config_selectorINS0_5tupleIJjjEEENS0_10empty_typeEEEZNS1_10merge_implIS3_NS0_12zip_iteratorINS5_IJN6thrust23THRUST_200600_302600_NS6detail15normal_iteratorINSC_10device_ptrIKjEEEESI_EEEEESK_NSA_INS5_IJNSE_INSF_IjEEEESM_EEEEEPS7_SP_SP_NSC_11hip_rocprim7__merge17predicate_wrapperIjjNSC_7greaterIjEEEEEE10hipError_tPvRmT0_T1_T2_T3_T4_T5_mmT6_P12ihipStream_tbEUlT_E_NS1_11comp_targetILNS1_3genE4ELNS1_11target_archE910ELNS1_3gpuE8ELNS1_3repE0EEENS1_30default_config_static_selectorELNS0_4arch9wavefront6targetE0EEEvS10_
	.globl	_ZN7rocprim17ROCPRIM_400000_NS6detail17trampoline_kernelINS0_14default_configENS1_21merge_config_selectorINS0_5tupleIJjjEEENS0_10empty_typeEEEZNS1_10merge_implIS3_NS0_12zip_iteratorINS5_IJN6thrust23THRUST_200600_302600_NS6detail15normal_iteratorINSC_10device_ptrIKjEEEESI_EEEEESK_NSA_INS5_IJNSE_INSF_IjEEEESM_EEEEEPS7_SP_SP_NSC_11hip_rocprim7__merge17predicate_wrapperIjjNSC_7greaterIjEEEEEE10hipError_tPvRmT0_T1_T2_T3_T4_T5_mmT6_P12ihipStream_tbEUlT_E_NS1_11comp_targetILNS1_3genE4ELNS1_11target_archE910ELNS1_3gpuE8ELNS1_3repE0EEENS1_30default_config_static_selectorELNS0_4arch9wavefront6targetE0EEEvS10_
	.p2align	8
	.type	_ZN7rocprim17ROCPRIM_400000_NS6detail17trampoline_kernelINS0_14default_configENS1_21merge_config_selectorINS0_5tupleIJjjEEENS0_10empty_typeEEEZNS1_10merge_implIS3_NS0_12zip_iteratorINS5_IJN6thrust23THRUST_200600_302600_NS6detail15normal_iteratorINSC_10device_ptrIKjEEEESI_EEEEESK_NSA_INS5_IJNSE_INSF_IjEEEESM_EEEEEPS7_SP_SP_NSC_11hip_rocprim7__merge17predicate_wrapperIjjNSC_7greaterIjEEEEEE10hipError_tPvRmT0_T1_T2_T3_T4_T5_mmT6_P12ihipStream_tbEUlT_E_NS1_11comp_targetILNS1_3genE4ELNS1_11target_archE910ELNS1_3gpuE8ELNS1_3repE0EEENS1_30default_config_static_selectorELNS0_4arch9wavefront6targetE0EEEvS10_,@function
_ZN7rocprim17ROCPRIM_400000_NS6detail17trampoline_kernelINS0_14default_configENS1_21merge_config_selectorINS0_5tupleIJjjEEENS0_10empty_typeEEEZNS1_10merge_implIS3_NS0_12zip_iteratorINS5_IJN6thrust23THRUST_200600_302600_NS6detail15normal_iteratorINSC_10device_ptrIKjEEEESI_EEEEESK_NSA_INS5_IJNSE_INSF_IjEEEESM_EEEEEPS7_SP_SP_NSC_11hip_rocprim7__merge17predicate_wrapperIjjNSC_7greaterIjEEEEEE10hipError_tPvRmT0_T1_T2_T3_T4_T5_mmT6_P12ihipStream_tbEUlT_E_NS1_11comp_targetILNS1_3genE4ELNS1_11target_archE910ELNS1_3gpuE8ELNS1_3repE0EEENS1_30default_config_static_selectorELNS0_4arch9wavefront6targetE0EEEvS10_: ; @_ZN7rocprim17ROCPRIM_400000_NS6detail17trampoline_kernelINS0_14default_configENS1_21merge_config_selectorINS0_5tupleIJjjEEENS0_10empty_typeEEEZNS1_10merge_implIS3_NS0_12zip_iteratorINS5_IJN6thrust23THRUST_200600_302600_NS6detail15normal_iteratorINSC_10device_ptrIKjEEEESI_EEEEESK_NSA_INS5_IJNSE_INSF_IjEEEESM_EEEEEPS7_SP_SP_NSC_11hip_rocprim7__merge17predicate_wrapperIjjNSC_7greaterIjEEEEEE10hipError_tPvRmT0_T1_T2_T3_T4_T5_mmT6_P12ihipStream_tbEUlT_E_NS1_11comp_targetILNS1_3genE4ELNS1_11target_archE910ELNS1_3gpuE8ELNS1_3repE0EEENS1_30default_config_static_selectorELNS0_4arch9wavefront6targetE0EEEvS10_
; %bb.0:
	.section	.rodata,"a",@progbits
	.p2align	6, 0x0
	.amdhsa_kernel _ZN7rocprim17ROCPRIM_400000_NS6detail17trampoline_kernelINS0_14default_configENS1_21merge_config_selectorINS0_5tupleIJjjEEENS0_10empty_typeEEEZNS1_10merge_implIS3_NS0_12zip_iteratorINS5_IJN6thrust23THRUST_200600_302600_NS6detail15normal_iteratorINSC_10device_ptrIKjEEEESI_EEEEESK_NSA_INS5_IJNSE_INSF_IjEEEESM_EEEEEPS7_SP_SP_NSC_11hip_rocprim7__merge17predicate_wrapperIjjNSC_7greaterIjEEEEEE10hipError_tPvRmT0_T1_T2_T3_T4_T5_mmT6_P12ihipStream_tbEUlT_E_NS1_11comp_targetILNS1_3genE4ELNS1_11target_archE910ELNS1_3gpuE8ELNS1_3repE0EEENS1_30default_config_static_selectorELNS0_4arch9wavefront6targetE0EEEvS10_
		.amdhsa_group_segment_fixed_size 0
		.amdhsa_private_segment_fixed_size 0
		.amdhsa_kernarg_size 64
		.amdhsa_user_sgpr_count 2
		.amdhsa_user_sgpr_dispatch_ptr 0
		.amdhsa_user_sgpr_queue_ptr 0
		.amdhsa_user_sgpr_kernarg_segment_ptr 1
		.amdhsa_user_sgpr_dispatch_id 0
		.amdhsa_user_sgpr_kernarg_preload_length 0
		.amdhsa_user_sgpr_kernarg_preload_offset 0
		.amdhsa_user_sgpr_private_segment_size 0
		.amdhsa_wavefront_size32 1
		.amdhsa_uses_dynamic_stack 0
		.amdhsa_enable_private_segment 0
		.amdhsa_system_sgpr_workgroup_id_x 1
		.amdhsa_system_sgpr_workgroup_id_y 0
		.amdhsa_system_sgpr_workgroup_id_z 0
		.amdhsa_system_sgpr_workgroup_info 0
		.amdhsa_system_vgpr_workitem_id 0
		.amdhsa_next_free_vgpr 1
		.amdhsa_next_free_sgpr 1
		.amdhsa_named_barrier_count 0
		.amdhsa_reserve_vcc 0
		.amdhsa_float_round_mode_32 0
		.amdhsa_float_round_mode_16_64 0
		.amdhsa_float_denorm_mode_32 3
		.amdhsa_float_denorm_mode_16_64 3
		.amdhsa_fp16_overflow 0
		.amdhsa_memory_ordered 1
		.amdhsa_forward_progress 1
		.amdhsa_inst_pref_size 0
		.amdhsa_round_robin_scheduling 0
		.amdhsa_exception_fp_ieee_invalid_op 0
		.amdhsa_exception_fp_denorm_src 0
		.amdhsa_exception_fp_ieee_div_zero 0
		.amdhsa_exception_fp_ieee_overflow 0
		.amdhsa_exception_fp_ieee_underflow 0
		.amdhsa_exception_fp_ieee_inexact 0
		.amdhsa_exception_int_div_zero 0
	.end_amdhsa_kernel
	.section	.text._ZN7rocprim17ROCPRIM_400000_NS6detail17trampoline_kernelINS0_14default_configENS1_21merge_config_selectorINS0_5tupleIJjjEEENS0_10empty_typeEEEZNS1_10merge_implIS3_NS0_12zip_iteratorINS5_IJN6thrust23THRUST_200600_302600_NS6detail15normal_iteratorINSC_10device_ptrIKjEEEESI_EEEEESK_NSA_INS5_IJNSE_INSF_IjEEEESM_EEEEEPS7_SP_SP_NSC_11hip_rocprim7__merge17predicate_wrapperIjjNSC_7greaterIjEEEEEE10hipError_tPvRmT0_T1_T2_T3_T4_T5_mmT6_P12ihipStream_tbEUlT_E_NS1_11comp_targetILNS1_3genE4ELNS1_11target_archE910ELNS1_3gpuE8ELNS1_3repE0EEENS1_30default_config_static_selectorELNS0_4arch9wavefront6targetE0EEEvS10_,"axG",@progbits,_ZN7rocprim17ROCPRIM_400000_NS6detail17trampoline_kernelINS0_14default_configENS1_21merge_config_selectorINS0_5tupleIJjjEEENS0_10empty_typeEEEZNS1_10merge_implIS3_NS0_12zip_iteratorINS5_IJN6thrust23THRUST_200600_302600_NS6detail15normal_iteratorINSC_10device_ptrIKjEEEESI_EEEEESK_NSA_INS5_IJNSE_INSF_IjEEEESM_EEEEEPS7_SP_SP_NSC_11hip_rocprim7__merge17predicate_wrapperIjjNSC_7greaterIjEEEEEE10hipError_tPvRmT0_T1_T2_T3_T4_T5_mmT6_P12ihipStream_tbEUlT_E_NS1_11comp_targetILNS1_3genE4ELNS1_11target_archE910ELNS1_3gpuE8ELNS1_3repE0EEENS1_30default_config_static_selectorELNS0_4arch9wavefront6targetE0EEEvS10_,comdat
.Lfunc_end373:
	.size	_ZN7rocprim17ROCPRIM_400000_NS6detail17trampoline_kernelINS0_14default_configENS1_21merge_config_selectorINS0_5tupleIJjjEEENS0_10empty_typeEEEZNS1_10merge_implIS3_NS0_12zip_iteratorINS5_IJN6thrust23THRUST_200600_302600_NS6detail15normal_iteratorINSC_10device_ptrIKjEEEESI_EEEEESK_NSA_INS5_IJNSE_INSF_IjEEEESM_EEEEEPS7_SP_SP_NSC_11hip_rocprim7__merge17predicate_wrapperIjjNSC_7greaterIjEEEEEE10hipError_tPvRmT0_T1_T2_T3_T4_T5_mmT6_P12ihipStream_tbEUlT_E_NS1_11comp_targetILNS1_3genE4ELNS1_11target_archE910ELNS1_3gpuE8ELNS1_3repE0EEENS1_30default_config_static_selectorELNS0_4arch9wavefront6targetE0EEEvS10_, .Lfunc_end373-_ZN7rocprim17ROCPRIM_400000_NS6detail17trampoline_kernelINS0_14default_configENS1_21merge_config_selectorINS0_5tupleIJjjEEENS0_10empty_typeEEEZNS1_10merge_implIS3_NS0_12zip_iteratorINS5_IJN6thrust23THRUST_200600_302600_NS6detail15normal_iteratorINSC_10device_ptrIKjEEEESI_EEEEESK_NSA_INS5_IJNSE_INSF_IjEEEESM_EEEEEPS7_SP_SP_NSC_11hip_rocprim7__merge17predicate_wrapperIjjNSC_7greaterIjEEEEEE10hipError_tPvRmT0_T1_T2_T3_T4_T5_mmT6_P12ihipStream_tbEUlT_E_NS1_11comp_targetILNS1_3genE4ELNS1_11target_archE910ELNS1_3gpuE8ELNS1_3repE0EEENS1_30default_config_static_selectorELNS0_4arch9wavefront6targetE0EEEvS10_
                                        ; -- End function
	.set _ZN7rocprim17ROCPRIM_400000_NS6detail17trampoline_kernelINS0_14default_configENS1_21merge_config_selectorINS0_5tupleIJjjEEENS0_10empty_typeEEEZNS1_10merge_implIS3_NS0_12zip_iteratorINS5_IJN6thrust23THRUST_200600_302600_NS6detail15normal_iteratorINSC_10device_ptrIKjEEEESI_EEEEESK_NSA_INS5_IJNSE_INSF_IjEEEESM_EEEEEPS7_SP_SP_NSC_11hip_rocprim7__merge17predicate_wrapperIjjNSC_7greaterIjEEEEEE10hipError_tPvRmT0_T1_T2_T3_T4_T5_mmT6_P12ihipStream_tbEUlT_E_NS1_11comp_targetILNS1_3genE4ELNS1_11target_archE910ELNS1_3gpuE8ELNS1_3repE0EEENS1_30default_config_static_selectorELNS0_4arch9wavefront6targetE0EEEvS10_.num_vgpr, 0
	.set _ZN7rocprim17ROCPRIM_400000_NS6detail17trampoline_kernelINS0_14default_configENS1_21merge_config_selectorINS0_5tupleIJjjEEENS0_10empty_typeEEEZNS1_10merge_implIS3_NS0_12zip_iteratorINS5_IJN6thrust23THRUST_200600_302600_NS6detail15normal_iteratorINSC_10device_ptrIKjEEEESI_EEEEESK_NSA_INS5_IJNSE_INSF_IjEEEESM_EEEEEPS7_SP_SP_NSC_11hip_rocprim7__merge17predicate_wrapperIjjNSC_7greaterIjEEEEEE10hipError_tPvRmT0_T1_T2_T3_T4_T5_mmT6_P12ihipStream_tbEUlT_E_NS1_11comp_targetILNS1_3genE4ELNS1_11target_archE910ELNS1_3gpuE8ELNS1_3repE0EEENS1_30default_config_static_selectorELNS0_4arch9wavefront6targetE0EEEvS10_.num_agpr, 0
	.set _ZN7rocprim17ROCPRIM_400000_NS6detail17trampoline_kernelINS0_14default_configENS1_21merge_config_selectorINS0_5tupleIJjjEEENS0_10empty_typeEEEZNS1_10merge_implIS3_NS0_12zip_iteratorINS5_IJN6thrust23THRUST_200600_302600_NS6detail15normal_iteratorINSC_10device_ptrIKjEEEESI_EEEEESK_NSA_INS5_IJNSE_INSF_IjEEEESM_EEEEEPS7_SP_SP_NSC_11hip_rocprim7__merge17predicate_wrapperIjjNSC_7greaterIjEEEEEE10hipError_tPvRmT0_T1_T2_T3_T4_T5_mmT6_P12ihipStream_tbEUlT_E_NS1_11comp_targetILNS1_3genE4ELNS1_11target_archE910ELNS1_3gpuE8ELNS1_3repE0EEENS1_30default_config_static_selectorELNS0_4arch9wavefront6targetE0EEEvS10_.numbered_sgpr, 0
	.set _ZN7rocprim17ROCPRIM_400000_NS6detail17trampoline_kernelINS0_14default_configENS1_21merge_config_selectorINS0_5tupleIJjjEEENS0_10empty_typeEEEZNS1_10merge_implIS3_NS0_12zip_iteratorINS5_IJN6thrust23THRUST_200600_302600_NS6detail15normal_iteratorINSC_10device_ptrIKjEEEESI_EEEEESK_NSA_INS5_IJNSE_INSF_IjEEEESM_EEEEEPS7_SP_SP_NSC_11hip_rocprim7__merge17predicate_wrapperIjjNSC_7greaterIjEEEEEE10hipError_tPvRmT0_T1_T2_T3_T4_T5_mmT6_P12ihipStream_tbEUlT_E_NS1_11comp_targetILNS1_3genE4ELNS1_11target_archE910ELNS1_3gpuE8ELNS1_3repE0EEENS1_30default_config_static_selectorELNS0_4arch9wavefront6targetE0EEEvS10_.num_named_barrier, 0
	.set _ZN7rocprim17ROCPRIM_400000_NS6detail17trampoline_kernelINS0_14default_configENS1_21merge_config_selectorINS0_5tupleIJjjEEENS0_10empty_typeEEEZNS1_10merge_implIS3_NS0_12zip_iteratorINS5_IJN6thrust23THRUST_200600_302600_NS6detail15normal_iteratorINSC_10device_ptrIKjEEEESI_EEEEESK_NSA_INS5_IJNSE_INSF_IjEEEESM_EEEEEPS7_SP_SP_NSC_11hip_rocprim7__merge17predicate_wrapperIjjNSC_7greaterIjEEEEEE10hipError_tPvRmT0_T1_T2_T3_T4_T5_mmT6_P12ihipStream_tbEUlT_E_NS1_11comp_targetILNS1_3genE4ELNS1_11target_archE910ELNS1_3gpuE8ELNS1_3repE0EEENS1_30default_config_static_selectorELNS0_4arch9wavefront6targetE0EEEvS10_.private_seg_size, 0
	.set _ZN7rocprim17ROCPRIM_400000_NS6detail17trampoline_kernelINS0_14default_configENS1_21merge_config_selectorINS0_5tupleIJjjEEENS0_10empty_typeEEEZNS1_10merge_implIS3_NS0_12zip_iteratorINS5_IJN6thrust23THRUST_200600_302600_NS6detail15normal_iteratorINSC_10device_ptrIKjEEEESI_EEEEESK_NSA_INS5_IJNSE_INSF_IjEEEESM_EEEEEPS7_SP_SP_NSC_11hip_rocprim7__merge17predicate_wrapperIjjNSC_7greaterIjEEEEEE10hipError_tPvRmT0_T1_T2_T3_T4_T5_mmT6_P12ihipStream_tbEUlT_E_NS1_11comp_targetILNS1_3genE4ELNS1_11target_archE910ELNS1_3gpuE8ELNS1_3repE0EEENS1_30default_config_static_selectorELNS0_4arch9wavefront6targetE0EEEvS10_.uses_vcc, 0
	.set _ZN7rocprim17ROCPRIM_400000_NS6detail17trampoline_kernelINS0_14default_configENS1_21merge_config_selectorINS0_5tupleIJjjEEENS0_10empty_typeEEEZNS1_10merge_implIS3_NS0_12zip_iteratorINS5_IJN6thrust23THRUST_200600_302600_NS6detail15normal_iteratorINSC_10device_ptrIKjEEEESI_EEEEESK_NSA_INS5_IJNSE_INSF_IjEEEESM_EEEEEPS7_SP_SP_NSC_11hip_rocprim7__merge17predicate_wrapperIjjNSC_7greaterIjEEEEEE10hipError_tPvRmT0_T1_T2_T3_T4_T5_mmT6_P12ihipStream_tbEUlT_E_NS1_11comp_targetILNS1_3genE4ELNS1_11target_archE910ELNS1_3gpuE8ELNS1_3repE0EEENS1_30default_config_static_selectorELNS0_4arch9wavefront6targetE0EEEvS10_.uses_flat_scratch, 0
	.set _ZN7rocprim17ROCPRIM_400000_NS6detail17trampoline_kernelINS0_14default_configENS1_21merge_config_selectorINS0_5tupleIJjjEEENS0_10empty_typeEEEZNS1_10merge_implIS3_NS0_12zip_iteratorINS5_IJN6thrust23THRUST_200600_302600_NS6detail15normal_iteratorINSC_10device_ptrIKjEEEESI_EEEEESK_NSA_INS5_IJNSE_INSF_IjEEEESM_EEEEEPS7_SP_SP_NSC_11hip_rocprim7__merge17predicate_wrapperIjjNSC_7greaterIjEEEEEE10hipError_tPvRmT0_T1_T2_T3_T4_T5_mmT6_P12ihipStream_tbEUlT_E_NS1_11comp_targetILNS1_3genE4ELNS1_11target_archE910ELNS1_3gpuE8ELNS1_3repE0EEENS1_30default_config_static_selectorELNS0_4arch9wavefront6targetE0EEEvS10_.has_dyn_sized_stack, 0
	.set _ZN7rocprim17ROCPRIM_400000_NS6detail17trampoline_kernelINS0_14default_configENS1_21merge_config_selectorINS0_5tupleIJjjEEENS0_10empty_typeEEEZNS1_10merge_implIS3_NS0_12zip_iteratorINS5_IJN6thrust23THRUST_200600_302600_NS6detail15normal_iteratorINSC_10device_ptrIKjEEEESI_EEEEESK_NSA_INS5_IJNSE_INSF_IjEEEESM_EEEEEPS7_SP_SP_NSC_11hip_rocprim7__merge17predicate_wrapperIjjNSC_7greaterIjEEEEEE10hipError_tPvRmT0_T1_T2_T3_T4_T5_mmT6_P12ihipStream_tbEUlT_E_NS1_11comp_targetILNS1_3genE4ELNS1_11target_archE910ELNS1_3gpuE8ELNS1_3repE0EEENS1_30default_config_static_selectorELNS0_4arch9wavefront6targetE0EEEvS10_.has_recursion, 0
	.set _ZN7rocprim17ROCPRIM_400000_NS6detail17trampoline_kernelINS0_14default_configENS1_21merge_config_selectorINS0_5tupleIJjjEEENS0_10empty_typeEEEZNS1_10merge_implIS3_NS0_12zip_iteratorINS5_IJN6thrust23THRUST_200600_302600_NS6detail15normal_iteratorINSC_10device_ptrIKjEEEESI_EEEEESK_NSA_INS5_IJNSE_INSF_IjEEEESM_EEEEEPS7_SP_SP_NSC_11hip_rocprim7__merge17predicate_wrapperIjjNSC_7greaterIjEEEEEE10hipError_tPvRmT0_T1_T2_T3_T4_T5_mmT6_P12ihipStream_tbEUlT_E_NS1_11comp_targetILNS1_3genE4ELNS1_11target_archE910ELNS1_3gpuE8ELNS1_3repE0EEENS1_30default_config_static_selectorELNS0_4arch9wavefront6targetE0EEEvS10_.has_indirect_call, 0
	.section	.AMDGPU.csdata,"",@progbits
; Kernel info:
; codeLenInByte = 0
; TotalNumSgprs: 0
; NumVgprs: 0
; ScratchSize: 0
; MemoryBound: 0
; FloatMode: 240
; IeeeMode: 1
; LDSByteSize: 0 bytes/workgroup (compile time only)
; SGPRBlocks: 0
; VGPRBlocks: 0
; NumSGPRsForWavesPerEU: 1
; NumVGPRsForWavesPerEU: 1
; NamedBarCnt: 0
; Occupancy: 16
; WaveLimiterHint : 0
; COMPUTE_PGM_RSRC2:SCRATCH_EN: 0
; COMPUTE_PGM_RSRC2:USER_SGPR: 2
; COMPUTE_PGM_RSRC2:TRAP_HANDLER: 0
; COMPUTE_PGM_RSRC2:TGID_X_EN: 1
; COMPUTE_PGM_RSRC2:TGID_Y_EN: 0
; COMPUTE_PGM_RSRC2:TGID_Z_EN: 0
; COMPUTE_PGM_RSRC2:TIDIG_COMP_CNT: 0
	.section	.text._ZN7rocprim17ROCPRIM_400000_NS6detail17trampoline_kernelINS0_14default_configENS1_21merge_config_selectorINS0_5tupleIJjjEEENS0_10empty_typeEEEZNS1_10merge_implIS3_NS0_12zip_iteratorINS5_IJN6thrust23THRUST_200600_302600_NS6detail15normal_iteratorINSC_10device_ptrIKjEEEESI_EEEEESK_NSA_INS5_IJNSE_INSF_IjEEEESM_EEEEEPS7_SP_SP_NSC_11hip_rocprim7__merge17predicate_wrapperIjjNSC_7greaterIjEEEEEE10hipError_tPvRmT0_T1_T2_T3_T4_T5_mmT6_P12ihipStream_tbEUlT_E_NS1_11comp_targetILNS1_3genE3ELNS1_11target_archE908ELNS1_3gpuE7ELNS1_3repE0EEENS1_30default_config_static_selectorELNS0_4arch9wavefront6targetE0EEEvS10_,"axG",@progbits,_ZN7rocprim17ROCPRIM_400000_NS6detail17trampoline_kernelINS0_14default_configENS1_21merge_config_selectorINS0_5tupleIJjjEEENS0_10empty_typeEEEZNS1_10merge_implIS3_NS0_12zip_iteratorINS5_IJN6thrust23THRUST_200600_302600_NS6detail15normal_iteratorINSC_10device_ptrIKjEEEESI_EEEEESK_NSA_INS5_IJNSE_INSF_IjEEEESM_EEEEEPS7_SP_SP_NSC_11hip_rocprim7__merge17predicate_wrapperIjjNSC_7greaterIjEEEEEE10hipError_tPvRmT0_T1_T2_T3_T4_T5_mmT6_P12ihipStream_tbEUlT_E_NS1_11comp_targetILNS1_3genE3ELNS1_11target_archE908ELNS1_3gpuE7ELNS1_3repE0EEENS1_30default_config_static_selectorELNS0_4arch9wavefront6targetE0EEEvS10_,comdat
	.protected	_ZN7rocprim17ROCPRIM_400000_NS6detail17trampoline_kernelINS0_14default_configENS1_21merge_config_selectorINS0_5tupleIJjjEEENS0_10empty_typeEEEZNS1_10merge_implIS3_NS0_12zip_iteratorINS5_IJN6thrust23THRUST_200600_302600_NS6detail15normal_iteratorINSC_10device_ptrIKjEEEESI_EEEEESK_NSA_INS5_IJNSE_INSF_IjEEEESM_EEEEEPS7_SP_SP_NSC_11hip_rocprim7__merge17predicate_wrapperIjjNSC_7greaterIjEEEEEE10hipError_tPvRmT0_T1_T2_T3_T4_T5_mmT6_P12ihipStream_tbEUlT_E_NS1_11comp_targetILNS1_3genE3ELNS1_11target_archE908ELNS1_3gpuE7ELNS1_3repE0EEENS1_30default_config_static_selectorELNS0_4arch9wavefront6targetE0EEEvS10_ ; -- Begin function _ZN7rocprim17ROCPRIM_400000_NS6detail17trampoline_kernelINS0_14default_configENS1_21merge_config_selectorINS0_5tupleIJjjEEENS0_10empty_typeEEEZNS1_10merge_implIS3_NS0_12zip_iteratorINS5_IJN6thrust23THRUST_200600_302600_NS6detail15normal_iteratorINSC_10device_ptrIKjEEEESI_EEEEESK_NSA_INS5_IJNSE_INSF_IjEEEESM_EEEEEPS7_SP_SP_NSC_11hip_rocprim7__merge17predicate_wrapperIjjNSC_7greaterIjEEEEEE10hipError_tPvRmT0_T1_T2_T3_T4_T5_mmT6_P12ihipStream_tbEUlT_E_NS1_11comp_targetILNS1_3genE3ELNS1_11target_archE908ELNS1_3gpuE7ELNS1_3repE0EEENS1_30default_config_static_selectorELNS0_4arch9wavefront6targetE0EEEvS10_
	.globl	_ZN7rocprim17ROCPRIM_400000_NS6detail17trampoline_kernelINS0_14default_configENS1_21merge_config_selectorINS0_5tupleIJjjEEENS0_10empty_typeEEEZNS1_10merge_implIS3_NS0_12zip_iteratorINS5_IJN6thrust23THRUST_200600_302600_NS6detail15normal_iteratorINSC_10device_ptrIKjEEEESI_EEEEESK_NSA_INS5_IJNSE_INSF_IjEEEESM_EEEEEPS7_SP_SP_NSC_11hip_rocprim7__merge17predicate_wrapperIjjNSC_7greaterIjEEEEEE10hipError_tPvRmT0_T1_T2_T3_T4_T5_mmT6_P12ihipStream_tbEUlT_E_NS1_11comp_targetILNS1_3genE3ELNS1_11target_archE908ELNS1_3gpuE7ELNS1_3repE0EEENS1_30default_config_static_selectorELNS0_4arch9wavefront6targetE0EEEvS10_
	.p2align	8
	.type	_ZN7rocprim17ROCPRIM_400000_NS6detail17trampoline_kernelINS0_14default_configENS1_21merge_config_selectorINS0_5tupleIJjjEEENS0_10empty_typeEEEZNS1_10merge_implIS3_NS0_12zip_iteratorINS5_IJN6thrust23THRUST_200600_302600_NS6detail15normal_iteratorINSC_10device_ptrIKjEEEESI_EEEEESK_NSA_INS5_IJNSE_INSF_IjEEEESM_EEEEEPS7_SP_SP_NSC_11hip_rocprim7__merge17predicate_wrapperIjjNSC_7greaterIjEEEEEE10hipError_tPvRmT0_T1_T2_T3_T4_T5_mmT6_P12ihipStream_tbEUlT_E_NS1_11comp_targetILNS1_3genE3ELNS1_11target_archE908ELNS1_3gpuE7ELNS1_3repE0EEENS1_30default_config_static_selectorELNS0_4arch9wavefront6targetE0EEEvS10_,@function
_ZN7rocprim17ROCPRIM_400000_NS6detail17trampoline_kernelINS0_14default_configENS1_21merge_config_selectorINS0_5tupleIJjjEEENS0_10empty_typeEEEZNS1_10merge_implIS3_NS0_12zip_iteratorINS5_IJN6thrust23THRUST_200600_302600_NS6detail15normal_iteratorINSC_10device_ptrIKjEEEESI_EEEEESK_NSA_INS5_IJNSE_INSF_IjEEEESM_EEEEEPS7_SP_SP_NSC_11hip_rocprim7__merge17predicate_wrapperIjjNSC_7greaterIjEEEEEE10hipError_tPvRmT0_T1_T2_T3_T4_T5_mmT6_P12ihipStream_tbEUlT_E_NS1_11comp_targetILNS1_3genE3ELNS1_11target_archE908ELNS1_3gpuE7ELNS1_3repE0EEENS1_30default_config_static_selectorELNS0_4arch9wavefront6targetE0EEEvS10_: ; @_ZN7rocprim17ROCPRIM_400000_NS6detail17trampoline_kernelINS0_14default_configENS1_21merge_config_selectorINS0_5tupleIJjjEEENS0_10empty_typeEEEZNS1_10merge_implIS3_NS0_12zip_iteratorINS5_IJN6thrust23THRUST_200600_302600_NS6detail15normal_iteratorINSC_10device_ptrIKjEEEESI_EEEEESK_NSA_INS5_IJNSE_INSF_IjEEEESM_EEEEEPS7_SP_SP_NSC_11hip_rocprim7__merge17predicate_wrapperIjjNSC_7greaterIjEEEEEE10hipError_tPvRmT0_T1_T2_T3_T4_T5_mmT6_P12ihipStream_tbEUlT_E_NS1_11comp_targetILNS1_3genE3ELNS1_11target_archE908ELNS1_3gpuE7ELNS1_3repE0EEENS1_30default_config_static_selectorELNS0_4arch9wavefront6targetE0EEEvS10_
; %bb.0:
	.section	.rodata,"a",@progbits
	.p2align	6, 0x0
	.amdhsa_kernel _ZN7rocprim17ROCPRIM_400000_NS6detail17trampoline_kernelINS0_14default_configENS1_21merge_config_selectorINS0_5tupleIJjjEEENS0_10empty_typeEEEZNS1_10merge_implIS3_NS0_12zip_iteratorINS5_IJN6thrust23THRUST_200600_302600_NS6detail15normal_iteratorINSC_10device_ptrIKjEEEESI_EEEEESK_NSA_INS5_IJNSE_INSF_IjEEEESM_EEEEEPS7_SP_SP_NSC_11hip_rocprim7__merge17predicate_wrapperIjjNSC_7greaterIjEEEEEE10hipError_tPvRmT0_T1_T2_T3_T4_T5_mmT6_P12ihipStream_tbEUlT_E_NS1_11comp_targetILNS1_3genE3ELNS1_11target_archE908ELNS1_3gpuE7ELNS1_3repE0EEENS1_30default_config_static_selectorELNS0_4arch9wavefront6targetE0EEEvS10_
		.amdhsa_group_segment_fixed_size 0
		.amdhsa_private_segment_fixed_size 0
		.amdhsa_kernarg_size 64
		.amdhsa_user_sgpr_count 2
		.amdhsa_user_sgpr_dispatch_ptr 0
		.amdhsa_user_sgpr_queue_ptr 0
		.amdhsa_user_sgpr_kernarg_segment_ptr 1
		.amdhsa_user_sgpr_dispatch_id 0
		.amdhsa_user_sgpr_kernarg_preload_length 0
		.amdhsa_user_sgpr_kernarg_preload_offset 0
		.amdhsa_user_sgpr_private_segment_size 0
		.amdhsa_wavefront_size32 1
		.amdhsa_uses_dynamic_stack 0
		.amdhsa_enable_private_segment 0
		.amdhsa_system_sgpr_workgroup_id_x 1
		.amdhsa_system_sgpr_workgroup_id_y 0
		.amdhsa_system_sgpr_workgroup_id_z 0
		.amdhsa_system_sgpr_workgroup_info 0
		.amdhsa_system_vgpr_workitem_id 0
		.amdhsa_next_free_vgpr 1
		.amdhsa_next_free_sgpr 1
		.amdhsa_named_barrier_count 0
		.amdhsa_reserve_vcc 0
		.amdhsa_float_round_mode_32 0
		.amdhsa_float_round_mode_16_64 0
		.amdhsa_float_denorm_mode_32 3
		.amdhsa_float_denorm_mode_16_64 3
		.amdhsa_fp16_overflow 0
		.amdhsa_memory_ordered 1
		.amdhsa_forward_progress 1
		.amdhsa_inst_pref_size 0
		.amdhsa_round_robin_scheduling 0
		.amdhsa_exception_fp_ieee_invalid_op 0
		.amdhsa_exception_fp_denorm_src 0
		.amdhsa_exception_fp_ieee_div_zero 0
		.amdhsa_exception_fp_ieee_overflow 0
		.amdhsa_exception_fp_ieee_underflow 0
		.amdhsa_exception_fp_ieee_inexact 0
		.amdhsa_exception_int_div_zero 0
	.end_amdhsa_kernel
	.section	.text._ZN7rocprim17ROCPRIM_400000_NS6detail17trampoline_kernelINS0_14default_configENS1_21merge_config_selectorINS0_5tupleIJjjEEENS0_10empty_typeEEEZNS1_10merge_implIS3_NS0_12zip_iteratorINS5_IJN6thrust23THRUST_200600_302600_NS6detail15normal_iteratorINSC_10device_ptrIKjEEEESI_EEEEESK_NSA_INS5_IJNSE_INSF_IjEEEESM_EEEEEPS7_SP_SP_NSC_11hip_rocprim7__merge17predicate_wrapperIjjNSC_7greaterIjEEEEEE10hipError_tPvRmT0_T1_T2_T3_T4_T5_mmT6_P12ihipStream_tbEUlT_E_NS1_11comp_targetILNS1_3genE3ELNS1_11target_archE908ELNS1_3gpuE7ELNS1_3repE0EEENS1_30default_config_static_selectorELNS0_4arch9wavefront6targetE0EEEvS10_,"axG",@progbits,_ZN7rocprim17ROCPRIM_400000_NS6detail17trampoline_kernelINS0_14default_configENS1_21merge_config_selectorINS0_5tupleIJjjEEENS0_10empty_typeEEEZNS1_10merge_implIS3_NS0_12zip_iteratorINS5_IJN6thrust23THRUST_200600_302600_NS6detail15normal_iteratorINSC_10device_ptrIKjEEEESI_EEEEESK_NSA_INS5_IJNSE_INSF_IjEEEESM_EEEEEPS7_SP_SP_NSC_11hip_rocprim7__merge17predicate_wrapperIjjNSC_7greaterIjEEEEEE10hipError_tPvRmT0_T1_T2_T3_T4_T5_mmT6_P12ihipStream_tbEUlT_E_NS1_11comp_targetILNS1_3genE3ELNS1_11target_archE908ELNS1_3gpuE7ELNS1_3repE0EEENS1_30default_config_static_selectorELNS0_4arch9wavefront6targetE0EEEvS10_,comdat
.Lfunc_end374:
	.size	_ZN7rocprim17ROCPRIM_400000_NS6detail17trampoline_kernelINS0_14default_configENS1_21merge_config_selectorINS0_5tupleIJjjEEENS0_10empty_typeEEEZNS1_10merge_implIS3_NS0_12zip_iteratorINS5_IJN6thrust23THRUST_200600_302600_NS6detail15normal_iteratorINSC_10device_ptrIKjEEEESI_EEEEESK_NSA_INS5_IJNSE_INSF_IjEEEESM_EEEEEPS7_SP_SP_NSC_11hip_rocprim7__merge17predicate_wrapperIjjNSC_7greaterIjEEEEEE10hipError_tPvRmT0_T1_T2_T3_T4_T5_mmT6_P12ihipStream_tbEUlT_E_NS1_11comp_targetILNS1_3genE3ELNS1_11target_archE908ELNS1_3gpuE7ELNS1_3repE0EEENS1_30default_config_static_selectorELNS0_4arch9wavefront6targetE0EEEvS10_, .Lfunc_end374-_ZN7rocprim17ROCPRIM_400000_NS6detail17trampoline_kernelINS0_14default_configENS1_21merge_config_selectorINS0_5tupleIJjjEEENS0_10empty_typeEEEZNS1_10merge_implIS3_NS0_12zip_iteratorINS5_IJN6thrust23THRUST_200600_302600_NS6detail15normal_iteratorINSC_10device_ptrIKjEEEESI_EEEEESK_NSA_INS5_IJNSE_INSF_IjEEEESM_EEEEEPS7_SP_SP_NSC_11hip_rocprim7__merge17predicate_wrapperIjjNSC_7greaterIjEEEEEE10hipError_tPvRmT0_T1_T2_T3_T4_T5_mmT6_P12ihipStream_tbEUlT_E_NS1_11comp_targetILNS1_3genE3ELNS1_11target_archE908ELNS1_3gpuE7ELNS1_3repE0EEENS1_30default_config_static_selectorELNS0_4arch9wavefront6targetE0EEEvS10_
                                        ; -- End function
	.set _ZN7rocprim17ROCPRIM_400000_NS6detail17trampoline_kernelINS0_14default_configENS1_21merge_config_selectorINS0_5tupleIJjjEEENS0_10empty_typeEEEZNS1_10merge_implIS3_NS0_12zip_iteratorINS5_IJN6thrust23THRUST_200600_302600_NS6detail15normal_iteratorINSC_10device_ptrIKjEEEESI_EEEEESK_NSA_INS5_IJNSE_INSF_IjEEEESM_EEEEEPS7_SP_SP_NSC_11hip_rocprim7__merge17predicate_wrapperIjjNSC_7greaterIjEEEEEE10hipError_tPvRmT0_T1_T2_T3_T4_T5_mmT6_P12ihipStream_tbEUlT_E_NS1_11comp_targetILNS1_3genE3ELNS1_11target_archE908ELNS1_3gpuE7ELNS1_3repE0EEENS1_30default_config_static_selectorELNS0_4arch9wavefront6targetE0EEEvS10_.num_vgpr, 0
	.set _ZN7rocprim17ROCPRIM_400000_NS6detail17trampoline_kernelINS0_14default_configENS1_21merge_config_selectorINS0_5tupleIJjjEEENS0_10empty_typeEEEZNS1_10merge_implIS3_NS0_12zip_iteratorINS5_IJN6thrust23THRUST_200600_302600_NS6detail15normal_iteratorINSC_10device_ptrIKjEEEESI_EEEEESK_NSA_INS5_IJNSE_INSF_IjEEEESM_EEEEEPS7_SP_SP_NSC_11hip_rocprim7__merge17predicate_wrapperIjjNSC_7greaterIjEEEEEE10hipError_tPvRmT0_T1_T2_T3_T4_T5_mmT6_P12ihipStream_tbEUlT_E_NS1_11comp_targetILNS1_3genE3ELNS1_11target_archE908ELNS1_3gpuE7ELNS1_3repE0EEENS1_30default_config_static_selectorELNS0_4arch9wavefront6targetE0EEEvS10_.num_agpr, 0
	.set _ZN7rocprim17ROCPRIM_400000_NS6detail17trampoline_kernelINS0_14default_configENS1_21merge_config_selectorINS0_5tupleIJjjEEENS0_10empty_typeEEEZNS1_10merge_implIS3_NS0_12zip_iteratorINS5_IJN6thrust23THRUST_200600_302600_NS6detail15normal_iteratorINSC_10device_ptrIKjEEEESI_EEEEESK_NSA_INS5_IJNSE_INSF_IjEEEESM_EEEEEPS7_SP_SP_NSC_11hip_rocprim7__merge17predicate_wrapperIjjNSC_7greaterIjEEEEEE10hipError_tPvRmT0_T1_T2_T3_T4_T5_mmT6_P12ihipStream_tbEUlT_E_NS1_11comp_targetILNS1_3genE3ELNS1_11target_archE908ELNS1_3gpuE7ELNS1_3repE0EEENS1_30default_config_static_selectorELNS0_4arch9wavefront6targetE0EEEvS10_.numbered_sgpr, 0
	.set _ZN7rocprim17ROCPRIM_400000_NS6detail17trampoline_kernelINS0_14default_configENS1_21merge_config_selectorINS0_5tupleIJjjEEENS0_10empty_typeEEEZNS1_10merge_implIS3_NS0_12zip_iteratorINS5_IJN6thrust23THRUST_200600_302600_NS6detail15normal_iteratorINSC_10device_ptrIKjEEEESI_EEEEESK_NSA_INS5_IJNSE_INSF_IjEEEESM_EEEEEPS7_SP_SP_NSC_11hip_rocprim7__merge17predicate_wrapperIjjNSC_7greaterIjEEEEEE10hipError_tPvRmT0_T1_T2_T3_T4_T5_mmT6_P12ihipStream_tbEUlT_E_NS1_11comp_targetILNS1_3genE3ELNS1_11target_archE908ELNS1_3gpuE7ELNS1_3repE0EEENS1_30default_config_static_selectorELNS0_4arch9wavefront6targetE0EEEvS10_.num_named_barrier, 0
	.set _ZN7rocprim17ROCPRIM_400000_NS6detail17trampoline_kernelINS0_14default_configENS1_21merge_config_selectorINS0_5tupleIJjjEEENS0_10empty_typeEEEZNS1_10merge_implIS3_NS0_12zip_iteratorINS5_IJN6thrust23THRUST_200600_302600_NS6detail15normal_iteratorINSC_10device_ptrIKjEEEESI_EEEEESK_NSA_INS5_IJNSE_INSF_IjEEEESM_EEEEEPS7_SP_SP_NSC_11hip_rocprim7__merge17predicate_wrapperIjjNSC_7greaterIjEEEEEE10hipError_tPvRmT0_T1_T2_T3_T4_T5_mmT6_P12ihipStream_tbEUlT_E_NS1_11comp_targetILNS1_3genE3ELNS1_11target_archE908ELNS1_3gpuE7ELNS1_3repE0EEENS1_30default_config_static_selectorELNS0_4arch9wavefront6targetE0EEEvS10_.private_seg_size, 0
	.set _ZN7rocprim17ROCPRIM_400000_NS6detail17trampoline_kernelINS0_14default_configENS1_21merge_config_selectorINS0_5tupleIJjjEEENS0_10empty_typeEEEZNS1_10merge_implIS3_NS0_12zip_iteratorINS5_IJN6thrust23THRUST_200600_302600_NS6detail15normal_iteratorINSC_10device_ptrIKjEEEESI_EEEEESK_NSA_INS5_IJNSE_INSF_IjEEEESM_EEEEEPS7_SP_SP_NSC_11hip_rocprim7__merge17predicate_wrapperIjjNSC_7greaterIjEEEEEE10hipError_tPvRmT0_T1_T2_T3_T4_T5_mmT6_P12ihipStream_tbEUlT_E_NS1_11comp_targetILNS1_3genE3ELNS1_11target_archE908ELNS1_3gpuE7ELNS1_3repE0EEENS1_30default_config_static_selectorELNS0_4arch9wavefront6targetE0EEEvS10_.uses_vcc, 0
	.set _ZN7rocprim17ROCPRIM_400000_NS6detail17trampoline_kernelINS0_14default_configENS1_21merge_config_selectorINS0_5tupleIJjjEEENS0_10empty_typeEEEZNS1_10merge_implIS3_NS0_12zip_iteratorINS5_IJN6thrust23THRUST_200600_302600_NS6detail15normal_iteratorINSC_10device_ptrIKjEEEESI_EEEEESK_NSA_INS5_IJNSE_INSF_IjEEEESM_EEEEEPS7_SP_SP_NSC_11hip_rocprim7__merge17predicate_wrapperIjjNSC_7greaterIjEEEEEE10hipError_tPvRmT0_T1_T2_T3_T4_T5_mmT6_P12ihipStream_tbEUlT_E_NS1_11comp_targetILNS1_3genE3ELNS1_11target_archE908ELNS1_3gpuE7ELNS1_3repE0EEENS1_30default_config_static_selectorELNS0_4arch9wavefront6targetE0EEEvS10_.uses_flat_scratch, 0
	.set _ZN7rocprim17ROCPRIM_400000_NS6detail17trampoline_kernelINS0_14default_configENS1_21merge_config_selectorINS0_5tupleIJjjEEENS0_10empty_typeEEEZNS1_10merge_implIS3_NS0_12zip_iteratorINS5_IJN6thrust23THRUST_200600_302600_NS6detail15normal_iteratorINSC_10device_ptrIKjEEEESI_EEEEESK_NSA_INS5_IJNSE_INSF_IjEEEESM_EEEEEPS7_SP_SP_NSC_11hip_rocprim7__merge17predicate_wrapperIjjNSC_7greaterIjEEEEEE10hipError_tPvRmT0_T1_T2_T3_T4_T5_mmT6_P12ihipStream_tbEUlT_E_NS1_11comp_targetILNS1_3genE3ELNS1_11target_archE908ELNS1_3gpuE7ELNS1_3repE0EEENS1_30default_config_static_selectorELNS0_4arch9wavefront6targetE0EEEvS10_.has_dyn_sized_stack, 0
	.set _ZN7rocprim17ROCPRIM_400000_NS6detail17trampoline_kernelINS0_14default_configENS1_21merge_config_selectorINS0_5tupleIJjjEEENS0_10empty_typeEEEZNS1_10merge_implIS3_NS0_12zip_iteratorINS5_IJN6thrust23THRUST_200600_302600_NS6detail15normal_iteratorINSC_10device_ptrIKjEEEESI_EEEEESK_NSA_INS5_IJNSE_INSF_IjEEEESM_EEEEEPS7_SP_SP_NSC_11hip_rocprim7__merge17predicate_wrapperIjjNSC_7greaterIjEEEEEE10hipError_tPvRmT0_T1_T2_T3_T4_T5_mmT6_P12ihipStream_tbEUlT_E_NS1_11comp_targetILNS1_3genE3ELNS1_11target_archE908ELNS1_3gpuE7ELNS1_3repE0EEENS1_30default_config_static_selectorELNS0_4arch9wavefront6targetE0EEEvS10_.has_recursion, 0
	.set _ZN7rocprim17ROCPRIM_400000_NS6detail17trampoline_kernelINS0_14default_configENS1_21merge_config_selectorINS0_5tupleIJjjEEENS0_10empty_typeEEEZNS1_10merge_implIS3_NS0_12zip_iteratorINS5_IJN6thrust23THRUST_200600_302600_NS6detail15normal_iteratorINSC_10device_ptrIKjEEEESI_EEEEESK_NSA_INS5_IJNSE_INSF_IjEEEESM_EEEEEPS7_SP_SP_NSC_11hip_rocprim7__merge17predicate_wrapperIjjNSC_7greaterIjEEEEEE10hipError_tPvRmT0_T1_T2_T3_T4_T5_mmT6_P12ihipStream_tbEUlT_E_NS1_11comp_targetILNS1_3genE3ELNS1_11target_archE908ELNS1_3gpuE7ELNS1_3repE0EEENS1_30default_config_static_selectorELNS0_4arch9wavefront6targetE0EEEvS10_.has_indirect_call, 0
	.section	.AMDGPU.csdata,"",@progbits
; Kernel info:
; codeLenInByte = 0
; TotalNumSgprs: 0
; NumVgprs: 0
; ScratchSize: 0
; MemoryBound: 0
; FloatMode: 240
; IeeeMode: 1
; LDSByteSize: 0 bytes/workgroup (compile time only)
; SGPRBlocks: 0
; VGPRBlocks: 0
; NumSGPRsForWavesPerEU: 1
; NumVGPRsForWavesPerEU: 1
; NamedBarCnt: 0
; Occupancy: 16
; WaveLimiterHint : 0
; COMPUTE_PGM_RSRC2:SCRATCH_EN: 0
; COMPUTE_PGM_RSRC2:USER_SGPR: 2
; COMPUTE_PGM_RSRC2:TRAP_HANDLER: 0
; COMPUTE_PGM_RSRC2:TGID_X_EN: 1
; COMPUTE_PGM_RSRC2:TGID_Y_EN: 0
; COMPUTE_PGM_RSRC2:TGID_Z_EN: 0
; COMPUTE_PGM_RSRC2:TIDIG_COMP_CNT: 0
	.section	.text._ZN7rocprim17ROCPRIM_400000_NS6detail17trampoline_kernelINS0_14default_configENS1_21merge_config_selectorINS0_5tupleIJjjEEENS0_10empty_typeEEEZNS1_10merge_implIS3_NS0_12zip_iteratorINS5_IJN6thrust23THRUST_200600_302600_NS6detail15normal_iteratorINSC_10device_ptrIKjEEEESI_EEEEESK_NSA_INS5_IJNSE_INSF_IjEEEESM_EEEEEPS7_SP_SP_NSC_11hip_rocprim7__merge17predicate_wrapperIjjNSC_7greaterIjEEEEEE10hipError_tPvRmT0_T1_T2_T3_T4_T5_mmT6_P12ihipStream_tbEUlT_E_NS1_11comp_targetILNS1_3genE2ELNS1_11target_archE906ELNS1_3gpuE6ELNS1_3repE0EEENS1_30default_config_static_selectorELNS0_4arch9wavefront6targetE0EEEvS10_,"axG",@progbits,_ZN7rocprim17ROCPRIM_400000_NS6detail17trampoline_kernelINS0_14default_configENS1_21merge_config_selectorINS0_5tupleIJjjEEENS0_10empty_typeEEEZNS1_10merge_implIS3_NS0_12zip_iteratorINS5_IJN6thrust23THRUST_200600_302600_NS6detail15normal_iteratorINSC_10device_ptrIKjEEEESI_EEEEESK_NSA_INS5_IJNSE_INSF_IjEEEESM_EEEEEPS7_SP_SP_NSC_11hip_rocprim7__merge17predicate_wrapperIjjNSC_7greaterIjEEEEEE10hipError_tPvRmT0_T1_T2_T3_T4_T5_mmT6_P12ihipStream_tbEUlT_E_NS1_11comp_targetILNS1_3genE2ELNS1_11target_archE906ELNS1_3gpuE6ELNS1_3repE0EEENS1_30default_config_static_selectorELNS0_4arch9wavefront6targetE0EEEvS10_,comdat
	.protected	_ZN7rocprim17ROCPRIM_400000_NS6detail17trampoline_kernelINS0_14default_configENS1_21merge_config_selectorINS0_5tupleIJjjEEENS0_10empty_typeEEEZNS1_10merge_implIS3_NS0_12zip_iteratorINS5_IJN6thrust23THRUST_200600_302600_NS6detail15normal_iteratorINSC_10device_ptrIKjEEEESI_EEEEESK_NSA_INS5_IJNSE_INSF_IjEEEESM_EEEEEPS7_SP_SP_NSC_11hip_rocprim7__merge17predicate_wrapperIjjNSC_7greaterIjEEEEEE10hipError_tPvRmT0_T1_T2_T3_T4_T5_mmT6_P12ihipStream_tbEUlT_E_NS1_11comp_targetILNS1_3genE2ELNS1_11target_archE906ELNS1_3gpuE6ELNS1_3repE0EEENS1_30default_config_static_selectorELNS0_4arch9wavefront6targetE0EEEvS10_ ; -- Begin function _ZN7rocprim17ROCPRIM_400000_NS6detail17trampoline_kernelINS0_14default_configENS1_21merge_config_selectorINS0_5tupleIJjjEEENS0_10empty_typeEEEZNS1_10merge_implIS3_NS0_12zip_iteratorINS5_IJN6thrust23THRUST_200600_302600_NS6detail15normal_iteratorINSC_10device_ptrIKjEEEESI_EEEEESK_NSA_INS5_IJNSE_INSF_IjEEEESM_EEEEEPS7_SP_SP_NSC_11hip_rocprim7__merge17predicate_wrapperIjjNSC_7greaterIjEEEEEE10hipError_tPvRmT0_T1_T2_T3_T4_T5_mmT6_P12ihipStream_tbEUlT_E_NS1_11comp_targetILNS1_3genE2ELNS1_11target_archE906ELNS1_3gpuE6ELNS1_3repE0EEENS1_30default_config_static_selectorELNS0_4arch9wavefront6targetE0EEEvS10_
	.globl	_ZN7rocprim17ROCPRIM_400000_NS6detail17trampoline_kernelINS0_14default_configENS1_21merge_config_selectorINS0_5tupleIJjjEEENS0_10empty_typeEEEZNS1_10merge_implIS3_NS0_12zip_iteratorINS5_IJN6thrust23THRUST_200600_302600_NS6detail15normal_iteratorINSC_10device_ptrIKjEEEESI_EEEEESK_NSA_INS5_IJNSE_INSF_IjEEEESM_EEEEEPS7_SP_SP_NSC_11hip_rocprim7__merge17predicate_wrapperIjjNSC_7greaterIjEEEEEE10hipError_tPvRmT0_T1_T2_T3_T4_T5_mmT6_P12ihipStream_tbEUlT_E_NS1_11comp_targetILNS1_3genE2ELNS1_11target_archE906ELNS1_3gpuE6ELNS1_3repE0EEENS1_30default_config_static_selectorELNS0_4arch9wavefront6targetE0EEEvS10_
	.p2align	8
	.type	_ZN7rocprim17ROCPRIM_400000_NS6detail17trampoline_kernelINS0_14default_configENS1_21merge_config_selectorINS0_5tupleIJjjEEENS0_10empty_typeEEEZNS1_10merge_implIS3_NS0_12zip_iteratorINS5_IJN6thrust23THRUST_200600_302600_NS6detail15normal_iteratorINSC_10device_ptrIKjEEEESI_EEEEESK_NSA_INS5_IJNSE_INSF_IjEEEESM_EEEEEPS7_SP_SP_NSC_11hip_rocprim7__merge17predicate_wrapperIjjNSC_7greaterIjEEEEEE10hipError_tPvRmT0_T1_T2_T3_T4_T5_mmT6_P12ihipStream_tbEUlT_E_NS1_11comp_targetILNS1_3genE2ELNS1_11target_archE906ELNS1_3gpuE6ELNS1_3repE0EEENS1_30default_config_static_selectorELNS0_4arch9wavefront6targetE0EEEvS10_,@function
_ZN7rocprim17ROCPRIM_400000_NS6detail17trampoline_kernelINS0_14default_configENS1_21merge_config_selectorINS0_5tupleIJjjEEENS0_10empty_typeEEEZNS1_10merge_implIS3_NS0_12zip_iteratorINS5_IJN6thrust23THRUST_200600_302600_NS6detail15normal_iteratorINSC_10device_ptrIKjEEEESI_EEEEESK_NSA_INS5_IJNSE_INSF_IjEEEESM_EEEEEPS7_SP_SP_NSC_11hip_rocprim7__merge17predicate_wrapperIjjNSC_7greaterIjEEEEEE10hipError_tPvRmT0_T1_T2_T3_T4_T5_mmT6_P12ihipStream_tbEUlT_E_NS1_11comp_targetILNS1_3genE2ELNS1_11target_archE906ELNS1_3gpuE6ELNS1_3repE0EEENS1_30default_config_static_selectorELNS0_4arch9wavefront6targetE0EEEvS10_: ; @_ZN7rocprim17ROCPRIM_400000_NS6detail17trampoline_kernelINS0_14default_configENS1_21merge_config_selectorINS0_5tupleIJjjEEENS0_10empty_typeEEEZNS1_10merge_implIS3_NS0_12zip_iteratorINS5_IJN6thrust23THRUST_200600_302600_NS6detail15normal_iteratorINSC_10device_ptrIKjEEEESI_EEEEESK_NSA_INS5_IJNSE_INSF_IjEEEESM_EEEEEPS7_SP_SP_NSC_11hip_rocprim7__merge17predicate_wrapperIjjNSC_7greaterIjEEEEEE10hipError_tPvRmT0_T1_T2_T3_T4_T5_mmT6_P12ihipStream_tbEUlT_E_NS1_11comp_targetILNS1_3genE2ELNS1_11target_archE906ELNS1_3gpuE6ELNS1_3repE0EEENS1_30default_config_static_selectorELNS0_4arch9wavefront6targetE0EEEvS10_
; %bb.0:
	.section	.rodata,"a",@progbits
	.p2align	6, 0x0
	.amdhsa_kernel _ZN7rocprim17ROCPRIM_400000_NS6detail17trampoline_kernelINS0_14default_configENS1_21merge_config_selectorINS0_5tupleIJjjEEENS0_10empty_typeEEEZNS1_10merge_implIS3_NS0_12zip_iteratorINS5_IJN6thrust23THRUST_200600_302600_NS6detail15normal_iteratorINSC_10device_ptrIKjEEEESI_EEEEESK_NSA_INS5_IJNSE_INSF_IjEEEESM_EEEEEPS7_SP_SP_NSC_11hip_rocprim7__merge17predicate_wrapperIjjNSC_7greaterIjEEEEEE10hipError_tPvRmT0_T1_T2_T3_T4_T5_mmT6_P12ihipStream_tbEUlT_E_NS1_11comp_targetILNS1_3genE2ELNS1_11target_archE906ELNS1_3gpuE6ELNS1_3repE0EEENS1_30default_config_static_selectorELNS0_4arch9wavefront6targetE0EEEvS10_
		.amdhsa_group_segment_fixed_size 0
		.amdhsa_private_segment_fixed_size 0
		.amdhsa_kernarg_size 64
		.amdhsa_user_sgpr_count 2
		.amdhsa_user_sgpr_dispatch_ptr 0
		.amdhsa_user_sgpr_queue_ptr 0
		.amdhsa_user_sgpr_kernarg_segment_ptr 1
		.amdhsa_user_sgpr_dispatch_id 0
		.amdhsa_user_sgpr_kernarg_preload_length 0
		.amdhsa_user_sgpr_kernarg_preload_offset 0
		.amdhsa_user_sgpr_private_segment_size 0
		.amdhsa_wavefront_size32 1
		.amdhsa_uses_dynamic_stack 0
		.amdhsa_enable_private_segment 0
		.amdhsa_system_sgpr_workgroup_id_x 1
		.amdhsa_system_sgpr_workgroup_id_y 0
		.amdhsa_system_sgpr_workgroup_id_z 0
		.amdhsa_system_sgpr_workgroup_info 0
		.amdhsa_system_vgpr_workitem_id 0
		.amdhsa_next_free_vgpr 1
		.amdhsa_next_free_sgpr 1
		.amdhsa_named_barrier_count 0
		.amdhsa_reserve_vcc 0
		.amdhsa_float_round_mode_32 0
		.amdhsa_float_round_mode_16_64 0
		.amdhsa_float_denorm_mode_32 3
		.amdhsa_float_denorm_mode_16_64 3
		.amdhsa_fp16_overflow 0
		.amdhsa_memory_ordered 1
		.amdhsa_forward_progress 1
		.amdhsa_inst_pref_size 0
		.amdhsa_round_robin_scheduling 0
		.amdhsa_exception_fp_ieee_invalid_op 0
		.amdhsa_exception_fp_denorm_src 0
		.amdhsa_exception_fp_ieee_div_zero 0
		.amdhsa_exception_fp_ieee_overflow 0
		.amdhsa_exception_fp_ieee_underflow 0
		.amdhsa_exception_fp_ieee_inexact 0
		.amdhsa_exception_int_div_zero 0
	.end_amdhsa_kernel
	.section	.text._ZN7rocprim17ROCPRIM_400000_NS6detail17trampoline_kernelINS0_14default_configENS1_21merge_config_selectorINS0_5tupleIJjjEEENS0_10empty_typeEEEZNS1_10merge_implIS3_NS0_12zip_iteratorINS5_IJN6thrust23THRUST_200600_302600_NS6detail15normal_iteratorINSC_10device_ptrIKjEEEESI_EEEEESK_NSA_INS5_IJNSE_INSF_IjEEEESM_EEEEEPS7_SP_SP_NSC_11hip_rocprim7__merge17predicate_wrapperIjjNSC_7greaterIjEEEEEE10hipError_tPvRmT0_T1_T2_T3_T4_T5_mmT6_P12ihipStream_tbEUlT_E_NS1_11comp_targetILNS1_3genE2ELNS1_11target_archE906ELNS1_3gpuE6ELNS1_3repE0EEENS1_30default_config_static_selectorELNS0_4arch9wavefront6targetE0EEEvS10_,"axG",@progbits,_ZN7rocprim17ROCPRIM_400000_NS6detail17trampoline_kernelINS0_14default_configENS1_21merge_config_selectorINS0_5tupleIJjjEEENS0_10empty_typeEEEZNS1_10merge_implIS3_NS0_12zip_iteratorINS5_IJN6thrust23THRUST_200600_302600_NS6detail15normal_iteratorINSC_10device_ptrIKjEEEESI_EEEEESK_NSA_INS5_IJNSE_INSF_IjEEEESM_EEEEEPS7_SP_SP_NSC_11hip_rocprim7__merge17predicate_wrapperIjjNSC_7greaterIjEEEEEE10hipError_tPvRmT0_T1_T2_T3_T4_T5_mmT6_P12ihipStream_tbEUlT_E_NS1_11comp_targetILNS1_3genE2ELNS1_11target_archE906ELNS1_3gpuE6ELNS1_3repE0EEENS1_30default_config_static_selectorELNS0_4arch9wavefront6targetE0EEEvS10_,comdat
.Lfunc_end375:
	.size	_ZN7rocprim17ROCPRIM_400000_NS6detail17trampoline_kernelINS0_14default_configENS1_21merge_config_selectorINS0_5tupleIJjjEEENS0_10empty_typeEEEZNS1_10merge_implIS3_NS0_12zip_iteratorINS5_IJN6thrust23THRUST_200600_302600_NS6detail15normal_iteratorINSC_10device_ptrIKjEEEESI_EEEEESK_NSA_INS5_IJNSE_INSF_IjEEEESM_EEEEEPS7_SP_SP_NSC_11hip_rocprim7__merge17predicate_wrapperIjjNSC_7greaterIjEEEEEE10hipError_tPvRmT0_T1_T2_T3_T4_T5_mmT6_P12ihipStream_tbEUlT_E_NS1_11comp_targetILNS1_3genE2ELNS1_11target_archE906ELNS1_3gpuE6ELNS1_3repE0EEENS1_30default_config_static_selectorELNS0_4arch9wavefront6targetE0EEEvS10_, .Lfunc_end375-_ZN7rocprim17ROCPRIM_400000_NS6detail17trampoline_kernelINS0_14default_configENS1_21merge_config_selectorINS0_5tupleIJjjEEENS0_10empty_typeEEEZNS1_10merge_implIS3_NS0_12zip_iteratorINS5_IJN6thrust23THRUST_200600_302600_NS6detail15normal_iteratorINSC_10device_ptrIKjEEEESI_EEEEESK_NSA_INS5_IJNSE_INSF_IjEEEESM_EEEEEPS7_SP_SP_NSC_11hip_rocprim7__merge17predicate_wrapperIjjNSC_7greaterIjEEEEEE10hipError_tPvRmT0_T1_T2_T3_T4_T5_mmT6_P12ihipStream_tbEUlT_E_NS1_11comp_targetILNS1_3genE2ELNS1_11target_archE906ELNS1_3gpuE6ELNS1_3repE0EEENS1_30default_config_static_selectorELNS0_4arch9wavefront6targetE0EEEvS10_
                                        ; -- End function
	.set _ZN7rocprim17ROCPRIM_400000_NS6detail17trampoline_kernelINS0_14default_configENS1_21merge_config_selectorINS0_5tupleIJjjEEENS0_10empty_typeEEEZNS1_10merge_implIS3_NS0_12zip_iteratorINS5_IJN6thrust23THRUST_200600_302600_NS6detail15normal_iteratorINSC_10device_ptrIKjEEEESI_EEEEESK_NSA_INS5_IJNSE_INSF_IjEEEESM_EEEEEPS7_SP_SP_NSC_11hip_rocprim7__merge17predicate_wrapperIjjNSC_7greaterIjEEEEEE10hipError_tPvRmT0_T1_T2_T3_T4_T5_mmT6_P12ihipStream_tbEUlT_E_NS1_11comp_targetILNS1_3genE2ELNS1_11target_archE906ELNS1_3gpuE6ELNS1_3repE0EEENS1_30default_config_static_selectorELNS0_4arch9wavefront6targetE0EEEvS10_.num_vgpr, 0
	.set _ZN7rocprim17ROCPRIM_400000_NS6detail17trampoline_kernelINS0_14default_configENS1_21merge_config_selectorINS0_5tupleIJjjEEENS0_10empty_typeEEEZNS1_10merge_implIS3_NS0_12zip_iteratorINS5_IJN6thrust23THRUST_200600_302600_NS6detail15normal_iteratorINSC_10device_ptrIKjEEEESI_EEEEESK_NSA_INS5_IJNSE_INSF_IjEEEESM_EEEEEPS7_SP_SP_NSC_11hip_rocprim7__merge17predicate_wrapperIjjNSC_7greaterIjEEEEEE10hipError_tPvRmT0_T1_T2_T3_T4_T5_mmT6_P12ihipStream_tbEUlT_E_NS1_11comp_targetILNS1_3genE2ELNS1_11target_archE906ELNS1_3gpuE6ELNS1_3repE0EEENS1_30default_config_static_selectorELNS0_4arch9wavefront6targetE0EEEvS10_.num_agpr, 0
	.set _ZN7rocprim17ROCPRIM_400000_NS6detail17trampoline_kernelINS0_14default_configENS1_21merge_config_selectorINS0_5tupleIJjjEEENS0_10empty_typeEEEZNS1_10merge_implIS3_NS0_12zip_iteratorINS5_IJN6thrust23THRUST_200600_302600_NS6detail15normal_iteratorINSC_10device_ptrIKjEEEESI_EEEEESK_NSA_INS5_IJNSE_INSF_IjEEEESM_EEEEEPS7_SP_SP_NSC_11hip_rocprim7__merge17predicate_wrapperIjjNSC_7greaterIjEEEEEE10hipError_tPvRmT0_T1_T2_T3_T4_T5_mmT6_P12ihipStream_tbEUlT_E_NS1_11comp_targetILNS1_3genE2ELNS1_11target_archE906ELNS1_3gpuE6ELNS1_3repE0EEENS1_30default_config_static_selectorELNS0_4arch9wavefront6targetE0EEEvS10_.numbered_sgpr, 0
	.set _ZN7rocprim17ROCPRIM_400000_NS6detail17trampoline_kernelINS0_14default_configENS1_21merge_config_selectorINS0_5tupleIJjjEEENS0_10empty_typeEEEZNS1_10merge_implIS3_NS0_12zip_iteratorINS5_IJN6thrust23THRUST_200600_302600_NS6detail15normal_iteratorINSC_10device_ptrIKjEEEESI_EEEEESK_NSA_INS5_IJNSE_INSF_IjEEEESM_EEEEEPS7_SP_SP_NSC_11hip_rocprim7__merge17predicate_wrapperIjjNSC_7greaterIjEEEEEE10hipError_tPvRmT0_T1_T2_T3_T4_T5_mmT6_P12ihipStream_tbEUlT_E_NS1_11comp_targetILNS1_3genE2ELNS1_11target_archE906ELNS1_3gpuE6ELNS1_3repE0EEENS1_30default_config_static_selectorELNS0_4arch9wavefront6targetE0EEEvS10_.num_named_barrier, 0
	.set _ZN7rocprim17ROCPRIM_400000_NS6detail17trampoline_kernelINS0_14default_configENS1_21merge_config_selectorINS0_5tupleIJjjEEENS0_10empty_typeEEEZNS1_10merge_implIS3_NS0_12zip_iteratorINS5_IJN6thrust23THRUST_200600_302600_NS6detail15normal_iteratorINSC_10device_ptrIKjEEEESI_EEEEESK_NSA_INS5_IJNSE_INSF_IjEEEESM_EEEEEPS7_SP_SP_NSC_11hip_rocprim7__merge17predicate_wrapperIjjNSC_7greaterIjEEEEEE10hipError_tPvRmT0_T1_T2_T3_T4_T5_mmT6_P12ihipStream_tbEUlT_E_NS1_11comp_targetILNS1_3genE2ELNS1_11target_archE906ELNS1_3gpuE6ELNS1_3repE0EEENS1_30default_config_static_selectorELNS0_4arch9wavefront6targetE0EEEvS10_.private_seg_size, 0
	.set _ZN7rocprim17ROCPRIM_400000_NS6detail17trampoline_kernelINS0_14default_configENS1_21merge_config_selectorINS0_5tupleIJjjEEENS0_10empty_typeEEEZNS1_10merge_implIS3_NS0_12zip_iteratorINS5_IJN6thrust23THRUST_200600_302600_NS6detail15normal_iteratorINSC_10device_ptrIKjEEEESI_EEEEESK_NSA_INS5_IJNSE_INSF_IjEEEESM_EEEEEPS7_SP_SP_NSC_11hip_rocprim7__merge17predicate_wrapperIjjNSC_7greaterIjEEEEEE10hipError_tPvRmT0_T1_T2_T3_T4_T5_mmT6_P12ihipStream_tbEUlT_E_NS1_11comp_targetILNS1_3genE2ELNS1_11target_archE906ELNS1_3gpuE6ELNS1_3repE0EEENS1_30default_config_static_selectorELNS0_4arch9wavefront6targetE0EEEvS10_.uses_vcc, 0
	.set _ZN7rocprim17ROCPRIM_400000_NS6detail17trampoline_kernelINS0_14default_configENS1_21merge_config_selectorINS0_5tupleIJjjEEENS0_10empty_typeEEEZNS1_10merge_implIS3_NS0_12zip_iteratorINS5_IJN6thrust23THRUST_200600_302600_NS6detail15normal_iteratorINSC_10device_ptrIKjEEEESI_EEEEESK_NSA_INS5_IJNSE_INSF_IjEEEESM_EEEEEPS7_SP_SP_NSC_11hip_rocprim7__merge17predicate_wrapperIjjNSC_7greaterIjEEEEEE10hipError_tPvRmT0_T1_T2_T3_T4_T5_mmT6_P12ihipStream_tbEUlT_E_NS1_11comp_targetILNS1_3genE2ELNS1_11target_archE906ELNS1_3gpuE6ELNS1_3repE0EEENS1_30default_config_static_selectorELNS0_4arch9wavefront6targetE0EEEvS10_.uses_flat_scratch, 0
	.set _ZN7rocprim17ROCPRIM_400000_NS6detail17trampoline_kernelINS0_14default_configENS1_21merge_config_selectorINS0_5tupleIJjjEEENS0_10empty_typeEEEZNS1_10merge_implIS3_NS0_12zip_iteratorINS5_IJN6thrust23THRUST_200600_302600_NS6detail15normal_iteratorINSC_10device_ptrIKjEEEESI_EEEEESK_NSA_INS5_IJNSE_INSF_IjEEEESM_EEEEEPS7_SP_SP_NSC_11hip_rocprim7__merge17predicate_wrapperIjjNSC_7greaterIjEEEEEE10hipError_tPvRmT0_T1_T2_T3_T4_T5_mmT6_P12ihipStream_tbEUlT_E_NS1_11comp_targetILNS1_3genE2ELNS1_11target_archE906ELNS1_3gpuE6ELNS1_3repE0EEENS1_30default_config_static_selectorELNS0_4arch9wavefront6targetE0EEEvS10_.has_dyn_sized_stack, 0
	.set _ZN7rocprim17ROCPRIM_400000_NS6detail17trampoline_kernelINS0_14default_configENS1_21merge_config_selectorINS0_5tupleIJjjEEENS0_10empty_typeEEEZNS1_10merge_implIS3_NS0_12zip_iteratorINS5_IJN6thrust23THRUST_200600_302600_NS6detail15normal_iteratorINSC_10device_ptrIKjEEEESI_EEEEESK_NSA_INS5_IJNSE_INSF_IjEEEESM_EEEEEPS7_SP_SP_NSC_11hip_rocprim7__merge17predicate_wrapperIjjNSC_7greaterIjEEEEEE10hipError_tPvRmT0_T1_T2_T3_T4_T5_mmT6_P12ihipStream_tbEUlT_E_NS1_11comp_targetILNS1_3genE2ELNS1_11target_archE906ELNS1_3gpuE6ELNS1_3repE0EEENS1_30default_config_static_selectorELNS0_4arch9wavefront6targetE0EEEvS10_.has_recursion, 0
	.set _ZN7rocprim17ROCPRIM_400000_NS6detail17trampoline_kernelINS0_14default_configENS1_21merge_config_selectorINS0_5tupleIJjjEEENS0_10empty_typeEEEZNS1_10merge_implIS3_NS0_12zip_iteratorINS5_IJN6thrust23THRUST_200600_302600_NS6detail15normal_iteratorINSC_10device_ptrIKjEEEESI_EEEEESK_NSA_INS5_IJNSE_INSF_IjEEEESM_EEEEEPS7_SP_SP_NSC_11hip_rocprim7__merge17predicate_wrapperIjjNSC_7greaterIjEEEEEE10hipError_tPvRmT0_T1_T2_T3_T4_T5_mmT6_P12ihipStream_tbEUlT_E_NS1_11comp_targetILNS1_3genE2ELNS1_11target_archE906ELNS1_3gpuE6ELNS1_3repE0EEENS1_30default_config_static_selectorELNS0_4arch9wavefront6targetE0EEEvS10_.has_indirect_call, 0
	.section	.AMDGPU.csdata,"",@progbits
; Kernel info:
; codeLenInByte = 0
; TotalNumSgprs: 0
; NumVgprs: 0
; ScratchSize: 0
; MemoryBound: 0
; FloatMode: 240
; IeeeMode: 1
; LDSByteSize: 0 bytes/workgroup (compile time only)
; SGPRBlocks: 0
; VGPRBlocks: 0
; NumSGPRsForWavesPerEU: 1
; NumVGPRsForWavesPerEU: 1
; NamedBarCnt: 0
; Occupancy: 16
; WaveLimiterHint : 0
; COMPUTE_PGM_RSRC2:SCRATCH_EN: 0
; COMPUTE_PGM_RSRC2:USER_SGPR: 2
; COMPUTE_PGM_RSRC2:TRAP_HANDLER: 0
; COMPUTE_PGM_RSRC2:TGID_X_EN: 1
; COMPUTE_PGM_RSRC2:TGID_Y_EN: 0
; COMPUTE_PGM_RSRC2:TGID_Z_EN: 0
; COMPUTE_PGM_RSRC2:TIDIG_COMP_CNT: 0
	.section	.text._ZN7rocprim17ROCPRIM_400000_NS6detail17trampoline_kernelINS0_14default_configENS1_21merge_config_selectorINS0_5tupleIJjjEEENS0_10empty_typeEEEZNS1_10merge_implIS3_NS0_12zip_iteratorINS5_IJN6thrust23THRUST_200600_302600_NS6detail15normal_iteratorINSC_10device_ptrIKjEEEESI_EEEEESK_NSA_INS5_IJNSE_INSF_IjEEEESM_EEEEEPS7_SP_SP_NSC_11hip_rocprim7__merge17predicate_wrapperIjjNSC_7greaterIjEEEEEE10hipError_tPvRmT0_T1_T2_T3_T4_T5_mmT6_P12ihipStream_tbEUlT_E_NS1_11comp_targetILNS1_3genE10ELNS1_11target_archE1201ELNS1_3gpuE5ELNS1_3repE0EEENS1_30default_config_static_selectorELNS0_4arch9wavefront6targetE0EEEvS10_,"axG",@progbits,_ZN7rocprim17ROCPRIM_400000_NS6detail17trampoline_kernelINS0_14default_configENS1_21merge_config_selectorINS0_5tupleIJjjEEENS0_10empty_typeEEEZNS1_10merge_implIS3_NS0_12zip_iteratorINS5_IJN6thrust23THRUST_200600_302600_NS6detail15normal_iteratorINSC_10device_ptrIKjEEEESI_EEEEESK_NSA_INS5_IJNSE_INSF_IjEEEESM_EEEEEPS7_SP_SP_NSC_11hip_rocprim7__merge17predicate_wrapperIjjNSC_7greaterIjEEEEEE10hipError_tPvRmT0_T1_T2_T3_T4_T5_mmT6_P12ihipStream_tbEUlT_E_NS1_11comp_targetILNS1_3genE10ELNS1_11target_archE1201ELNS1_3gpuE5ELNS1_3repE0EEENS1_30default_config_static_selectorELNS0_4arch9wavefront6targetE0EEEvS10_,comdat
	.protected	_ZN7rocprim17ROCPRIM_400000_NS6detail17trampoline_kernelINS0_14default_configENS1_21merge_config_selectorINS0_5tupleIJjjEEENS0_10empty_typeEEEZNS1_10merge_implIS3_NS0_12zip_iteratorINS5_IJN6thrust23THRUST_200600_302600_NS6detail15normal_iteratorINSC_10device_ptrIKjEEEESI_EEEEESK_NSA_INS5_IJNSE_INSF_IjEEEESM_EEEEEPS7_SP_SP_NSC_11hip_rocprim7__merge17predicate_wrapperIjjNSC_7greaterIjEEEEEE10hipError_tPvRmT0_T1_T2_T3_T4_T5_mmT6_P12ihipStream_tbEUlT_E_NS1_11comp_targetILNS1_3genE10ELNS1_11target_archE1201ELNS1_3gpuE5ELNS1_3repE0EEENS1_30default_config_static_selectorELNS0_4arch9wavefront6targetE0EEEvS10_ ; -- Begin function _ZN7rocprim17ROCPRIM_400000_NS6detail17trampoline_kernelINS0_14default_configENS1_21merge_config_selectorINS0_5tupleIJjjEEENS0_10empty_typeEEEZNS1_10merge_implIS3_NS0_12zip_iteratorINS5_IJN6thrust23THRUST_200600_302600_NS6detail15normal_iteratorINSC_10device_ptrIKjEEEESI_EEEEESK_NSA_INS5_IJNSE_INSF_IjEEEESM_EEEEEPS7_SP_SP_NSC_11hip_rocprim7__merge17predicate_wrapperIjjNSC_7greaterIjEEEEEE10hipError_tPvRmT0_T1_T2_T3_T4_T5_mmT6_P12ihipStream_tbEUlT_E_NS1_11comp_targetILNS1_3genE10ELNS1_11target_archE1201ELNS1_3gpuE5ELNS1_3repE0EEENS1_30default_config_static_selectorELNS0_4arch9wavefront6targetE0EEEvS10_
	.globl	_ZN7rocprim17ROCPRIM_400000_NS6detail17trampoline_kernelINS0_14default_configENS1_21merge_config_selectorINS0_5tupleIJjjEEENS0_10empty_typeEEEZNS1_10merge_implIS3_NS0_12zip_iteratorINS5_IJN6thrust23THRUST_200600_302600_NS6detail15normal_iteratorINSC_10device_ptrIKjEEEESI_EEEEESK_NSA_INS5_IJNSE_INSF_IjEEEESM_EEEEEPS7_SP_SP_NSC_11hip_rocprim7__merge17predicate_wrapperIjjNSC_7greaterIjEEEEEE10hipError_tPvRmT0_T1_T2_T3_T4_T5_mmT6_P12ihipStream_tbEUlT_E_NS1_11comp_targetILNS1_3genE10ELNS1_11target_archE1201ELNS1_3gpuE5ELNS1_3repE0EEENS1_30default_config_static_selectorELNS0_4arch9wavefront6targetE0EEEvS10_
	.p2align	8
	.type	_ZN7rocprim17ROCPRIM_400000_NS6detail17trampoline_kernelINS0_14default_configENS1_21merge_config_selectorINS0_5tupleIJjjEEENS0_10empty_typeEEEZNS1_10merge_implIS3_NS0_12zip_iteratorINS5_IJN6thrust23THRUST_200600_302600_NS6detail15normal_iteratorINSC_10device_ptrIKjEEEESI_EEEEESK_NSA_INS5_IJNSE_INSF_IjEEEESM_EEEEEPS7_SP_SP_NSC_11hip_rocprim7__merge17predicate_wrapperIjjNSC_7greaterIjEEEEEE10hipError_tPvRmT0_T1_T2_T3_T4_T5_mmT6_P12ihipStream_tbEUlT_E_NS1_11comp_targetILNS1_3genE10ELNS1_11target_archE1201ELNS1_3gpuE5ELNS1_3repE0EEENS1_30default_config_static_selectorELNS0_4arch9wavefront6targetE0EEEvS10_,@function
_ZN7rocprim17ROCPRIM_400000_NS6detail17trampoline_kernelINS0_14default_configENS1_21merge_config_selectorINS0_5tupleIJjjEEENS0_10empty_typeEEEZNS1_10merge_implIS3_NS0_12zip_iteratorINS5_IJN6thrust23THRUST_200600_302600_NS6detail15normal_iteratorINSC_10device_ptrIKjEEEESI_EEEEESK_NSA_INS5_IJNSE_INSF_IjEEEESM_EEEEEPS7_SP_SP_NSC_11hip_rocprim7__merge17predicate_wrapperIjjNSC_7greaterIjEEEEEE10hipError_tPvRmT0_T1_T2_T3_T4_T5_mmT6_P12ihipStream_tbEUlT_E_NS1_11comp_targetILNS1_3genE10ELNS1_11target_archE1201ELNS1_3gpuE5ELNS1_3repE0EEENS1_30default_config_static_selectorELNS0_4arch9wavefront6targetE0EEEvS10_: ; @_ZN7rocprim17ROCPRIM_400000_NS6detail17trampoline_kernelINS0_14default_configENS1_21merge_config_selectorINS0_5tupleIJjjEEENS0_10empty_typeEEEZNS1_10merge_implIS3_NS0_12zip_iteratorINS5_IJN6thrust23THRUST_200600_302600_NS6detail15normal_iteratorINSC_10device_ptrIKjEEEESI_EEEEESK_NSA_INS5_IJNSE_INSF_IjEEEESM_EEEEEPS7_SP_SP_NSC_11hip_rocprim7__merge17predicate_wrapperIjjNSC_7greaterIjEEEEEE10hipError_tPvRmT0_T1_T2_T3_T4_T5_mmT6_P12ihipStream_tbEUlT_E_NS1_11comp_targetILNS1_3genE10ELNS1_11target_archE1201ELNS1_3gpuE5ELNS1_3repE0EEENS1_30default_config_static_selectorELNS0_4arch9wavefront6targetE0EEEvS10_
; %bb.0:
	.section	.rodata,"a",@progbits
	.p2align	6, 0x0
	.amdhsa_kernel _ZN7rocprim17ROCPRIM_400000_NS6detail17trampoline_kernelINS0_14default_configENS1_21merge_config_selectorINS0_5tupleIJjjEEENS0_10empty_typeEEEZNS1_10merge_implIS3_NS0_12zip_iteratorINS5_IJN6thrust23THRUST_200600_302600_NS6detail15normal_iteratorINSC_10device_ptrIKjEEEESI_EEEEESK_NSA_INS5_IJNSE_INSF_IjEEEESM_EEEEEPS7_SP_SP_NSC_11hip_rocprim7__merge17predicate_wrapperIjjNSC_7greaterIjEEEEEE10hipError_tPvRmT0_T1_T2_T3_T4_T5_mmT6_P12ihipStream_tbEUlT_E_NS1_11comp_targetILNS1_3genE10ELNS1_11target_archE1201ELNS1_3gpuE5ELNS1_3repE0EEENS1_30default_config_static_selectorELNS0_4arch9wavefront6targetE0EEEvS10_
		.amdhsa_group_segment_fixed_size 0
		.amdhsa_private_segment_fixed_size 0
		.amdhsa_kernarg_size 64
		.amdhsa_user_sgpr_count 2
		.amdhsa_user_sgpr_dispatch_ptr 0
		.amdhsa_user_sgpr_queue_ptr 0
		.amdhsa_user_sgpr_kernarg_segment_ptr 1
		.amdhsa_user_sgpr_dispatch_id 0
		.amdhsa_user_sgpr_kernarg_preload_length 0
		.amdhsa_user_sgpr_kernarg_preload_offset 0
		.amdhsa_user_sgpr_private_segment_size 0
		.amdhsa_wavefront_size32 1
		.amdhsa_uses_dynamic_stack 0
		.amdhsa_enable_private_segment 0
		.amdhsa_system_sgpr_workgroup_id_x 1
		.amdhsa_system_sgpr_workgroup_id_y 0
		.amdhsa_system_sgpr_workgroup_id_z 0
		.amdhsa_system_sgpr_workgroup_info 0
		.amdhsa_system_vgpr_workitem_id 0
		.amdhsa_next_free_vgpr 1
		.amdhsa_next_free_sgpr 1
		.amdhsa_named_barrier_count 0
		.amdhsa_reserve_vcc 0
		.amdhsa_float_round_mode_32 0
		.amdhsa_float_round_mode_16_64 0
		.amdhsa_float_denorm_mode_32 3
		.amdhsa_float_denorm_mode_16_64 3
		.amdhsa_fp16_overflow 0
		.amdhsa_memory_ordered 1
		.amdhsa_forward_progress 1
		.amdhsa_inst_pref_size 0
		.amdhsa_round_robin_scheduling 0
		.amdhsa_exception_fp_ieee_invalid_op 0
		.amdhsa_exception_fp_denorm_src 0
		.amdhsa_exception_fp_ieee_div_zero 0
		.amdhsa_exception_fp_ieee_overflow 0
		.amdhsa_exception_fp_ieee_underflow 0
		.amdhsa_exception_fp_ieee_inexact 0
		.amdhsa_exception_int_div_zero 0
	.end_amdhsa_kernel
	.section	.text._ZN7rocprim17ROCPRIM_400000_NS6detail17trampoline_kernelINS0_14default_configENS1_21merge_config_selectorINS0_5tupleIJjjEEENS0_10empty_typeEEEZNS1_10merge_implIS3_NS0_12zip_iteratorINS5_IJN6thrust23THRUST_200600_302600_NS6detail15normal_iteratorINSC_10device_ptrIKjEEEESI_EEEEESK_NSA_INS5_IJNSE_INSF_IjEEEESM_EEEEEPS7_SP_SP_NSC_11hip_rocprim7__merge17predicate_wrapperIjjNSC_7greaterIjEEEEEE10hipError_tPvRmT0_T1_T2_T3_T4_T5_mmT6_P12ihipStream_tbEUlT_E_NS1_11comp_targetILNS1_3genE10ELNS1_11target_archE1201ELNS1_3gpuE5ELNS1_3repE0EEENS1_30default_config_static_selectorELNS0_4arch9wavefront6targetE0EEEvS10_,"axG",@progbits,_ZN7rocprim17ROCPRIM_400000_NS6detail17trampoline_kernelINS0_14default_configENS1_21merge_config_selectorINS0_5tupleIJjjEEENS0_10empty_typeEEEZNS1_10merge_implIS3_NS0_12zip_iteratorINS5_IJN6thrust23THRUST_200600_302600_NS6detail15normal_iteratorINSC_10device_ptrIKjEEEESI_EEEEESK_NSA_INS5_IJNSE_INSF_IjEEEESM_EEEEEPS7_SP_SP_NSC_11hip_rocprim7__merge17predicate_wrapperIjjNSC_7greaterIjEEEEEE10hipError_tPvRmT0_T1_T2_T3_T4_T5_mmT6_P12ihipStream_tbEUlT_E_NS1_11comp_targetILNS1_3genE10ELNS1_11target_archE1201ELNS1_3gpuE5ELNS1_3repE0EEENS1_30default_config_static_selectorELNS0_4arch9wavefront6targetE0EEEvS10_,comdat
.Lfunc_end376:
	.size	_ZN7rocprim17ROCPRIM_400000_NS6detail17trampoline_kernelINS0_14default_configENS1_21merge_config_selectorINS0_5tupleIJjjEEENS0_10empty_typeEEEZNS1_10merge_implIS3_NS0_12zip_iteratorINS5_IJN6thrust23THRUST_200600_302600_NS6detail15normal_iteratorINSC_10device_ptrIKjEEEESI_EEEEESK_NSA_INS5_IJNSE_INSF_IjEEEESM_EEEEEPS7_SP_SP_NSC_11hip_rocprim7__merge17predicate_wrapperIjjNSC_7greaterIjEEEEEE10hipError_tPvRmT0_T1_T2_T3_T4_T5_mmT6_P12ihipStream_tbEUlT_E_NS1_11comp_targetILNS1_3genE10ELNS1_11target_archE1201ELNS1_3gpuE5ELNS1_3repE0EEENS1_30default_config_static_selectorELNS0_4arch9wavefront6targetE0EEEvS10_, .Lfunc_end376-_ZN7rocprim17ROCPRIM_400000_NS6detail17trampoline_kernelINS0_14default_configENS1_21merge_config_selectorINS0_5tupleIJjjEEENS0_10empty_typeEEEZNS1_10merge_implIS3_NS0_12zip_iteratorINS5_IJN6thrust23THRUST_200600_302600_NS6detail15normal_iteratorINSC_10device_ptrIKjEEEESI_EEEEESK_NSA_INS5_IJNSE_INSF_IjEEEESM_EEEEEPS7_SP_SP_NSC_11hip_rocprim7__merge17predicate_wrapperIjjNSC_7greaterIjEEEEEE10hipError_tPvRmT0_T1_T2_T3_T4_T5_mmT6_P12ihipStream_tbEUlT_E_NS1_11comp_targetILNS1_3genE10ELNS1_11target_archE1201ELNS1_3gpuE5ELNS1_3repE0EEENS1_30default_config_static_selectorELNS0_4arch9wavefront6targetE0EEEvS10_
                                        ; -- End function
	.set _ZN7rocprim17ROCPRIM_400000_NS6detail17trampoline_kernelINS0_14default_configENS1_21merge_config_selectorINS0_5tupleIJjjEEENS0_10empty_typeEEEZNS1_10merge_implIS3_NS0_12zip_iteratorINS5_IJN6thrust23THRUST_200600_302600_NS6detail15normal_iteratorINSC_10device_ptrIKjEEEESI_EEEEESK_NSA_INS5_IJNSE_INSF_IjEEEESM_EEEEEPS7_SP_SP_NSC_11hip_rocprim7__merge17predicate_wrapperIjjNSC_7greaterIjEEEEEE10hipError_tPvRmT0_T1_T2_T3_T4_T5_mmT6_P12ihipStream_tbEUlT_E_NS1_11comp_targetILNS1_3genE10ELNS1_11target_archE1201ELNS1_3gpuE5ELNS1_3repE0EEENS1_30default_config_static_selectorELNS0_4arch9wavefront6targetE0EEEvS10_.num_vgpr, 0
	.set _ZN7rocprim17ROCPRIM_400000_NS6detail17trampoline_kernelINS0_14default_configENS1_21merge_config_selectorINS0_5tupleIJjjEEENS0_10empty_typeEEEZNS1_10merge_implIS3_NS0_12zip_iteratorINS5_IJN6thrust23THRUST_200600_302600_NS6detail15normal_iteratorINSC_10device_ptrIKjEEEESI_EEEEESK_NSA_INS5_IJNSE_INSF_IjEEEESM_EEEEEPS7_SP_SP_NSC_11hip_rocprim7__merge17predicate_wrapperIjjNSC_7greaterIjEEEEEE10hipError_tPvRmT0_T1_T2_T3_T4_T5_mmT6_P12ihipStream_tbEUlT_E_NS1_11comp_targetILNS1_3genE10ELNS1_11target_archE1201ELNS1_3gpuE5ELNS1_3repE0EEENS1_30default_config_static_selectorELNS0_4arch9wavefront6targetE0EEEvS10_.num_agpr, 0
	.set _ZN7rocprim17ROCPRIM_400000_NS6detail17trampoline_kernelINS0_14default_configENS1_21merge_config_selectorINS0_5tupleIJjjEEENS0_10empty_typeEEEZNS1_10merge_implIS3_NS0_12zip_iteratorINS5_IJN6thrust23THRUST_200600_302600_NS6detail15normal_iteratorINSC_10device_ptrIKjEEEESI_EEEEESK_NSA_INS5_IJNSE_INSF_IjEEEESM_EEEEEPS7_SP_SP_NSC_11hip_rocprim7__merge17predicate_wrapperIjjNSC_7greaterIjEEEEEE10hipError_tPvRmT0_T1_T2_T3_T4_T5_mmT6_P12ihipStream_tbEUlT_E_NS1_11comp_targetILNS1_3genE10ELNS1_11target_archE1201ELNS1_3gpuE5ELNS1_3repE0EEENS1_30default_config_static_selectorELNS0_4arch9wavefront6targetE0EEEvS10_.numbered_sgpr, 0
	.set _ZN7rocprim17ROCPRIM_400000_NS6detail17trampoline_kernelINS0_14default_configENS1_21merge_config_selectorINS0_5tupleIJjjEEENS0_10empty_typeEEEZNS1_10merge_implIS3_NS0_12zip_iteratorINS5_IJN6thrust23THRUST_200600_302600_NS6detail15normal_iteratorINSC_10device_ptrIKjEEEESI_EEEEESK_NSA_INS5_IJNSE_INSF_IjEEEESM_EEEEEPS7_SP_SP_NSC_11hip_rocprim7__merge17predicate_wrapperIjjNSC_7greaterIjEEEEEE10hipError_tPvRmT0_T1_T2_T3_T4_T5_mmT6_P12ihipStream_tbEUlT_E_NS1_11comp_targetILNS1_3genE10ELNS1_11target_archE1201ELNS1_3gpuE5ELNS1_3repE0EEENS1_30default_config_static_selectorELNS0_4arch9wavefront6targetE0EEEvS10_.num_named_barrier, 0
	.set _ZN7rocprim17ROCPRIM_400000_NS6detail17trampoline_kernelINS0_14default_configENS1_21merge_config_selectorINS0_5tupleIJjjEEENS0_10empty_typeEEEZNS1_10merge_implIS3_NS0_12zip_iteratorINS5_IJN6thrust23THRUST_200600_302600_NS6detail15normal_iteratorINSC_10device_ptrIKjEEEESI_EEEEESK_NSA_INS5_IJNSE_INSF_IjEEEESM_EEEEEPS7_SP_SP_NSC_11hip_rocprim7__merge17predicate_wrapperIjjNSC_7greaterIjEEEEEE10hipError_tPvRmT0_T1_T2_T3_T4_T5_mmT6_P12ihipStream_tbEUlT_E_NS1_11comp_targetILNS1_3genE10ELNS1_11target_archE1201ELNS1_3gpuE5ELNS1_3repE0EEENS1_30default_config_static_selectorELNS0_4arch9wavefront6targetE0EEEvS10_.private_seg_size, 0
	.set _ZN7rocprim17ROCPRIM_400000_NS6detail17trampoline_kernelINS0_14default_configENS1_21merge_config_selectorINS0_5tupleIJjjEEENS0_10empty_typeEEEZNS1_10merge_implIS3_NS0_12zip_iteratorINS5_IJN6thrust23THRUST_200600_302600_NS6detail15normal_iteratorINSC_10device_ptrIKjEEEESI_EEEEESK_NSA_INS5_IJNSE_INSF_IjEEEESM_EEEEEPS7_SP_SP_NSC_11hip_rocprim7__merge17predicate_wrapperIjjNSC_7greaterIjEEEEEE10hipError_tPvRmT0_T1_T2_T3_T4_T5_mmT6_P12ihipStream_tbEUlT_E_NS1_11comp_targetILNS1_3genE10ELNS1_11target_archE1201ELNS1_3gpuE5ELNS1_3repE0EEENS1_30default_config_static_selectorELNS0_4arch9wavefront6targetE0EEEvS10_.uses_vcc, 0
	.set _ZN7rocprim17ROCPRIM_400000_NS6detail17trampoline_kernelINS0_14default_configENS1_21merge_config_selectorINS0_5tupleIJjjEEENS0_10empty_typeEEEZNS1_10merge_implIS3_NS0_12zip_iteratorINS5_IJN6thrust23THRUST_200600_302600_NS6detail15normal_iteratorINSC_10device_ptrIKjEEEESI_EEEEESK_NSA_INS5_IJNSE_INSF_IjEEEESM_EEEEEPS7_SP_SP_NSC_11hip_rocprim7__merge17predicate_wrapperIjjNSC_7greaterIjEEEEEE10hipError_tPvRmT0_T1_T2_T3_T4_T5_mmT6_P12ihipStream_tbEUlT_E_NS1_11comp_targetILNS1_3genE10ELNS1_11target_archE1201ELNS1_3gpuE5ELNS1_3repE0EEENS1_30default_config_static_selectorELNS0_4arch9wavefront6targetE0EEEvS10_.uses_flat_scratch, 0
	.set _ZN7rocprim17ROCPRIM_400000_NS6detail17trampoline_kernelINS0_14default_configENS1_21merge_config_selectorINS0_5tupleIJjjEEENS0_10empty_typeEEEZNS1_10merge_implIS3_NS0_12zip_iteratorINS5_IJN6thrust23THRUST_200600_302600_NS6detail15normal_iteratorINSC_10device_ptrIKjEEEESI_EEEEESK_NSA_INS5_IJNSE_INSF_IjEEEESM_EEEEEPS7_SP_SP_NSC_11hip_rocprim7__merge17predicate_wrapperIjjNSC_7greaterIjEEEEEE10hipError_tPvRmT0_T1_T2_T3_T4_T5_mmT6_P12ihipStream_tbEUlT_E_NS1_11comp_targetILNS1_3genE10ELNS1_11target_archE1201ELNS1_3gpuE5ELNS1_3repE0EEENS1_30default_config_static_selectorELNS0_4arch9wavefront6targetE0EEEvS10_.has_dyn_sized_stack, 0
	.set _ZN7rocprim17ROCPRIM_400000_NS6detail17trampoline_kernelINS0_14default_configENS1_21merge_config_selectorINS0_5tupleIJjjEEENS0_10empty_typeEEEZNS1_10merge_implIS3_NS0_12zip_iteratorINS5_IJN6thrust23THRUST_200600_302600_NS6detail15normal_iteratorINSC_10device_ptrIKjEEEESI_EEEEESK_NSA_INS5_IJNSE_INSF_IjEEEESM_EEEEEPS7_SP_SP_NSC_11hip_rocprim7__merge17predicate_wrapperIjjNSC_7greaterIjEEEEEE10hipError_tPvRmT0_T1_T2_T3_T4_T5_mmT6_P12ihipStream_tbEUlT_E_NS1_11comp_targetILNS1_3genE10ELNS1_11target_archE1201ELNS1_3gpuE5ELNS1_3repE0EEENS1_30default_config_static_selectorELNS0_4arch9wavefront6targetE0EEEvS10_.has_recursion, 0
	.set _ZN7rocprim17ROCPRIM_400000_NS6detail17trampoline_kernelINS0_14default_configENS1_21merge_config_selectorINS0_5tupleIJjjEEENS0_10empty_typeEEEZNS1_10merge_implIS3_NS0_12zip_iteratorINS5_IJN6thrust23THRUST_200600_302600_NS6detail15normal_iteratorINSC_10device_ptrIKjEEEESI_EEEEESK_NSA_INS5_IJNSE_INSF_IjEEEESM_EEEEEPS7_SP_SP_NSC_11hip_rocprim7__merge17predicate_wrapperIjjNSC_7greaterIjEEEEEE10hipError_tPvRmT0_T1_T2_T3_T4_T5_mmT6_P12ihipStream_tbEUlT_E_NS1_11comp_targetILNS1_3genE10ELNS1_11target_archE1201ELNS1_3gpuE5ELNS1_3repE0EEENS1_30default_config_static_selectorELNS0_4arch9wavefront6targetE0EEEvS10_.has_indirect_call, 0
	.section	.AMDGPU.csdata,"",@progbits
; Kernel info:
; codeLenInByte = 0
; TotalNumSgprs: 0
; NumVgprs: 0
; ScratchSize: 0
; MemoryBound: 0
; FloatMode: 240
; IeeeMode: 1
; LDSByteSize: 0 bytes/workgroup (compile time only)
; SGPRBlocks: 0
; VGPRBlocks: 0
; NumSGPRsForWavesPerEU: 1
; NumVGPRsForWavesPerEU: 1
; NamedBarCnt: 0
; Occupancy: 16
; WaveLimiterHint : 0
; COMPUTE_PGM_RSRC2:SCRATCH_EN: 0
; COMPUTE_PGM_RSRC2:USER_SGPR: 2
; COMPUTE_PGM_RSRC2:TRAP_HANDLER: 0
; COMPUTE_PGM_RSRC2:TGID_X_EN: 1
; COMPUTE_PGM_RSRC2:TGID_Y_EN: 0
; COMPUTE_PGM_RSRC2:TGID_Z_EN: 0
; COMPUTE_PGM_RSRC2:TIDIG_COMP_CNT: 0
	.section	.text._ZN7rocprim17ROCPRIM_400000_NS6detail17trampoline_kernelINS0_14default_configENS1_21merge_config_selectorINS0_5tupleIJjjEEENS0_10empty_typeEEEZNS1_10merge_implIS3_NS0_12zip_iteratorINS5_IJN6thrust23THRUST_200600_302600_NS6detail15normal_iteratorINSC_10device_ptrIKjEEEESI_EEEEESK_NSA_INS5_IJNSE_INSF_IjEEEESM_EEEEEPS7_SP_SP_NSC_11hip_rocprim7__merge17predicate_wrapperIjjNSC_7greaterIjEEEEEE10hipError_tPvRmT0_T1_T2_T3_T4_T5_mmT6_P12ihipStream_tbEUlT_E_NS1_11comp_targetILNS1_3genE10ELNS1_11target_archE1200ELNS1_3gpuE4ELNS1_3repE0EEENS1_30default_config_static_selectorELNS0_4arch9wavefront6targetE0EEEvS10_,"axG",@progbits,_ZN7rocprim17ROCPRIM_400000_NS6detail17trampoline_kernelINS0_14default_configENS1_21merge_config_selectorINS0_5tupleIJjjEEENS0_10empty_typeEEEZNS1_10merge_implIS3_NS0_12zip_iteratorINS5_IJN6thrust23THRUST_200600_302600_NS6detail15normal_iteratorINSC_10device_ptrIKjEEEESI_EEEEESK_NSA_INS5_IJNSE_INSF_IjEEEESM_EEEEEPS7_SP_SP_NSC_11hip_rocprim7__merge17predicate_wrapperIjjNSC_7greaterIjEEEEEE10hipError_tPvRmT0_T1_T2_T3_T4_T5_mmT6_P12ihipStream_tbEUlT_E_NS1_11comp_targetILNS1_3genE10ELNS1_11target_archE1200ELNS1_3gpuE4ELNS1_3repE0EEENS1_30default_config_static_selectorELNS0_4arch9wavefront6targetE0EEEvS10_,comdat
	.protected	_ZN7rocprim17ROCPRIM_400000_NS6detail17trampoline_kernelINS0_14default_configENS1_21merge_config_selectorINS0_5tupleIJjjEEENS0_10empty_typeEEEZNS1_10merge_implIS3_NS0_12zip_iteratorINS5_IJN6thrust23THRUST_200600_302600_NS6detail15normal_iteratorINSC_10device_ptrIKjEEEESI_EEEEESK_NSA_INS5_IJNSE_INSF_IjEEEESM_EEEEEPS7_SP_SP_NSC_11hip_rocprim7__merge17predicate_wrapperIjjNSC_7greaterIjEEEEEE10hipError_tPvRmT0_T1_T2_T3_T4_T5_mmT6_P12ihipStream_tbEUlT_E_NS1_11comp_targetILNS1_3genE10ELNS1_11target_archE1200ELNS1_3gpuE4ELNS1_3repE0EEENS1_30default_config_static_selectorELNS0_4arch9wavefront6targetE0EEEvS10_ ; -- Begin function _ZN7rocprim17ROCPRIM_400000_NS6detail17trampoline_kernelINS0_14default_configENS1_21merge_config_selectorINS0_5tupleIJjjEEENS0_10empty_typeEEEZNS1_10merge_implIS3_NS0_12zip_iteratorINS5_IJN6thrust23THRUST_200600_302600_NS6detail15normal_iteratorINSC_10device_ptrIKjEEEESI_EEEEESK_NSA_INS5_IJNSE_INSF_IjEEEESM_EEEEEPS7_SP_SP_NSC_11hip_rocprim7__merge17predicate_wrapperIjjNSC_7greaterIjEEEEEE10hipError_tPvRmT0_T1_T2_T3_T4_T5_mmT6_P12ihipStream_tbEUlT_E_NS1_11comp_targetILNS1_3genE10ELNS1_11target_archE1200ELNS1_3gpuE4ELNS1_3repE0EEENS1_30default_config_static_selectorELNS0_4arch9wavefront6targetE0EEEvS10_
	.globl	_ZN7rocprim17ROCPRIM_400000_NS6detail17trampoline_kernelINS0_14default_configENS1_21merge_config_selectorINS0_5tupleIJjjEEENS0_10empty_typeEEEZNS1_10merge_implIS3_NS0_12zip_iteratorINS5_IJN6thrust23THRUST_200600_302600_NS6detail15normal_iteratorINSC_10device_ptrIKjEEEESI_EEEEESK_NSA_INS5_IJNSE_INSF_IjEEEESM_EEEEEPS7_SP_SP_NSC_11hip_rocprim7__merge17predicate_wrapperIjjNSC_7greaterIjEEEEEE10hipError_tPvRmT0_T1_T2_T3_T4_T5_mmT6_P12ihipStream_tbEUlT_E_NS1_11comp_targetILNS1_3genE10ELNS1_11target_archE1200ELNS1_3gpuE4ELNS1_3repE0EEENS1_30default_config_static_selectorELNS0_4arch9wavefront6targetE0EEEvS10_
	.p2align	8
	.type	_ZN7rocprim17ROCPRIM_400000_NS6detail17trampoline_kernelINS0_14default_configENS1_21merge_config_selectorINS0_5tupleIJjjEEENS0_10empty_typeEEEZNS1_10merge_implIS3_NS0_12zip_iteratorINS5_IJN6thrust23THRUST_200600_302600_NS6detail15normal_iteratorINSC_10device_ptrIKjEEEESI_EEEEESK_NSA_INS5_IJNSE_INSF_IjEEEESM_EEEEEPS7_SP_SP_NSC_11hip_rocprim7__merge17predicate_wrapperIjjNSC_7greaterIjEEEEEE10hipError_tPvRmT0_T1_T2_T3_T4_T5_mmT6_P12ihipStream_tbEUlT_E_NS1_11comp_targetILNS1_3genE10ELNS1_11target_archE1200ELNS1_3gpuE4ELNS1_3repE0EEENS1_30default_config_static_selectorELNS0_4arch9wavefront6targetE0EEEvS10_,@function
_ZN7rocprim17ROCPRIM_400000_NS6detail17trampoline_kernelINS0_14default_configENS1_21merge_config_selectorINS0_5tupleIJjjEEENS0_10empty_typeEEEZNS1_10merge_implIS3_NS0_12zip_iteratorINS5_IJN6thrust23THRUST_200600_302600_NS6detail15normal_iteratorINSC_10device_ptrIKjEEEESI_EEEEESK_NSA_INS5_IJNSE_INSF_IjEEEESM_EEEEEPS7_SP_SP_NSC_11hip_rocprim7__merge17predicate_wrapperIjjNSC_7greaterIjEEEEEE10hipError_tPvRmT0_T1_T2_T3_T4_T5_mmT6_P12ihipStream_tbEUlT_E_NS1_11comp_targetILNS1_3genE10ELNS1_11target_archE1200ELNS1_3gpuE4ELNS1_3repE0EEENS1_30default_config_static_selectorELNS0_4arch9wavefront6targetE0EEEvS10_: ; @_ZN7rocprim17ROCPRIM_400000_NS6detail17trampoline_kernelINS0_14default_configENS1_21merge_config_selectorINS0_5tupleIJjjEEENS0_10empty_typeEEEZNS1_10merge_implIS3_NS0_12zip_iteratorINS5_IJN6thrust23THRUST_200600_302600_NS6detail15normal_iteratorINSC_10device_ptrIKjEEEESI_EEEEESK_NSA_INS5_IJNSE_INSF_IjEEEESM_EEEEEPS7_SP_SP_NSC_11hip_rocprim7__merge17predicate_wrapperIjjNSC_7greaterIjEEEEEE10hipError_tPvRmT0_T1_T2_T3_T4_T5_mmT6_P12ihipStream_tbEUlT_E_NS1_11comp_targetILNS1_3genE10ELNS1_11target_archE1200ELNS1_3gpuE4ELNS1_3repE0EEENS1_30default_config_static_selectorELNS0_4arch9wavefront6targetE0EEEvS10_
; %bb.0:
	.section	.rodata,"a",@progbits
	.p2align	6, 0x0
	.amdhsa_kernel _ZN7rocprim17ROCPRIM_400000_NS6detail17trampoline_kernelINS0_14default_configENS1_21merge_config_selectorINS0_5tupleIJjjEEENS0_10empty_typeEEEZNS1_10merge_implIS3_NS0_12zip_iteratorINS5_IJN6thrust23THRUST_200600_302600_NS6detail15normal_iteratorINSC_10device_ptrIKjEEEESI_EEEEESK_NSA_INS5_IJNSE_INSF_IjEEEESM_EEEEEPS7_SP_SP_NSC_11hip_rocprim7__merge17predicate_wrapperIjjNSC_7greaterIjEEEEEE10hipError_tPvRmT0_T1_T2_T3_T4_T5_mmT6_P12ihipStream_tbEUlT_E_NS1_11comp_targetILNS1_3genE10ELNS1_11target_archE1200ELNS1_3gpuE4ELNS1_3repE0EEENS1_30default_config_static_selectorELNS0_4arch9wavefront6targetE0EEEvS10_
		.amdhsa_group_segment_fixed_size 0
		.amdhsa_private_segment_fixed_size 0
		.amdhsa_kernarg_size 64
		.amdhsa_user_sgpr_count 2
		.amdhsa_user_sgpr_dispatch_ptr 0
		.amdhsa_user_sgpr_queue_ptr 0
		.amdhsa_user_sgpr_kernarg_segment_ptr 1
		.amdhsa_user_sgpr_dispatch_id 0
		.amdhsa_user_sgpr_kernarg_preload_length 0
		.amdhsa_user_sgpr_kernarg_preload_offset 0
		.amdhsa_user_sgpr_private_segment_size 0
		.amdhsa_wavefront_size32 1
		.amdhsa_uses_dynamic_stack 0
		.amdhsa_enable_private_segment 0
		.amdhsa_system_sgpr_workgroup_id_x 1
		.amdhsa_system_sgpr_workgroup_id_y 0
		.amdhsa_system_sgpr_workgroup_id_z 0
		.amdhsa_system_sgpr_workgroup_info 0
		.amdhsa_system_vgpr_workitem_id 0
		.amdhsa_next_free_vgpr 1
		.amdhsa_next_free_sgpr 1
		.amdhsa_named_barrier_count 0
		.amdhsa_reserve_vcc 0
		.amdhsa_float_round_mode_32 0
		.amdhsa_float_round_mode_16_64 0
		.amdhsa_float_denorm_mode_32 3
		.amdhsa_float_denorm_mode_16_64 3
		.amdhsa_fp16_overflow 0
		.amdhsa_memory_ordered 1
		.amdhsa_forward_progress 1
		.amdhsa_inst_pref_size 0
		.amdhsa_round_robin_scheduling 0
		.amdhsa_exception_fp_ieee_invalid_op 0
		.amdhsa_exception_fp_denorm_src 0
		.amdhsa_exception_fp_ieee_div_zero 0
		.amdhsa_exception_fp_ieee_overflow 0
		.amdhsa_exception_fp_ieee_underflow 0
		.amdhsa_exception_fp_ieee_inexact 0
		.amdhsa_exception_int_div_zero 0
	.end_amdhsa_kernel
	.section	.text._ZN7rocprim17ROCPRIM_400000_NS6detail17trampoline_kernelINS0_14default_configENS1_21merge_config_selectorINS0_5tupleIJjjEEENS0_10empty_typeEEEZNS1_10merge_implIS3_NS0_12zip_iteratorINS5_IJN6thrust23THRUST_200600_302600_NS6detail15normal_iteratorINSC_10device_ptrIKjEEEESI_EEEEESK_NSA_INS5_IJNSE_INSF_IjEEEESM_EEEEEPS7_SP_SP_NSC_11hip_rocprim7__merge17predicate_wrapperIjjNSC_7greaterIjEEEEEE10hipError_tPvRmT0_T1_T2_T3_T4_T5_mmT6_P12ihipStream_tbEUlT_E_NS1_11comp_targetILNS1_3genE10ELNS1_11target_archE1200ELNS1_3gpuE4ELNS1_3repE0EEENS1_30default_config_static_selectorELNS0_4arch9wavefront6targetE0EEEvS10_,"axG",@progbits,_ZN7rocprim17ROCPRIM_400000_NS6detail17trampoline_kernelINS0_14default_configENS1_21merge_config_selectorINS0_5tupleIJjjEEENS0_10empty_typeEEEZNS1_10merge_implIS3_NS0_12zip_iteratorINS5_IJN6thrust23THRUST_200600_302600_NS6detail15normal_iteratorINSC_10device_ptrIKjEEEESI_EEEEESK_NSA_INS5_IJNSE_INSF_IjEEEESM_EEEEEPS7_SP_SP_NSC_11hip_rocprim7__merge17predicate_wrapperIjjNSC_7greaterIjEEEEEE10hipError_tPvRmT0_T1_T2_T3_T4_T5_mmT6_P12ihipStream_tbEUlT_E_NS1_11comp_targetILNS1_3genE10ELNS1_11target_archE1200ELNS1_3gpuE4ELNS1_3repE0EEENS1_30default_config_static_selectorELNS0_4arch9wavefront6targetE0EEEvS10_,comdat
.Lfunc_end377:
	.size	_ZN7rocprim17ROCPRIM_400000_NS6detail17trampoline_kernelINS0_14default_configENS1_21merge_config_selectorINS0_5tupleIJjjEEENS0_10empty_typeEEEZNS1_10merge_implIS3_NS0_12zip_iteratorINS5_IJN6thrust23THRUST_200600_302600_NS6detail15normal_iteratorINSC_10device_ptrIKjEEEESI_EEEEESK_NSA_INS5_IJNSE_INSF_IjEEEESM_EEEEEPS7_SP_SP_NSC_11hip_rocprim7__merge17predicate_wrapperIjjNSC_7greaterIjEEEEEE10hipError_tPvRmT0_T1_T2_T3_T4_T5_mmT6_P12ihipStream_tbEUlT_E_NS1_11comp_targetILNS1_3genE10ELNS1_11target_archE1200ELNS1_3gpuE4ELNS1_3repE0EEENS1_30default_config_static_selectorELNS0_4arch9wavefront6targetE0EEEvS10_, .Lfunc_end377-_ZN7rocprim17ROCPRIM_400000_NS6detail17trampoline_kernelINS0_14default_configENS1_21merge_config_selectorINS0_5tupleIJjjEEENS0_10empty_typeEEEZNS1_10merge_implIS3_NS0_12zip_iteratorINS5_IJN6thrust23THRUST_200600_302600_NS6detail15normal_iteratorINSC_10device_ptrIKjEEEESI_EEEEESK_NSA_INS5_IJNSE_INSF_IjEEEESM_EEEEEPS7_SP_SP_NSC_11hip_rocprim7__merge17predicate_wrapperIjjNSC_7greaterIjEEEEEE10hipError_tPvRmT0_T1_T2_T3_T4_T5_mmT6_P12ihipStream_tbEUlT_E_NS1_11comp_targetILNS1_3genE10ELNS1_11target_archE1200ELNS1_3gpuE4ELNS1_3repE0EEENS1_30default_config_static_selectorELNS0_4arch9wavefront6targetE0EEEvS10_
                                        ; -- End function
	.set _ZN7rocprim17ROCPRIM_400000_NS6detail17trampoline_kernelINS0_14default_configENS1_21merge_config_selectorINS0_5tupleIJjjEEENS0_10empty_typeEEEZNS1_10merge_implIS3_NS0_12zip_iteratorINS5_IJN6thrust23THRUST_200600_302600_NS6detail15normal_iteratorINSC_10device_ptrIKjEEEESI_EEEEESK_NSA_INS5_IJNSE_INSF_IjEEEESM_EEEEEPS7_SP_SP_NSC_11hip_rocprim7__merge17predicate_wrapperIjjNSC_7greaterIjEEEEEE10hipError_tPvRmT0_T1_T2_T3_T4_T5_mmT6_P12ihipStream_tbEUlT_E_NS1_11comp_targetILNS1_3genE10ELNS1_11target_archE1200ELNS1_3gpuE4ELNS1_3repE0EEENS1_30default_config_static_selectorELNS0_4arch9wavefront6targetE0EEEvS10_.num_vgpr, 0
	.set _ZN7rocprim17ROCPRIM_400000_NS6detail17trampoline_kernelINS0_14default_configENS1_21merge_config_selectorINS0_5tupleIJjjEEENS0_10empty_typeEEEZNS1_10merge_implIS3_NS0_12zip_iteratorINS5_IJN6thrust23THRUST_200600_302600_NS6detail15normal_iteratorINSC_10device_ptrIKjEEEESI_EEEEESK_NSA_INS5_IJNSE_INSF_IjEEEESM_EEEEEPS7_SP_SP_NSC_11hip_rocprim7__merge17predicate_wrapperIjjNSC_7greaterIjEEEEEE10hipError_tPvRmT0_T1_T2_T3_T4_T5_mmT6_P12ihipStream_tbEUlT_E_NS1_11comp_targetILNS1_3genE10ELNS1_11target_archE1200ELNS1_3gpuE4ELNS1_3repE0EEENS1_30default_config_static_selectorELNS0_4arch9wavefront6targetE0EEEvS10_.num_agpr, 0
	.set _ZN7rocprim17ROCPRIM_400000_NS6detail17trampoline_kernelINS0_14default_configENS1_21merge_config_selectorINS0_5tupleIJjjEEENS0_10empty_typeEEEZNS1_10merge_implIS3_NS0_12zip_iteratorINS5_IJN6thrust23THRUST_200600_302600_NS6detail15normal_iteratorINSC_10device_ptrIKjEEEESI_EEEEESK_NSA_INS5_IJNSE_INSF_IjEEEESM_EEEEEPS7_SP_SP_NSC_11hip_rocprim7__merge17predicate_wrapperIjjNSC_7greaterIjEEEEEE10hipError_tPvRmT0_T1_T2_T3_T4_T5_mmT6_P12ihipStream_tbEUlT_E_NS1_11comp_targetILNS1_3genE10ELNS1_11target_archE1200ELNS1_3gpuE4ELNS1_3repE0EEENS1_30default_config_static_selectorELNS0_4arch9wavefront6targetE0EEEvS10_.numbered_sgpr, 0
	.set _ZN7rocprim17ROCPRIM_400000_NS6detail17trampoline_kernelINS0_14default_configENS1_21merge_config_selectorINS0_5tupleIJjjEEENS0_10empty_typeEEEZNS1_10merge_implIS3_NS0_12zip_iteratorINS5_IJN6thrust23THRUST_200600_302600_NS6detail15normal_iteratorINSC_10device_ptrIKjEEEESI_EEEEESK_NSA_INS5_IJNSE_INSF_IjEEEESM_EEEEEPS7_SP_SP_NSC_11hip_rocprim7__merge17predicate_wrapperIjjNSC_7greaterIjEEEEEE10hipError_tPvRmT0_T1_T2_T3_T4_T5_mmT6_P12ihipStream_tbEUlT_E_NS1_11comp_targetILNS1_3genE10ELNS1_11target_archE1200ELNS1_3gpuE4ELNS1_3repE0EEENS1_30default_config_static_selectorELNS0_4arch9wavefront6targetE0EEEvS10_.num_named_barrier, 0
	.set _ZN7rocprim17ROCPRIM_400000_NS6detail17trampoline_kernelINS0_14default_configENS1_21merge_config_selectorINS0_5tupleIJjjEEENS0_10empty_typeEEEZNS1_10merge_implIS3_NS0_12zip_iteratorINS5_IJN6thrust23THRUST_200600_302600_NS6detail15normal_iteratorINSC_10device_ptrIKjEEEESI_EEEEESK_NSA_INS5_IJNSE_INSF_IjEEEESM_EEEEEPS7_SP_SP_NSC_11hip_rocprim7__merge17predicate_wrapperIjjNSC_7greaterIjEEEEEE10hipError_tPvRmT0_T1_T2_T3_T4_T5_mmT6_P12ihipStream_tbEUlT_E_NS1_11comp_targetILNS1_3genE10ELNS1_11target_archE1200ELNS1_3gpuE4ELNS1_3repE0EEENS1_30default_config_static_selectorELNS0_4arch9wavefront6targetE0EEEvS10_.private_seg_size, 0
	.set _ZN7rocprim17ROCPRIM_400000_NS6detail17trampoline_kernelINS0_14default_configENS1_21merge_config_selectorINS0_5tupleIJjjEEENS0_10empty_typeEEEZNS1_10merge_implIS3_NS0_12zip_iteratorINS5_IJN6thrust23THRUST_200600_302600_NS6detail15normal_iteratorINSC_10device_ptrIKjEEEESI_EEEEESK_NSA_INS5_IJNSE_INSF_IjEEEESM_EEEEEPS7_SP_SP_NSC_11hip_rocprim7__merge17predicate_wrapperIjjNSC_7greaterIjEEEEEE10hipError_tPvRmT0_T1_T2_T3_T4_T5_mmT6_P12ihipStream_tbEUlT_E_NS1_11comp_targetILNS1_3genE10ELNS1_11target_archE1200ELNS1_3gpuE4ELNS1_3repE0EEENS1_30default_config_static_selectorELNS0_4arch9wavefront6targetE0EEEvS10_.uses_vcc, 0
	.set _ZN7rocprim17ROCPRIM_400000_NS6detail17trampoline_kernelINS0_14default_configENS1_21merge_config_selectorINS0_5tupleIJjjEEENS0_10empty_typeEEEZNS1_10merge_implIS3_NS0_12zip_iteratorINS5_IJN6thrust23THRUST_200600_302600_NS6detail15normal_iteratorINSC_10device_ptrIKjEEEESI_EEEEESK_NSA_INS5_IJNSE_INSF_IjEEEESM_EEEEEPS7_SP_SP_NSC_11hip_rocprim7__merge17predicate_wrapperIjjNSC_7greaterIjEEEEEE10hipError_tPvRmT0_T1_T2_T3_T4_T5_mmT6_P12ihipStream_tbEUlT_E_NS1_11comp_targetILNS1_3genE10ELNS1_11target_archE1200ELNS1_3gpuE4ELNS1_3repE0EEENS1_30default_config_static_selectorELNS0_4arch9wavefront6targetE0EEEvS10_.uses_flat_scratch, 0
	.set _ZN7rocprim17ROCPRIM_400000_NS6detail17trampoline_kernelINS0_14default_configENS1_21merge_config_selectorINS0_5tupleIJjjEEENS0_10empty_typeEEEZNS1_10merge_implIS3_NS0_12zip_iteratorINS5_IJN6thrust23THRUST_200600_302600_NS6detail15normal_iteratorINSC_10device_ptrIKjEEEESI_EEEEESK_NSA_INS5_IJNSE_INSF_IjEEEESM_EEEEEPS7_SP_SP_NSC_11hip_rocprim7__merge17predicate_wrapperIjjNSC_7greaterIjEEEEEE10hipError_tPvRmT0_T1_T2_T3_T4_T5_mmT6_P12ihipStream_tbEUlT_E_NS1_11comp_targetILNS1_3genE10ELNS1_11target_archE1200ELNS1_3gpuE4ELNS1_3repE0EEENS1_30default_config_static_selectorELNS0_4arch9wavefront6targetE0EEEvS10_.has_dyn_sized_stack, 0
	.set _ZN7rocprim17ROCPRIM_400000_NS6detail17trampoline_kernelINS0_14default_configENS1_21merge_config_selectorINS0_5tupleIJjjEEENS0_10empty_typeEEEZNS1_10merge_implIS3_NS0_12zip_iteratorINS5_IJN6thrust23THRUST_200600_302600_NS6detail15normal_iteratorINSC_10device_ptrIKjEEEESI_EEEEESK_NSA_INS5_IJNSE_INSF_IjEEEESM_EEEEEPS7_SP_SP_NSC_11hip_rocprim7__merge17predicate_wrapperIjjNSC_7greaterIjEEEEEE10hipError_tPvRmT0_T1_T2_T3_T4_T5_mmT6_P12ihipStream_tbEUlT_E_NS1_11comp_targetILNS1_3genE10ELNS1_11target_archE1200ELNS1_3gpuE4ELNS1_3repE0EEENS1_30default_config_static_selectorELNS0_4arch9wavefront6targetE0EEEvS10_.has_recursion, 0
	.set _ZN7rocprim17ROCPRIM_400000_NS6detail17trampoline_kernelINS0_14default_configENS1_21merge_config_selectorINS0_5tupleIJjjEEENS0_10empty_typeEEEZNS1_10merge_implIS3_NS0_12zip_iteratorINS5_IJN6thrust23THRUST_200600_302600_NS6detail15normal_iteratorINSC_10device_ptrIKjEEEESI_EEEEESK_NSA_INS5_IJNSE_INSF_IjEEEESM_EEEEEPS7_SP_SP_NSC_11hip_rocprim7__merge17predicate_wrapperIjjNSC_7greaterIjEEEEEE10hipError_tPvRmT0_T1_T2_T3_T4_T5_mmT6_P12ihipStream_tbEUlT_E_NS1_11comp_targetILNS1_3genE10ELNS1_11target_archE1200ELNS1_3gpuE4ELNS1_3repE0EEENS1_30default_config_static_selectorELNS0_4arch9wavefront6targetE0EEEvS10_.has_indirect_call, 0
	.section	.AMDGPU.csdata,"",@progbits
; Kernel info:
; codeLenInByte = 0
; TotalNumSgprs: 0
; NumVgprs: 0
; ScratchSize: 0
; MemoryBound: 0
; FloatMode: 240
; IeeeMode: 1
; LDSByteSize: 0 bytes/workgroup (compile time only)
; SGPRBlocks: 0
; VGPRBlocks: 0
; NumSGPRsForWavesPerEU: 1
; NumVGPRsForWavesPerEU: 1
; NamedBarCnt: 0
; Occupancy: 16
; WaveLimiterHint : 0
; COMPUTE_PGM_RSRC2:SCRATCH_EN: 0
; COMPUTE_PGM_RSRC2:USER_SGPR: 2
; COMPUTE_PGM_RSRC2:TRAP_HANDLER: 0
; COMPUTE_PGM_RSRC2:TGID_X_EN: 1
; COMPUTE_PGM_RSRC2:TGID_Y_EN: 0
; COMPUTE_PGM_RSRC2:TGID_Z_EN: 0
; COMPUTE_PGM_RSRC2:TIDIG_COMP_CNT: 0
	.section	.text._ZN7rocprim17ROCPRIM_400000_NS6detail17trampoline_kernelINS0_14default_configENS1_21merge_config_selectorINS0_5tupleIJjjEEENS0_10empty_typeEEEZNS1_10merge_implIS3_NS0_12zip_iteratorINS5_IJN6thrust23THRUST_200600_302600_NS6detail15normal_iteratorINSC_10device_ptrIKjEEEESI_EEEEESK_NSA_INS5_IJNSE_INSF_IjEEEESM_EEEEEPS7_SP_SP_NSC_11hip_rocprim7__merge17predicate_wrapperIjjNSC_7greaterIjEEEEEE10hipError_tPvRmT0_T1_T2_T3_T4_T5_mmT6_P12ihipStream_tbEUlT_E_NS1_11comp_targetILNS1_3genE9ELNS1_11target_archE1100ELNS1_3gpuE3ELNS1_3repE0EEENS1_30default_config_static_selectorELNS0_4arch9wavefront6targetE0EEEvS10_,"axG",@progbits,_ZN7rocprim17ROCPRIM_400000_NS6detail17trampoline_kernelINS0_14default_configENS1_21merge_config_selectorINS0_5tupleIJjjEEENS0_10empty_typeEEEZNS1_10merge_implIS3_NS0_12zip_iteratorINS5_IJN6thrust23THRUST_200600_302600_NS6detail15normal_iteratorINSC_10device_ptrIKjEEEESI_EEEEESK_NSA_INS5_IJNSE_INSF_IjEEEESM_EEEEEPS7_SP_SP_NSC_11hip_rocprim7__merge17predicate_wrapperIjjNSC_7greaterIjEEEEEE10hipError_tPvRmT0_T1_T2_T3_T4_T5_mmT6_P12ihipStream_tbEUlT_E_NS1_11comp_targetILNS1_3genE9ELNS1_11target_archE1100ELNS1_3gpuE3ELNS1_3repE0EEENS1_30default_config_static_selectorELNS0_4arch9wavefront6targetE0EEEvS10_,comdat
	.protected	_ZN7rocprim17ROCPRIM_400000_NS6detail17trampoline_kernelINS0_14default_configENS1_21merge_config_selectorINS0_5tupleIJjjEEENS0_10empty_typeEEEZNS1_10merge_implIS3_NS0_12zip_iteratorINS5_IJN6thrust23THRUST_200600_302600_NS6detail15normal_iteratorINSC_10device_ptrIKjEEEESI_EEEEESK_NSA_INS5_IJNSE_INSF_IjEEEESM_EEEEEPS7_SP_SP_NSC_11hip_rocprim7__merge17predicate_wrapperIjjNSC_7greaterIjEEEEEE10hipError_tPvRmT0_T1_T2_T3_T4_T5_mmT6_P12ihipStream_tbEUlT_E_NS1_11comp_targetILNS1_3genE9ELNS1_11target_archE1100ELNS1_3gpuE3ELNS1_3repE0EEENS1_30default_config_static_selectorELNS0_4arch9wavefront6targetE0EEEvS10_ ; -- Begin function _ZN7rocprim17ROCPRIM_400000_NS6detail17trampoline_kernelINS0_14default_configENS1_21merge_config_selectorINS0_5tupleIJjjEEENS0_10empty_typeEEEZNS1_10merge_implIS3_NS0_12zip_iteratorINS5_IJN6thrust23THRUST_200600_302600_NS6detail15normal_iteratorINSC_10device_ptrIKjEEEESI_EEEEESK_NSA_INS5_IJNSE_INSF_IjEEEESM_EEEEEPS7_SP_SP_NSC_11hip_rocprim7__merge17predicate_wrapperIjjNSC_7greaterIjEEEEEE10hipError_tPvRmT0_T1_T2_T3_T4_T5_mmT6_P12ihipStream_tbEUlT_E_NS1_11comp_targetILNS1_3genE9ELNS1_11target_archE1100ELNS1_3gpuE3ELNS1_3repE0EEENS1_30default_config_static_selectorELNS0_4arch9wavefront6targetE0EEEvS10_
	.globl	_ZN7rocprim17ROCPRIM_400000_NS6detail17trampoline_kernelINS0_14default_configENS1_21merge_config_selectorINS0_5tupleIJjjEEENS0_10empty_typeEEEZNS1_10merge_implIS3_NS0_12zip_iteratorINS5_IJN6thrust23THRUST_200600_302600_NS6detail15normal_iteratorINSC_10device_ptrIKjEEEESI_EEEEESK_NSA_INS5_IJNSE_INSF_IjEEEESM_EEEEEPS7_SP_SP_NSC_11hip_rocprim7__merge17predicate_wrapperIjjNSC_7greaterIjEEEEEE10hipError_tPvRmT0_T1_T2_T3_T4_T5_mmT6_P12ihipStream_tbEUlT_E_NS1_11comp_targetILNS1_3genE9ELNS1_11target_archE1100ELNS1_3gpuE3ELNS1_3repE0EEENS1_30default_config_static_selectorELNS0_4arch9wavefront6targetE0EEEvS10_
	.p2align	8
	.type	_ZN7rocprim17ROCPRIM_400000_NS6detail17trampoline_kernelINS0_14default_configENS1_21merge_config_selectorINS0_5tupleIJjjEEENS0_10empty_typeEEEZNS1_10merge_implIS3_NS0_12zip_iteratorINS5_IJN6thrust23THRUST_200600_302600_NS6detail15normal_iteratorINSC_10device_ptrIKjEEEESI_EEEEESK_NSA_INS5_IJNSE_INSF_IjEEEESM_EEEEEPS7_SP_SP_NSC_11hip_rocprim7__merge17predicate_wrapperIjjNSC_7greaterIjEEEEEE10hipError_tPvRmT0_T1_T2_T3_T4_T5_mmT6_P12ihipStream_tbEUlT_E_NS1_11comp_targetILNS1_3genE9ELNS1_11target_archE1100ELNS1_3gpuE3ELNS1_3repE0EEENS1_30default_config_static_selectorELNS0_4arch9wavefront6targetE0EEEvS10_,@function
_ZN7rocprim17ROCPRIM_400000_NS6detail17trampoline_kernelINS0_14default_configENS1_21merge_config_selectorINS0_5tupleIJjjEEENS0_10empty_typeEEEZNS1_10merge_implIS3_NS0_12zip_iteratorINS5_IJN6thrust23THRUST_200600_302600_NS6detail15normal_iteratorINSC_10device_ptrIKjEEEESI_EEEEESK_NSA_INS5_IJNSE_INSF_IjEEEESM_EEEEEPS7_SP_SP_NSC_11hip_rocprim7__merge17predicate_wrapperIjjNSC_7greaterIjEEEEEE10hipError_tPvRmT0_T1_T2_T3_T4_T5_mmT6_P12ihipStream_tbEUlT_E_NS1_11comp_targetILNS1_3genE9ELNS1_11target_archE1100ELNS1_3gpuE3ELNS1_3repE0EEENS1_30default_config_static_selectorELNS0_4arch9wavefront6targetE0EEEvS10_: ; @_ZN7rocprim17ROCPRIM_400000_NS6detail17trampoline_kernelINS0_14default_configENS1_21merge_config_selectorINS0_5tupleIJjjEEENS0_10empty_typeEEEZNS1_10merge_implIS3_NS0_12zip_iteratorINS5_IJN6thrust23THRUST_200600_302600_NS6detail15normal_iteratorINSC_10device_ptrIKjEEEESI_EEEEESK_NSA_INS5_IJNSE_INSF_IjEEEESM_EEEEEPS7_SP_SP_NSC_11hip_rocprim7__merge17predicate_wrapperIjjNSC_7greaterIjEEEEEE10hipError_tPvRmT0_T1_T2_T3_T4_T5_mmT6_P12ihipStream_tbEUlT_E_NS1_11comp_targetILNS1_3genE9ELNS1_11target_archE1100ELNS1_3gpuE3ELNS1_3repE0EEENS1_30default_config_static_selectorELNS0_4arch9wavefront6targetE0EEEvS10_
; %bb.0:
	.section	.rodata,"a",@progbits
	.p2align	6, 0x0
	.amdhsa_kernel _ZN7rocprim17ROCPRIM_400000_NS6detail17trampoline_kernelINS0_14default_configENS1_21merge_config_selectorINS0_5tupleIJjjEEENS0_10empty_typeEEEZNS1_10merge_implIS3_NS0_12zip_iteratorINS5_IJN6thrust23THRUST_200600_302600_NS6detail15normal_iteratorINSC_10device_ptrIKjEEEESI_EEEEESK_NSA_INS5_IJNSE_INSF_IjEEEESM_EEEEEPS7_SP_SP_NSC_11hip_rocprim7__merge17predicate_wrapperIjjNSC_7greaterIjEEEEEE10hipError_tPvRmT0_T1_T2_T3_T4_T5_mmT6_P12ihipStream_tbEUlT_E_NS1_11comp_targetILNS1_3genE9ELNS1_11target_archE1100ELNS1_3gpuE3ELNS1_3repE0EEENS1_30default_config_static_selectorELNS0_4arch9wavefront6targetE0EEEvS10_
		.amdhsa_group_segment_fixed_size 0
		.amdhsa_private_segment_fixed_size 0
		.amdhsa_kernarg_size 64
		.amdhsa_user_sgpr_count 2
		.amdhsa_user_sgpr_dispatch_ptr 0
		.amdhsa_user_sgpr_queue_ptr 0
		.amdhsa_user_sgpr_kernarg_segment_ptr 1
		.amdhsa_user_sgpr_dispatch_id 0
		.amdhsa_user_sgpr_kernarg_preload_length 0
		.amdhsa_user_sgpr_kernarg_preload_offset 0
		.amdhsa_user_sgpr_private_segment_size 0
		.amdhsa_wavefront_size32 1
		.amdhsa_uses_dynamic_stack 0
		.amdhsa_enable_private_segment 0
		.amdhsa_system_sgpr_workgroup_id_x 1
		.amdhsa_system_sgpr_workgroup_id_y 0
		.amdhsa_system_sgpr_workgroup_id_z 0
		.amdhsa_system_sgpr_workgroup_info 0
		.amdhsa_system_vgpr_workitem_id 0
		.amdhsa_next_free_vgpr 1
		.amdhsa_next_free_sgpr 1
		.amdhsa_named_barrier_count 0
		.amdhsa_reserve_vcc 0
		.amdhsa_float_round_mode_32 0
		.amdhsa_float_round_mode_16_64 0
		.amdhsa_float_denorm_mode_32 3
		.amdhsa_float_denorm_mode_16_64 3
		.amdhsa_fp16_overflow 0
		.amdhsa_memory_ordered 1
		.amdhsa_forward_progress 1
		.amdhsa_inst_pref_size 0
		.amdhsa_round_robin_scheduling 0
		.amdhsa_exception_fp_ieee_invalid_op 0
		.amdhsa_exception_fp_denorm_src 0
		.amdhsa_exception_fp_ieee_div_zero 0
		.amdhsa_exception_fp_ieee_overflow 0
		.amdhsa_exception_fp_ieee_underflow 0
		.amdhsa_exception_fp_ieee_inexact 0
		.amdhsa_exception_int_div_zero 0
	.end_amdhsa_kernel
	.section	.text._ZN7rocprim17ROCPRIM_400000_NS6detail17trampoline_kernelINS0_14default_configENS1_21merge_config_selectorINS0_5tupleIJjjEEENS0_10empty_typeEEEZNS1_10merge_implIS3_NS0_12zip_iteratorINS5_IJN6thrust23THRUST_200600_302600_NS6detail15normal_iteratorINSC_10device_ptrIKjEEEESI_EEEEESK_NSA_INS5_IJNSE_INSF_IjEEEESM_EEEEEPS7_SP_SP_NSC_11hip_rocprim7__merge17predicate_wrapperIjjNSC_7greaterIjEEEEEE10hipError_tPvRmT0_T1_T2_T3_T4_T5_mmT6_P12ihipStream_tbEUlT_E_NS1_11comp_targetILNS1_3genE9ELNS1_11target_archE1100ELNS1_3gpuE3ELNS1_3repE0EEENS1_30default_config_static_selectorELNS0_4arch9wavefront6targetE0EEEvS10_,"axG",@progbits,_ZN7rocprim17ROCPRIM_400000_NS6detail17trampoline_kernelINS0_14default_configENS1_21merge_config_selectorINS0_5tupleIJjjEEENS0_10empty_typeEEEZNS1_10merge_implIS3_NS0_12zip_iteratorINS5_IJN6thrust23THRUST_200600_302600_NS6detail15normal_iteratorINSC_10device_ptrIKjEEEESI_EEEEESK_NSA_INS5_IJNSE_INSF_IjEEEESM_EEEEEPS7_SP_SP_NSC_11hip_rocprim7__merge17predicate_wrapperIjjNSC_7greaterIjEEEEEE10hipError_tPvRmT0_T1_T2_T3_T4_T5_mmT6_P12ihipStream_tbEUlT_E_NS1_11comp_targetILNS1_3genE9ELNS1_11target_archE1100ELNS1_3gpuE3ELNS1_3repE0EEENS1_30default_config_static_selectorELNS0_4arch9wavefront6targetE0EEEvS10_,comdat
.Lfunc_end378:
	.size	_ZN7rocprim17ROCPRIM_400000_NS6detail17trampoline_kernelINS0_14default_configENS1_21merge_config_selectorINS0_5tupleIJjjEEENS0_10empty_typeEEEZNS1_10merge_implIS3_NS0_12zip_iteratorINS5_IJN6thrust23THRUST_200600_302600_NS6detail15normal_iteratorINSC_10device_ptrIKjEEEESI_EEEEESK_NSA_INS5_IJNSE_INSF_IjEEEESM_EEEEEPS7_SP_SP_NSC_11hip_rocprim7__merge17predicate_wrapperIjjNSC_7greaterIjEEEEEE10hipError_tPvRmT0_T1_T2_T3_T4_T5_mmT6_P12ihipStream_tbEUlT_E_NS1_11comp_targetILNS1_3genE9ELNS1_11target_archE1100ELNS1_3gpuE3ELNS1_3repE0EEENS1_30default_config_static_selectorELNS0_4arch9wavefront6targetE0EEEvS10_, .Lfunc_end378-_ZN7rocprim17ROCPRIM_400000_NS6detail17trampoline_kernelINS0_14default_configENS1_21merge_config_selectorINS0_5tupleIJjjEEENS0_10empty_typeEEEZNS1_10merge_implIS3_NS0_12zip_iteratorINS5_IJN6thrust23THRUST_200600_302600_NS6detail15normal_iteratorINSC_10device_ptrIKjEEEESI_EEEEESK_NSA_INS5_IJNSE_INSF_IjEEEESM_EEEEEPS7_SP_SP_NSC_11hip_rocprim7__merge17predicate_wrapperIjjNSC_7greaterIjEEEEEE10hipError_tPvRmT0_T1_T2_T3_T4_T5_mmT6_P12ihipStream_tbEUlT_E_NS1_11comp_targetILNS1_3genE9ELNS1_11target_archE1100ELNS1_3gpuE3ELNS1_3repE0EEENS1_30default_config_static_selectorELNS0_4arch9wavefront6targetE0EEEvS10_
                                        ; -- End function
	.set _ZN7rocprim17ROCPRIM_400000_NS6detail17trampoline_kernelINS0_14default_configENS1_21merge_config_selectorINS0_5tupleIJjjEEENS0_10empty_typeEEEZNS1_10merge_implIS3_NS0_12zip_iteratorINS5_IJN6thrust23THRUST_200600_302600_NS6detail15normal_iteratorINSC_10device_ptrIKjEEEESI_EEEEESK_NSA_INS5_IJNSE_INSF_IjEEEESM_EEEEEPS7_SP_SP_NSC_11hip_rocprim7__merge17predicate_wrapperIjjNSC_7greaterIjEEEEEE10hipError_tPvRmT0_T1_T2_T3_T4_T5_mmT6_P12ihipStream_tbEUlT_E_NS1_11comp_targetILNS1_3genE9ELNS1_11target_archE1100ELNS1_3gpuE3ELNS1_3repE0EEENS1_30default_config_static_selectorELNS0_4arch9wavefront6targetE0EEEvS10_.num_vgpr, 0
	.set _ZN7rocprim17ROCPRIM_400000_NS6detail17trampoline_kernelINS0_14default_configENS1_21merge_config_selectorINS0_5tupleIJjjEEENS0_10empty_typeEEEZNS1_10merge_implIS3_NS0_12zip_iteratorINS5_IJN6thrust23THRUST_200600_302600_NS6detail15normal_iteratorINSC_10device_ptrIKjEEEESI_EEEEESK_NSA_INS5_IJNSE_INSF_IjEEEESM_EEEEEPS7_SP_SP_NSC_11hip_rocprim7__merge17predicate_wrapperIjjNSC_7greaterIjEEEEEE10hipError_tPvRmT0_T1_T2_T3_T4_T5_mmT6_P12ihipStream_tbEUlT_E_NS1_11comp_targetILNS1_3genE9ELNS1_11target_archE1100ELNS1_3gpuE3ELNS1_3repE0EEENS1_30default_config_static_selectorELNS0_4arch9wavefront6targetE0EEEvS10_.num_agpr, 0
	.set _ZN7rocprim17ROCPRIM_400000_NS6detail17trampoline_kernelINS0_14default_configENS1_21merge_config_selectorINS0_5tupleIJjjEEENS0_10empty_typeEEEZNS1_10merge_implIS3_NS0_12zip_iteratorINS5_IJN6thrust23THRUST_200600_302600_NS6detail15normal_iteratorINSC_10device_ptrIKjEEEESI_EEEEESK_NSA_INS5_IJNSE_INSF_IjEEEESM_EEEEEPS7_SP_SP_NSC_11hip_rocprim7__merge17predicate_wrapperIjjNSC_7greaterIjEEEEEE10hipError_tPvRmT0_T1_T2_T3_T4_T5_mmT6_P12ihipStream_tbEUlT_E_NS1_11comp_targetILNS1_3genE9ELNS1_11target_archE1100ELNS1_3gpuE3ELNS1_3repE0EEENS1_30default_config_static_selectorELNS0_4arch9wavefront6targetE0EEEvS10_.numbered_sgpr, 0
	.set _ZN7rocprim17ROCPRIM_400000_NS6detail17trampoline_kernelINS0_14default_configENS1_21merge_config_selectorINS0_5tupleIJjjEEENS0_10empty_typeEEEZNS1_10merge_implIS3_NS0_12zip_iteratorINS5_IJN6thrust23THRUST_200600_302600_NS6detail15normal_iteratorINSC_10device_ptrIKjEEEESI_EEEEESK_NSA_INS5_IJNSE_INSF_IjEEEESM_EEEEEPS7_SP_SP_NSC_11hip_rocprim7__merge17predicate_wrapperIjjNSC_7greaterIjEEEEEE10hipError_tPvRmT0_T1_T2_T3_T4_T5_mmT6_P12ihipStream_tbEUlT_E_NS1_11comp_targetILNS1_3genE9ELNS1_11target_archE1100ELNS1_3gpuE3ELNS1_3repE0EEENS1_30default_config_static_selectorELNS0_4arch9wavefront6targetE0EEEvS10_.num_named_barrier, 0
	.set _ZN7rocprim17ROCPRIM_400000_NS6detail17trampoline_kernelINS0_14default_configENS1_21merge_config_selectorINS0_5tupleIJjjEEENS0_10empty_typeEEEZNS1_10merge_implIS3_NS0_12zip_iteratorINS5_IJN6thrust23THRUST_200600_302600_NS6detail15normal_iteratorINSC_10device_ptrIKjEEEESI_EEEEESK_NSA_INS5_IJNSE_INSF_IjEEEESM_EEEEEPS7_SP_SP_NSC_11hip_rocprim7__merge17predicate_wrapperIjjNSC_7greaterIjEEEEEE10hipError_tPvRmT0_T1_T2_T3_T4_T5_mmT6_P12ihipStream_tbEUlT_E_NS1_11comp_targetILNS1_3genE9ELNS1_11target_archE1100ELNS1_3gpuE3ELNS1_3repE0EEENS1_30default_config_static_selectorELNS0_4arch9wavefront6targetE0EEEvS10_.private_seg_size, 0
	.set _ZN7rocprim17ROCPRIM_400000_NS6detail17trampoline_kernelINS0_14default_configENS1_21merge_config_selectorINS0_5tupleIJjjEEENS0_10empty_typeEEEZNS1_10merge_implIS3_NS0_12zip_iteratorINS5_IJN6thrust23THRUST_200600_302600_NS6detail15normal_iteratorINSC_10device_ptrIKjEEEESI_EEEEESK_NSA_INS5_IJNSE_INSF_IjEEEESM_EEEEEPS7_SP_SP_NSC_11hip_rocprim7__merge17predicate_wrapperIjjNSC_7greaterIjEEEEEE10hipError_tPvRmT0_T1_T2_T3_T4_T5_mmT6_P12ihipStream_tbEUlT_E_NS1_11comp_targetILNS1_3genE9ELNS1_11target_archE1100ELNS1_3gpuE3ELNS1_3repE0EEENS1_30default_config_static_selectorELNS0_4arch9wavefront6targetE0EEEvS10_.uses_vcc, 0
	.set _ZN7rocprim17ROCPRIM_400000_NS6detail17trampoline_kernelINS0_14default_configENS1_21merge_config_selectorINS0_5tupleIJjjEEENS0_10empty_typeEEEZNS1_10merge_implIS3_NS0_12zip_iteratorINS5_IJN6thrust23THRUST_200600_302600_NS6detail15normal_iteratorINSC_10device_ptrIKjEEEESI_EEEEESK_NSA_INS5_IJNSE_INSF_IjEEEESM_EEEEEPS7_SP_SP_NSC_11hip_rocprim7__merge17predicate_wrapperIjjNSC_7greaterIjEEEEEE10hipError_tPvRmT0_T1_T2_T3_T4_T5_mmT6_P12ihipStream_tbEUlT_E_NS1_11comp_targetILNS1_3genE9ELNS1_11target_archE1100ELNS1_3gpuE3ELNS1_3repE0EEENS1_30default_config_static_selectorELNS0_4arch9wavefront6targetE0EEEvS10_.uses_flat_scratch, 0
	.set _ZN7rocprim17ROCPRIM_400000_NS6detail17trampoline_kernelINS0_14default_configENS1_21merge_config_selectorINS0_5tupleIJjjEEENS0_10empty_typeEEEZNS1_10merge_implIS3_NS0_12zip_iteratorINS5_IJN6thrust23THRUST_200600_302600_NS6detail15normal_iteratorINSC_10device_ptrIKjEEEESI_EEEEESK_NSA_INS5_IJNSE_INSF_IjEEEESM_EEEEEPS7_SP_SP_NSC_11hip_rocprim7__merge17predicate_wrapperIjjNSC_7greaterIjEEEEEE10hipError_tPvRmT0_T1_T2_T3_T4_T5_mmT6_P12ihipStream_tbEUlT_E_NS1_11comp_targetILNS1_3genE9ELNS1_11target_archE1100ELNS1_3gpuE3ELNS1_3repE0EEENS1_30default_config_static_selectorELNS0_4arch9wavefront6targetE0EEEvS10_.has_dyn_sized_stack, 0
	.set _ZN7rocprim17ROCPRIM_400000_NS6detail17trampoline_kernelINS0_14default_configENS1_21merge_config_selectorINS0_5tupleIJjjEEENS0_10empty_typeEEEZNS1_10merge_implIS3_NS0_12zip_iteratorINS5_IJN6thrust23THRUST_200600_302600_NS6detail15normal_iteratorINSC_10device_ptrIKjEEEESI_EEEEESK_NSA_INS5_IJNSE_INSF_IjEEEESM_EEEEEPS7_SP_SP_NSC_11hip_rocprim7__merge17predicate_wrapperIjjNSC_7greaterIjEEEEEE10hipError_tPvRmT0_T1_T2_T3_T4_T5_mmT6_P12ihipStream_tbEUlT_E_NS1_11comp_targetILNS1_3genE9ELNS1_11target_archE1100ELNS1_3gpuE3ELNS1_3repE0EEENS1_30default_config_static_selectorELNS0_4arch9wavefront6targetE0EEEvS10_.has_recursion, 0
	.set _ZN7rocprim17ROCPRIM_400000_NS6detail17trampoline_kernelINS0_14default_configENS1_21merge_config_selectorINS0_5tupleIJjjEEENS0_10empty_typeEEEZNS1_10merge_implIS3_NS0_12zip_iteratorINS5_IJN6thrust23THRUST_200600_302600_NS6detail15normal_iteratorINSC_10device_ptrIKjEEEESI_EEEEESK_NSA_INS5_IJNSE_INSF_IjEEEESM_EEEEEPS7_SP_SP_NSC_11hip_rocprim7__merge17predicate_wrapperIjjNSC_7greaterIjEEEEEE10hipError_tPvRmT0_T1_T2_T3_T4_T5_mmT6_P12ihipStream_tbEUlT_E_NS1_11comp_targetILNS1_3genE9ELNS1_11target_archE1100ELNS1_3gpuE3ELNS1_3repE0EEENS1_30default_config_static_selectorELNS0_4arch9wavefront6targetE0EEEvS10_.has_indirect_call, 0
	.section	.AMDGPU.csdata,"",@progbits
; Kernel info:
; codeLenInByte = 0
; TotalNumSgprs: 0
; NumVgprs: 0
; ScratchSize: 0
; MemoryBound: 0
; FloatMode: 240
; IeeeMode: 1
; LDSByteSize: 0 bytes/workgroup (compile time only)
; SGPRBlocks: 0
; VGPRBlocks: 0
; NumSGPRsForWavesPerEU: 1
; NumVGPRsForWavesPerEU: 1
; NamedBarCnt: 0
; Occupancy: 16
; WaveLimiterHint : 0
; COMPUTE_PGM_RSRC2:SCRATCH_EN: 0
; COMPUTE_PGM_RSRC2:USER_SGPR: 2
; COMPUTE_PGM_RSRC2:TRAP_HANDLER: 0
; COMPUTE_PGM_RSRC2:TGID_X_EN: 1
; COMPUTE_PGM_RSRC2:TGID_Y_EN: 0
; COMPUTE_PGM_RSRC2:TGID_Z_EN: 0
; COMPUTE_PGM_RSRC2:TIDIG_COMP_CNT: 0
	.section	.text._ZN7rocprim17ROCPRIM_400000_NS6detail17trampoline_kernelINS0_14default_configENS1_21merge_config_selectorINS0_5tupleIJjjEEENS0_10empty_typeEEEZNS1_10merge_implIS3_NS0_12zip_iteratorINS5_IJN6thrust23THRUST_200600_302600_NS6detail15normal_iteratorINSC_10device_ptrIKjEEEESI_EEEEESK_NSA_INS5_IJNSE_INSF_IjEEEESM_EEEEEPS7_SP_SP_NSC_11hip_rocprim7__merge17predicate_wrapperIjjNSC_7greaterIjEEEEEE10hipError_tPvRmT0_T1_T2_T3_T4_T5_mmT6_P12ihipStream_tbEUlT_E_NS1_11comp_targetILNS1_3genE8ELNS1_11target_archE1030ELNS1_3gpuE2ELNS1_3repE0EEENS1_30default_config_static_selectorELNS0_4arch9wavefront6targetE0EEEvS10_,"axG",@progbits,_ZN7rocprim17ROCPRIM_400000_NS6detail17trampoline_kernelINS0_14default_configENS1_21merge_config_selectorINS0_5tupleIJjjEEENS0_10empty_typeEEEZNS1_10merge_implIS3_NS0_12zip_iteratorINS5_IJN6thrust23THRUST_200600_302600_NS6detail15normal_iteratorINSC_10device_ptrIKjEEEESI_EEEEESK_NSA_INS5_IJNSE_INSF_IjEEEESM_EEEEEPS7_SP_SP_NSC_11hip_rocprim7__merge17predicate_wrapperIjjNSC_7greaterIjEEEEEE10hipError_tPvRmT0_T1_T2_T3_T4_T5_mmT6_P12ihipStream_tbEUlT_E_NS1_11comp_targetILNS1_3genE8ELNS1_11target_archE1030ELNS1_3gpuE2ELNS1_3repE0EEENS1_30default_config_static_selectorELNS0_4arch9wavefront6targetE0EEEvS10_,comdat
	.protected	_ZN7rocprim17ROCPRIM_400000_NS6detail17trampoline_kernelINS0_14default_configENS1_21merge_config_selectorINS0_5tupleIJjjEEENS0_10empty_typeEEEZNS1_10merge_implIS3_NS0_12zip_iteratorINS5_IJN6thrust23THRUST_200600_302600_NS6detail15normal_iteratorINSC_10device_ptrIKjEEEESI_EEEEESK_NSA_INS5_IJNSE_INSF_IjEEEESM_EEEEEPS7_SP_SP_NSC_11hip_rocprim7__merge17predicate_wrapperIjjNSC_7greaterIjEEEEEE10hipError_tPvRmT0_T1_T2_T3_T4_T5_mmT6_P12ihipStream_tbEUlT_E_NS1_11comp_targetILNS1_3genE8ELNS1_11target_archE1030ELNS1_3gpuE2ELNS1_3repE0EEENS1_30default_config_static_selectorELNS0_4arch9wavefront6targetE0EEEvS10_ ; -- Begin function _ZN7rocprim17ROCPRIM_400000_NS6detail17trampoline_kernelINS0_14default_configENS1_21merge_config_selectorINS0_5tupleIJjjEEENS0_10empty_typeEEEZNS1_10merge_implIS3_NS0_12zip_iteratorINS5_IJN6thrust23THRUST_200600_302600_NS6detail15normal_iteratorINSC_10device_ptrIKjEEEESI_EEEEESK_NSA_INS5_IJNSE_INSF_IjEEEESM_EEEEEPS7_SP_SP_NSC_11hip_rocprim7__merge17predicate_wrapperIjjNSC_7greaterIjEEEEEE10hipError_tPvRmT0_T1_T2_T3_T4_T5_mmT6_P12ihipStream_tbEUlT_E_NS1_11comp_targetILNS1_3genE8ELNS1_11target_archE1030ELNS1_3gpuE2ELNS1_3repE0EEENS1_30default_config_static_selectorELNS0_4arch9wavefront6targetE0EEEvS10_
	.globl	_ZN7rocprim17ROCPRIM_400000_NS6detail17trampoline_kernelINS0_14default_configENS1_21merge_config_selectorINS0_5tupleIJjjEEENS0_10empty_typeEEEZNS1_10merge_implIS3_NS0_12zip_iteratorINS5_IJN6thrust23THRUST_200600_302600_NS6detail15normal_iteratorINSC_10device_ptrIKjEEEESI_EEEEESK_NSA_INS5_IJNSE_INSF_IjEEEESM_EEEEEPS7_SP_SP_NSC_11hip_rocprim7__merge17predicate_wrapperIjjNSC_7greaterIjEEEEEE10hipError_tPvRmT0_T1_T2_T3_T4_T5_mmT6_P12ihipStream_tbEUlT_E_NS1_11comp_targetILNS1_3genE8ELNS1_11target_archE1030ELNS1_3gpuE2ELNS1_3repE0EEENS1_30default_config_static_selectorELNS0_4arch9wavefront6targetE0EEEvS10_
	.p2align	8
	.type	_ZN7rocprim17ROCPRIM_400000_NS6detail17trampoline_kernelINS0_14default_configENS1_21merge_config_selectorINS0_5tupleIJjjEEENS0_10empty_typeEEEZNS1_10merge_implIS3_NS0_12zip_iteratorINS5_IJN6thrust23THRUST_200600_302600_NS6detail15normal_iteratorINSC_10device_ptrIKjEEEESI_EEEEESK_NSA_INS5_IJNSE_INSF_IjEEEESM_EEEEEPS7_SP_SP_NSC_11hip_rocprim7__merge17predicate_wrapperIjjNSC_7greaterIjEEEEEE10hipError_tPvRmT0_T1_T2_T3_T4_T5_mmT6_P12ihipStream_tbEUlT_E_NS1_11comp_targetILNS1_3genE8ELNS1_11target_archE1030ELNS1_3gpuE2ELNS1_3repE0EEENS1_30default_config_static_selectorELNS0_4arch9wavefront6targetE0EEEvS10_,@function
_ZN7rocprim17ROCPRIM_400000_NS6detail17trampoline_kernelINS0_14default_configENS1_21merge_config_selectorINS0_5tupleIJjjEEENS0_10empty_typeEEEZNS1_10merge_implIS3_NS0_12zip_iteratorINS5_IJN6thrust23THRUST_200600_302600_NS6detail15normal_iteratorINSC_10device_ptrIKjEEEESI_EEEEESK_NSA_INS5_IJNSE_INSF_IjEEEESM_EEEEEPS7_SP_SP_NSC_11hip_rocprim7__merge17predicate_wrapperIjjNSC_7greaterIjEEEEEE10hipError_tPvRmT0_T1_T2_T3_T4_T5_mmT6_P12ihipStream_tbEUlT_E_NS1_11comp_targetILNS1_3genE8ELNS1_11target_archE1030ELNS1_3gpuE2ELNS1_3repE0EEENS1_30default_config_static_selectorELNS0_4arch9wavefront6targetE0EEEvS10_: ; @_ZN7rocprim17ROCPRIM_400000_NS6detail17trampoline_kernelINS0_14default_configENS1_21merge_config_selectorINS0_5tupleIJjjEEENS0_10empty_typeEEEZNS1_10merge_implIS3_NS0_12zip_iteratorINS5_IJN6thrust23THRUST_200600_302600_NS6detail15normal_iteratorINSC_10device_ptrIKjEEEESI_EEEEESK_NSA_INS5_IJNSE_INSF_IjEEEESM_EEEEEPS7_SP_SP_NSC_11hip_rocprim7__merge17predicate_wrapperIjjNSC_7greaterIjEEEEEE10hipError_tPvRmT0_T1_T2_T3_T4_T5_mmT6_P12ihipStream_tbEUlT_E_NS1_11comp_targetILNS1_3genE8ELNS1_11target_archE1030ELNS1_3gpuE2ELNS1_3repE0EEENS1_30default_config_static_selectorELNS0_4arch9wavefront6targetE0EEEvS10_
; %bb.0:
	.section	.rodata,"a",@progbits
	.p2align	6, 0x0
	.amdhsa_kernel _ZN7rocprim17ROCPRIM_400000_NS6detail17trampoline_kernelINS0_14default_configENS1_21merge_config_selectorINS0_5tupleIJjjEEENS0_10empty_typeEEEZNS1_10merge_implIS3_NS0_12zip_iteratorINS5_IJN6thrust23THRUST_200600_302600_NS6detail15normal_iteratorINSC_10device_ptrIKjEEEESI_EEEEESK_NSA_INS5_IJNSE_INSF_IjEEEESM_EEEEEPS7_SP_SP_NSC_11hip_rocprim7__merge17predicate_wrapperIjjNSC_7greaterIjEEEEEE10hipError_tPvRmT0_T1_T2_T3_T4_T5_mmT6_P12ihipStream_tbEUlT_E_NS1_11comp_targetILNS1_3genE8ELNS1_11target_archE1030ELNS1_3gpuE2ELNS1_3repE0EEENS1_30default_config_static_selectorELNS0_4arch9wavefront6targetE0EEEvS10_
		.amdhsa_group_segment_fixed_size 0
		.amdhsa_private_segment_fixed_size 0
		.amdhsa_kernarg_size 64
		.amdhsa_user_sgpr_count 2
		.amdhsa_user_sgpr_dispatch_ptr 0
		.amdhsa_user_sgpr_queue_ptr 0
		.amdhsa_user_sgpr_kernarg_segment_ptr 1
		.amdhsa_user_sgpr_dispatch_id 0
		.amdhsa_user_sgpr_kernarg_preload_length 0
		.amdhsa_user_sgpr_kernarg_preload_offset 0
		.amdhsa_user_sgpr_private_segment_size 0
		.amdhsa_wavefront_size32 1
		.amdhsa_uses_dynamic_stack 0
		.amdhsa_enable_private_segment 0
		.amdhsa_system_sgpr_workgroup_id_x 1
		.amdhsa_system_sgpr_workgroup_id_y 0
		.amdhsa_system_sgpr_workgroup_id_z 0
		.amdhsa_system_sgpr_workgroup_info 0
		.amdhsa_system_vgpr_workitem_id 0
		.amdhsa_next_free_vgpr 1
		.amdhsa_next_free_sgpr 1
		.amdhsa_named_barrier_count 0
		.amdhsa_reserve_vcc 0
		.amdhsa_float_round_mode_32 0
		.amdhsa_float_round_mode_16_64 0
		.amdhsa_float_denorm_mode_32 3
		.amdhsa_float_denorm_mode_16_64 3
		.amdhsa_fp16_overflow 0
		.amdhsa_memory_ordered 1
		.amdhsa_forward_progress 1
		.amdhsa_inst_pref_size 0
		.amdhsa_round_robin_scheduling 0
		.amdhsa_exception_fp_ieee_invalid_op 0
		.amdhsa_exception_fp_denorm_src 0
		.amdhsa_exception_fp_ieee_div_zero 0
		.amdhsa_exception_fp_ieee_overflow 0
		.amdhsa_exception_fp_ieee_underflow 0
		.amdhsa_exception_fp_ieee_inexact 0
		.amdhsa_exception_int_div_zero 0
	.end_amdhsa_kernel
	.section	.text._ZN7rocprim17ROCPRIM_400000_NS6detail17trampoline_kernelINS0_14default_configENS1_21merge_config_selectorINS0_5tupleIJjjEEENS0_10empty_typeEEEZNS1_10merge_implIS3_NS0_12zip_iteratorINS5_IJN6thrust23THRUST_200600_302600_NS6detail15normal_iteratorINSC_10device_ptrIKjEEEESI_EEEEESK_NSA_INS5_IJNSE_INSF_IjEEEESM_EEEEEPS7_SP_SP_NSC_11hip_rocprim7__merge17predicate_wrapperIjjNSC_7greaterIjEEEEEE10hipError_tPvRmT0_T1_T2_T3_T4_T5_mmT6_P12ihipStream_tbEUlT_E_NS1_11comp_targetILNS1_3genE8ELNS1_11target_archE1030ELNS1_3gpuE2ELNS1_3repE0EEENS1_30default_config_static_selectorELNS0_4arch9wavefront6targetE0EEEvS10_,"axG",@progbits,_ZN7rocprim17ROCPRIM_400000_NS6detail17trampoline_kernelINS0_14default_configENS1_21merge_config_selectorINS0_5tupleIJjjEEENS0_10empty_typeEEEZNS1_10merge_implIS3_NS0_12zip_iteratorINS5_IJN6thrust23THRUST_200600_302600_NS6detail15normal_iteratorINSC_10device_ptrIKjEEEESI_EEEEESK_NSA_INS5_IJNSE_INSF_IjEEEESM_EEEEEPS7_SP_SP_NSC_11hip_rocprim7__merge17predicate_wrapperIjjNSC_7greaterIjEEEEEE10hipError_tPvRmT0_T1_T2_T3_T4_T5_mmT6_P12ihipStream_tbEUlT_E_NS1_11comp_targetILNS1_3genE8ELNS1_11target_archE1030ELNS1_3gpuE2ELNS1_3repE0EEENS1_30default_config_static_selectorELNS0_4arch9wavefront6targetE0EEEvS10_,comdat
.Lfunc_end379:
	.size	_ZN7rocprim17ROCPRIM_400000_NS6detail17trampoline_kernelINS0_14default_configENS1_21merge_config_selectorINS0_5tupleIJjjEEENS0_10empty_typeEEEZNS1_10merge_implIS3_NS0_12zip_iteratorINS5_IJN6thrust23THRUST_200600_302600_NS6detail15normal_iteratorINSC_10device_ptrIKjEEEESI_EEEEESK_NSA_INS5_IJNSE_INSF_IjEEEESM_EEEEEPS7_SP_SP_NSC_11hip_rocprim7__merge17predicate_wrapperIjjNSC_7greaterIjEEEEEE10hipError_tPvRmT0_T1_T2_T3_T4_T5_mmT6_P12ihipStream_tbEUlT_E_NS1_11comp_targetILNS1_3genE8ELNS1_11target_archE1030ELNS1_3gpuE2ELNS1_3repE0EEENS1_30default_config_static_selectorELNS0_4arch9wavefront6targetE0EEEvS10_, .Lfunc_end379-_ZN7rocprim17ROCPRIM_400000_NS6detail17trampoline_kernelINS0_14default_configENS1_21merge_config_selectorINS0_5tupleIJjjEEENS0_10empty_typeEEEZNS1_10merge_implIS3_NS0_12zip_iteratorINS5_IJN6thrust23THRUST_200600_302600_NS6detail15normal_iteratorINSC_10device_ptrIKjEEEESI_EEEEESK_NSA_INS5_IJNSE_INSF_IjEEEESM_EEEEEPS7_SP_SP_NSC_11hip_rocprim7__merge17predicate_wrapperIjjNSC_7greaterIjEEEEEE10hipError_tPvRmT0_T1_T2_T3_T4_T5_mmT6_P12ihipStream_tbEUlT_E_NS1_11comp_targetILNS1_3genE8ELNS1_11target_archE1030ELNS1_3gpuE2ELNS1_3repE0EEENS1_30default_config_static_selectorELNS0_4arch9wavefront6targetE0EEEvS10_
                                        ; -- End function
	.set _ZN7rocprim17ROCPRIM_400000_NS6detail17trampoline_kernelINS0_14default_configENS1_21merge_config_selectorINS0_5tupleIJjjEEENS0_10empty_typeEEEZNS1_10merge_implIS3_NS0_12zip_iteratorINS5_IJN6thrust23THRUST_200600_302600_NS6detail15normal_iteratorINSC_10device_ptrIKjEEEESI_EEEEESK_NSA_INS5_IJNSE_INSF_IjEEEESM_EEEEEPS7_SP_SP_NSC_11hip_rocprim7__merge17predicate_wrapperIjjNSC_7greaterIjEEEEEE10hipError_tPvRmT0_T1_T2_T3_T4_T5_mmT6_P12ihipStream_tbEUlT_E_NS1_11comp_targetILNS1_3genE8ELNS1_11target_archE1030ELNS1_3gpuE2ELNS1_3repE0EEENS1_30default_config_static_selectorELNS0_4arch9wavefront6targetE0EEEvS10_.num_vgpr, 0
	.set _ZN7rocprim17ROCPRIM_400000_NS6detail17trampoline_kernelINS0_14default_configENS1_21merge_config_selectorINS0_5tupleIJjjEEENS0_10empty_typeEEEZNS1_10merge_implIS3_NS0_12zip_iteratorINS5_IJN6thrust23THRUST_200600_302600_NS6detail15normal_iteratorINSC_10device_ptrIKjEEEESI_EEEEESK_NSA_INS5_IJNSE_INSF_IjEEEESM_EEEEEPS7_SP_SP_NSC_11hip_rocprim7__merge17predicate_wrapperIjjNSC_7greaterIjEEEEEE10hipError_tPvRmT0_T1_T2_T3_T4_T5_mmT6_P12ihipStream_tbEUlT_E_NS1_11comp_targetILNS1_3genE8ELNS1_11target_archE1030ELNS1_3gpuE2ELNS1_3repE0EEENS1_30default_config_static_selectorELNS0_4arch9wavefront6targetE0EEEvS10_.num_agpr, 0
	.set _ZN7rocprim17ROCPRIM_400000_NS6detail17trampoline_kernelINS0_14default_configENS1_21merge_config_selectorINS0_5tupleIJjjEEENS0_10empty_typeEEEZNS1_10merge_implIS3_NS0_12zip_iteratorINS5_IJN6thrust23THRUST_200600_302600_NS6detail15normal_iteratorINSC_10device_ptrIKjEEEESI_EEEEESK_NSA_INS5_IJNSE_INSF_IjEEEESM_EEEEEPS7_SP_SP_NSC_11hip_rocprim7__merge17predicate_wrapperIjjNSC_7greaterIjEEEEEE10hipError_tPvRmT0_T1_T2_T3_T4_T5_mmT6_P12ihipStream_tbEUlT_E_NS1_11comp_targetILNS1_3genE8ELNS1_11target_archE1030ELNS1_3gpuE2ELNS1_3repE0EEENS1_30default_config_static_selectorELNS0_4arch9wavefront6targetE0EEEvS10_.numbered_sgpr, 0
	.set _ZN7rocprim17ROCPRIM_400000_NS6detail17trampoline_kernelINS0_14default_configENS1_21merge_config_selectorINS0_5tupleIJjjEEENS0_10empty_typeEEEZNS1_10merge_implIS3_NS0_12zip_iteratorINS5_IJN6thrust23THRUST_200600_302600_NS6detail15normal_iteratorINSC_10device_ptrIKjEEEESI_EEEEESK_NSA_INS5_IJNSE_INSF_IjEEEESM_EEEEEPS7_SP_SP_NSC_11hip_rocprim7__merge17predicate_wrapperIjjNSC_7greaterIjEEEEEE10hipError_tPvRmT0_T1_T2_T3_T4_T5_mmT6_P12ihipStream_tbEUlT_E_NS1_11comp_targetILNS1_3genE8ELNS1_11target_archE1030ELNS1_3gpuE2ELNS1_3repE0EEENS1_30default_config_static_selectorELNS0_4arch9wavefront6targetE0EEEvS10_.num_named_barrier, 0
	.set _ZN7rocprim17ROCPRIM_400000_NS6detail17trampoline_kernelINS0_14default_configENS1_21merge_config_selectorINS0_5tupleIJjjEEENS0_10empty_typeEEEZNS1_10merge_implIS3_NS0_12zip_iteratorINS5_IJN6thrust23THRUST_200600_302600_NS6detail15normal_iteratorINSC_10device_ptrIKjEEEESI_EEEEESK_NSA_INS5_IJNSE_INSF_IjEEEESM_EEEEEPS7_SP_SP_NSC_11hip_rocprim7__merge17predicate_wrapperIjjNSC_7greaterIjEEEEEE10hipError_tPvRmT0_T1_T2_T3_T4_T5_mmT6_P12ihipStream_tbEUlT_E_NS1_11comp_targetILNS1_3genE8ELNS1_11target_archE1030ELNS1_3gpuE2ELNS1_3repE0EEENS1_30default_config_static_selectorELNS0_4arch9wavefront6targetE0EEEvS10_.private_seg_size, 0
	.set _ZN7rocprim17ROCPRIM_400000_NS6detail17trampoline_kernelINS0_14default_configENS1_21merge_config_selectorINS0_5tupleIJjjEEENS0_10empty_typeEEEZNS1_10merge_implIS3_NS0_12zip_iteratorINS5_IJN6thrust23THRUST_200600_302600_NS6detail15normal_iteratorINSC_10device_ptrIKjEEEESI_EEEEESK_NSA_INS5_IJNSE_INSF_IjEEEESM_EEEEEPS7_SP_SP_NSC_11hip_rocprim7__merge17predicate_wrapperIjjNSC_7greaterIjEEEEEE10hipError_tPvRmT0_T1_T2_T3_T4_T5_mmT6_P12ihipStream_tbEUlT_E_NS1_11comp_targetILNS1_3genE8ELNS1_11target_archE1030ELNS1_3gpuE2ELNS1_3repE0EEENS1_30default_config_static_selectorELNS0_4arch9wavefront6targetE0EEEvS10_.uses_vcc, 0
	.set _ZN7rocprim17ROCPRIM_400000_NS6detail17trampoline_kernelINS0_14default_configENS1_21merge_config_selectorINS0_5tupleIJjjEEENS0_10empty_typeEEEZNS1_10merge_implIS3_NS0_12zip_iteratorINS5_IJN6thrust23THRUST_200600_302600_NS6detail15normal_iteratorINSC_10device_ptrIKjEEEESI_EEEEESK_NSA_INS5_IJNSE_INSF_IjEEEESM_EEEEEPS7_SP_SP_NSC_11hip_rocprim7__merge17predicate_wrapperIjjNSC_7greaterIjEEEEEE10hipError_tPvRmT0_T1_T2_T3_T4_T5_mmT6_P12ihipStream_tbEUlT_E_NS1_11comp_targetILNS1_3genE8ELNS1_11target_archE1030ELNS1_3gpuE2ELNS1_3repE0EEENS1_30default_config_static_selectorELNS0_4arch9wavefront6targetE0EEEvS10_.uses_flat_scratch, 0
	.set _ZN7rocprim17ROCPRIM_400000_NS6detail17trampoline_kernelINS0_14default_configENS1_21merge_config_selectorINS0_5tupleIJjjEEENS0_10empty_typeEEEZNS1_10merge_implIS3_NS0_12zip_iteratorINS5_IJN6thrust23THRUST_200600_302600_NS6detail15normal_iteratorINSC_10device_ptrIKjEEEESI_EEEEESK_NSA_INS5_IJNSE_INSF_IjEEEESM_EEEEEPS7_SP_SP_NSC_11hip_rocprim7__merge17predicate_wrapperIjjNSC_7greaterIjEEEEEE10hipError_tPvRmT0_T1_T2_T3_T4_T5_mmT6_P12ihipStream_tbEUlT_E_NS1_11comp_targetILNS1_3genE8ELNS1_11target_archE1030ELNS1_3gpuE2ELNS1_3repE0EEENS1_30default_config_static_selectorELNS0_4arch9wavefront6targetE0EEEvS10_.has_dyn_sized_stack, 0
	.set _ZN7rocprim17ROCPRIM_400000_NS6detail17trampoline_kernelINS0_14default_configENS1_21merge_config_selectorINS0_5tupleIJjjEEENS0_10empty_typeEEEZNS1_10merge_implIS3_NS0_12zip_iteratorINS5_IJN6thrust23THRUST_200600_302600_NS6detail15normal_iteratorINSC_10device_ptrIKjEEEESI_EEEEESK_NSA_INS5_IJNSE_INSF_IjEEEESM_EEEEEPS7_SP_SP_NSC_11hip_rocprim7__merge17predicate_wrapperIjjNSC_7greaterIjEEEEEE10hipError_tPvRmT0_T1_T2_T3_T4_T5_mmT6_P12ihipStream_tbEUlT_E_NS1_11comp_targetILNS1_3genE8ELNS1_11target_archE1030ELNS1_3gpuE2ELNS1_3repE0EEENS1_30default_config_static_selectorELNS0_4arch9wavefront6targetE0EEEvS10_.has_recursion, 0
	.set _ZN7rocprim17ROCPRIM_400000_NS6detail17trampoline_kernelINS0_14default_configENS1_21merge_config_selectorINS0_5tupleIJjjEEENS0_10empty_typeEEEZNS1_10merge_implIS3_NS0_12zip_iteratorINS5_IJN6thrust23THRUST_200600_302600_NS6detail15normal_iteratorINSC_10device_ptrIKjEEEESI_EEEEESK_NSA_INS5_IJNSE_INSF_IjEEEESM_EEEEEPS7_SP_SP_NSC_11hip_rocprim7__merge17predicate_wrapperIjjNSC_7greaterIjEEEEEE10hipError_tPvRmT0_T1_T2_T3_T4_T5_mmT6_P12ihipStream_tbEUlT_E_NS1_11comp_targetILNS1_3genE8ELNS1_11target_archE1030ELNS1_3gpuE2ELNS1_3repE0EEENS1_30default_config_static_selectorELNS0_4arch9wavefront6targetE0EEEvS10_.has_indirect_call, 0
	.section	.AMDGPU.csdata,"",@progbits
; Kernel info:
; codeLenInByte = 0
; TotalNumSgprs: 0
; NumVgprs: 0
; ScratchSize: 0
; MemoryBound: 0
; FloatMode: 240
; IeeeMode: 1
; LDSByteSize: 0 bytes/workgroup (compile time only)
; SGPRBlocks: 0
; VGPRBlocks: 0
; NumSGPRsForWavesPerEU: 1
; NumVGPRsForWavesPerEU: 1
; NamedBarCnt: 0
; Occupancy: 16
; WaveLimiterHint : 0
; COMPUTE_PGM_RSRC2:SCRATCH_EN: 0
; COMPUTE_PGM_RSRC2:USER_SGPR: 2
; COMPUTE_PGM_RSRC2:TRAP_HANDLER: 0
; COMPUTE_PGM_RSRC2:TGID_X_EN: 1
; COMPUTE_PGM_RSRC2:TGID_Y_EN: 0
; COMPUTE_PGM_RSRC2:TGID_Z_EN: 0
; COMPUTE_PGM_RSRC2:TIDIG_COMP_CNT: 0
	.section	.text._ZN7rocprim17ROCPRIM_400000_NS6detail17trampoline_kernelINS0_14default_configENS1_21merge_config_selectorINS0_5tupleIJjjEEENS0_10empty_typeEEEZNS1_10merge_implIS3_NS0_12zip_iteratorINS5_IJN6thrust23THRUST_200600_302600_NS6detail15normal_iteratorINSC_10device_ptrIKjEEEESI_EEEEESK_NSA_INS5_IJNSE_INSF_IjEEEESM_EEEEEPS7_SP_SP_NSC_11hip_rocprim7__merge17predicate_wrapperIjjNSC_7greaterIjEEEEEE10hipError_tPvRmT0_T1_T2_T3_T4_T5_mmT6_P12ihipStream_tbEUlT_E0_NS1_11comp_targetILNS1_3genE0ELNS1_11target_archE4294967295ELNS1_3gpuE0ELNS1_3repE0EEENS1_30default_config_static_selectorELNS0_4arch9wavefront6targetE0EEEvS10_,"axG",@progbits,_ZN7rocprim17ROCPRIM_400000_NS6detail17trampoline_kernelINS0_14default_configENS1_21merge_config_selectorINS0_5tupleIJjjEEENS0_10empty_typeEEEZNS1_10merge_implIS3_NS0_12zip_iteratorINS5_IJN6thrust23THRUST_200600_302600_NS6detail15normal_iteratorINSC_10device_ptrIKjEEEESI_EEEEESK_NSA_INS5_IJNSE_INSF_IjEEEESM_EEEEEPS7_SP_SP_NSC_11hip_rocprim7__merge17predicate_wrapperIjjNSC_7greaterIjEEEEEE10hipError_tPvRmT0_T1_T2_T3_T4_T5_mmT6_P12ihipStream_tbEUlT_E0_NS1_11comp_targetILNS1_3genE0ELNS1_11target_archE4294967295ELNS1_3gpuE0ELNS1_3repE0EEENS1_30default_config_static_selectorELNS0_4arch9wavefront6targetE0EEEvS10_,comdat
	.protected	_ZN7rocprim17ROCPRIM_400000_NS6detail17trampoline_kernelINS0_14default_configENS1_21merge_config_selectorINS0_5tupleIJjjEEENS0_10empty_typeEEEZNS1_10merge_implIS3_NS0_12zip_iteratorINS5_IJN6thrust23THRUST_200600_302600_NS6detail15normal_iteratorINSC_10device_ptrIKjEEEESI_EEEEESK_NSA_INS5_IJNSE_INSF_IjEEEESM_EEEEEPS7_SP_SP_NSC_11hip_rocprim7__merge17predicate_wrapperIjjNSC_7greaterIjEEEEEE10hipError_tPvRmT0_T1_T2_T3_T4_T5_mmT6_P12ihipStream_tbEUlT_E0_NS1_11comp_targetILNS1_3genE0ELNS1_11target_archE4294967295ELNS1_3gpuE0ELNS1_3repE0EEENS1_30default_config_static_selectorELNS0_4arch9wavefront6targetE0EEEvS10_ ; -- Begin function _ZN7rocprim17ROCPRIM_400000_NS6detail17trampoline_kernelINS0_14default_configENS1_21merge_config_selectorINS0_5tupleIJjjEEENS0_10empty_typeEEEZNS1_10merge_implIS3_NS0_12zip_iteratorINS5_IJN6thrust23THRUST_200600_302600_NS6detail15normal_iteratorINSC_10device_ptrIKjEEEESI_EEEEESK_NSA_INS5_IJNSE_INSF_IjEEEESM_EEEEEPS7_SP_SP_NSC_11hip_rocprim7__merge17predicate_wrapperIjjNSC_7greaterIjEEEEEE10hipError_tPvRmT0_T1_T2_T3_T4_T5_mmT6_P12ihipStream_tbEUlT_E0_NS1_11comp_targetILNS1_3genE0ELNS1_11target_archE4294967295ELNS1_3gpuE0ELNS1_3repE0EEENS1_30default_config_static_selectorELNS0_4arch9wavefront6targetE0EEEvS10_
	.globl	_ZN7rocprim17ROCPRIM_400000_NS6detail17trampoline_kernelINS0_14default_configENS1_21merge_config_selectorINS0_5tupleIJjjEEENS0_10empty_typeEEEZNS1_10merge_implIS3_NS0_12zip_iteratorINS5_IJN6thrust23THRUST_200600_302600_NS6detail15normal_iteratorINSC_10device_ptrIKjEEEESI_EEEEESK_NSA_INS5_IJNSE_INSF_IjEEEESM_EEEEEPS7_SP_SP_NSC_11hip_rocprim7__merge17predicate_wrapperIjjNSC_7greaterIjEEEEEE10hipError_tPvRmT0_T1_T2_T3_T4_T5_mmT6_P12ihipStream_tbEUlT_E0_NS1_11comp_targetILNS1_3genE0ELNS1_11target_archE4294967295ELNS1_3gpuE0ELNS1_3repE0EEENS1_30default_config_static_selectorELNS0_4arch9wavefront6targetE0EEEvS10_
	.p2align	8
	.type	_ZN7rocprim17ROCPRIM_400000_NS6detail17trampoline_kernelINS0_14default_configENS1_21merge_config_selectorINS0_5tupleIJjjEEENS0_10empty_typeEEEZNS1_10merge_implIS3_NS0_12zip_iteratorINS5_IJN6thrust23THRUST_200600_302600_NS6detail15normal_iteratorINSC_10device_ptrIKjEEEESI_EEEEESK_NSA_INS5_IJNSE_INSF_IjEEEESM_EEEEEPS7_SP_SP_NSC_11hip_rocprim7__merge17predicate_wrapperIjjNSC_7greaterIjEEEEEE10hipError_tPvRmT0_T1_T2_T3_T4_T5_mmT6_P12ihipStream_tbEUlT_E0_NS1_11comp_targetILNS1_3genE0ELNS1_11target_archE4294967295ELNS1_3gpuE0ELNS1_3repE0EEENS1_30default_config_static_selectorELNS0_4arch9wavefront6targetE0EEEvS10_,@function
_ZN7rocprim17ROCPRIM_400000_NS6detail17trampoline_kernelINS0_14default_configENS1_21merge_config_selectorINS0_5tupleIJjjEEENS0_10empty_typeEEEZNS1_10merge_implIS3_NS0_12zip_iteratorINS5_IJN6thrust23THRUST_200600_302600_NS6detail15normal_iteratorINSC_10device_ptrIKjEEEESI_EEEEESK_NSA_INS5_IJNSE_INSF_IjEEEESM_EEEEEPS7_SP_SP_NSC_11hip_rocprim7__merge17predicate_wrapperIjjNSC_7greaterIjEEEEEE10hipError_tPvRmT0_T1_T2_T3_T4_T5_mmT6_P12ihipStream_tbEUlT_E0_NS1_11comp_targetILNS1_3genE0ELNS1_11target_archE4294967295ELNS1_3gpuE0ELNS1_3repE0EEENS1_30default_config_static_selectorELNS0_4arch9wavefront6targetE0EEEvS10_: ; @_ZN7rocprim17ROCPRIM_400000_NS6detail17trampoline_kernelINS0_14default_configENS1_21merge_config_selectorINS0_5tupleIJjjEEENS0_10empty_typeEEEZNS1_10merge_implIS3_NS0_12zip_iteratorINS5_IJN6thrust23THRUST_200600_302600_NS6detail15normal_iteratorINSC_10device_ptrIKjEEEESI_EEEEESK_NSA_INS5_IJNSE_INSF_IjEEEESM_EEEEEPS7_SP_SP_NSC_11hip_rocprim7__merge17predicate_wrapperIjjNSC_7greaterIjEEEEEE10hipError_tPvRmT0_T1_T2_T3_T4_T5_mmT6_P12ihipStream_tbEUlT_E0_NS1_11comp_targetILNS1_3genE0ELNS1_11target_archE4294967295ELNS1_3gpuE0ELNS1_3repE0EEENS1_30default_config_static_selectorELNS0_4arch9wavefront6targetE0EEEvS10_
; %bb.0:
	s_clause 0x1
	s_load_b128 s[12:15], s[0:1], 0x58
	s_load_b256 s[4:11], s[0:1], 0x8
	s_bfe_u32 s2, ttmp6, 0x4000c
	s_and_b32 s3, ttmp6, 15
	s_add_co_i32 s2, s2, 1
	s_wait_kmcnt 0x0
	s_getreg_b32 s13, hwreg(HW_REG_IB_STS2, 6, 4)
	s_mul_i32 s2, ttmp9, s2
	s_mov_b32 s19, 0
	s_add_co_i32 s3, s3, s2
	s_cmp_eq_u32 s13, 0
	v_mov_b32_e32 v1, 0
	s_cselect_b32 s2, ttmp9, s3
	s_add_co_i32 s24, s14, s12
	s_add_co_i32 s12, s2, 1
	;; [unrolled: 1-line block ×3, first 2 shown]
	s_delay_alu instid0(SALU_CYCLE_1) | instskip(NEXT) | instid1(SALU_CYCLE_1)
	s_lshr_b32 s3, s3, 8
	s_mul_hi_u32 s3, s3, 0x24924925
	s_delay_alu instid0(SALU_CYCLE_1)
	s_min_u32 s16, s2, s3
	s_min_u32 s3, s12, s3
	s_clause 0x1
	s_load_b32 s18, s[4:5], s16 offset:0x0 scale_offset
	s_load_b32 s17, s[4:5], s3 offset:0x0 scale_offset
	s_load_b128 s[12:15], s[0:1], 0x28
	s_wait_xcnt 0x0
	s_mul_i32 s16, s2, 0x700
	s_mov_b32 s3, s19
	s_add_co_i32 s2, s16, 0x700
	s_delay_alu instid0(SALU_CYCLE_1)
	s_min_u32 s25, s24, s2
	s_wait_kmcnt 0x0
	s_sub_co_i32 s2, s16, s18
	s_lshl_b64 s[22:23], s[18:19], 2
	s_lshl_b64 s[20:21], s[2:3], 2
	s_add_co_i32 s2, s2, s17
	s_sub_co_i32 s18, s17, s18
	s_sub_co_i32 s2, s25, s2
	s_add_nc_u64 s[4:5], s[10:11], s[20:21]
	s_add_nc_u64 s[10:11], s[12:13], s[20:21]
	s_add_nc_u64 s[20:21], s[2:3], s[18:19]
	s_mov_b32 s3, exec_lo
	v_cmpx_le_u32_e64 s18, v0
	s_xor_b32 s3, exec_lo, s3
	s_cbranch_execz .LBB380_4
; %bb.1:
	s_mov_b32 s12, exec_lo
	v_cmpx_gt_u64_e64 s[20:21], v[0:1]
	s_cbranch_execz .LBB380_3
; %bb.2:
	v_subrev_nc_u32_e32 v4, s18, v0
	s_clause 0x1
	global_load_b32 v2, v4, s[4:5] scale_offset
	global_load_b32 v3, v4, s[10:11] scale_offset
	s_wait_xcnt 0x0
	v_lshlrev_b32_e32 v4, 3, v0
	s_wait_loadcnt 0x0
	ds_store_b64 v4, v[2:3]
.LBB380_3:
	s_or_b32 exec_lo, exec_lo, s12
.LBB380_4:
	s_or_saveexec_b32 s3, s3
	v_lshlrev_b32_e32 v2, 3, v0
	s_add_nc_u64 s[6:7], s[6:7], s[22:23]
	s_add_nc_u64 s[12:13], s[8:9], s[22:23]
	s_xor_b32 exec_lo, exec_lo, s3
	s_cbranch_execz .LBB380_6
; %bb.5:
	s_clause 0x1
	global_load_b32 v4, v0, s[6:7] scale_offset
	global_load_b32 v5, v0, s[12:13] scale_offset
	s_wait_loadcnt 0x0
	ds_store_b64 v2, v[4:5]
.LBB380_6:
	s_or_b32 exec_lo, exec_lo, s3
	v_or_b32_e32 v14, 0x100, v0
	v_mov_b32_e32 v15, 0
	s_mov_b32 s3, exec_lo
	s_delay_alu instid0(VALU_DEP_2)
	v_cmpx_le_u32_e64 s18, v14
	s_xor_b32 s3, exec_lo, s3
	s_cbranch_execz .LBB380_10
; %bb.7:
	s_mov_b32 s8, exec_lo
	v_cmpx_gt_u64_e64 s[20:21], v[14:15]
	s_cbranch_execz .LBB380_9
; %bb.8:
	v_sub_nc_u64_e64 v[4:5], v[0:1], s[18:19]
	s_delay_alu instid0(VALU_DEP_1) | instskip(NEXT) | instid1(VALU_DEP_1)
	v_lshlrev_b64_e32 v[4:5], 2, v[4:5]
	v_add_nc_u64_e32 v[6:7], s[4:5], v[4:5]
	v_add_nc_u64_e32 v[4:5], s[10:11], v[4:5]
	global_load_b32 v8, v[6:7], off offset:1024
	global_load_b32 v9, v[4:5], off offset:1024
	s_wait_loadcnt 0x0
	ds_store_b64 v2, v[8:9] offset:2048
.LBB380_9:
	s_or_b32 exec_lo, exec_lo, s8
.LBB380_10:
	s_and_not1_saveexec_b32 s3, s3
	s_cbranch_execz .LBB380_12
; %bb.11:
	s_clause 0x1
	global_load_b32 v4, v0, s[6:7] offset:1024 scale_offset
	global_load_b32 v5, v0, s[12:13] offset:1024 scale_offset
	s_wait_loadcnt 0x0
	ds_store_b64 v2, v[4:5] offset:2048
.LBB380_12:
	s_or_b32 exec_lo, exec_lo, s3
	v_or_b32_e32 v16, 0x200, v0
	v_mov_b32_e32 v17, 0
	s_mov_b32 s3, exec_lo
	s_delay_alu instid0(VALU_DEP_2)
	v_cmpx_le_u32_e64 s18, v16
	s_xor_b32 s3, exec_lo, s3
	s_cbranch_execz .LBB380_16
; %bb.13:
	s_mov_b32 s8, exec_lo
	v_cmpx_gt_u64_e64 s[20:21], v[16:17]
	s_cbranch_execz .LBB380_15
; %bb.14:
	v_sub_nc_u64_e64 v[4:5], v[0:1], s[18:19]
	s_delay_alu instid0(VALU_DEP_1) | instskip(NEXT) | instid1(VALU_DEP_1)
	v_lshlrev_b64_e32 v[4:5], 2, v[4:5]
	v_add_nc_u64_e32 v[6:7], s[4:5], v[4:5]
	v_add_nc_u64_e32 v[4:5], s[10:11], v[4:5]
	global_load_b32 v8, v[6:7], off offset:2048
	global_load_b32 v9, v[4:5], off offset:2048
	s_wait_loadcnt 0x0
	ds_store_b64 v2, v[8:9] offset:4096
.LBB380_15:
	s_or_b32 exec_lo, exec_lo, s8
.LBB380_16:
	s_and_not1_saveexec_b32 s3, s3
	s_cbranch_execz .LBB380_18
; %bb.17:
	s_clause 0x1
	global_load_b32 v4, v0, s[6:7] offset:2048 scale_offset
	global_load_b32 v5, v0, s[12:13] offset:2048 scale_offset
	s_wait_loadcnt 0x0
	ds_store_b64 v2, v[4:5] offset:4096
.LBB380_18:
	;; [unrolled: 34-line block ×5, first 2 shown]
	s_or_b32 exec_lo, exec_lo, s3
	v_or_b32_e32 v24, 0x600, v0
	v_mov_b32_e32 v25, 0
	s_mov_b32 s3, exec_lo
	s_delay_alu instid0(VALU_DEP_2)
	v_cmpx_le_u32_e64 s18, v24
	s_xor_b32 s3, exec_lo, s3
	s_cbranch_execz .LBB380_40
; %bb.37:
	s_mov_b32 s8, exec_lo
	v_cmpx_gt_u64_e64 s[20:21], v[24:25]
	s_cbranch_execz .LBB380_39
; %bb.38:
	v_sub_nc_u64_e64 v[4:5], v[0:1], s[18:19]
	s_delay_alu instid0(VALU_DEP_1) | instskip(NEXT) | instid1(VALU_DEP_1)
	v_lshlrev_b64_e32 v[4:5], 2, v[4:5]
	v_add_nc_u64_e32 v[6:7], s[4:5], v[4:5]
	v_add_nc_u64_e32 v[4:5], s[10:11], v[4:5]
	global_load_b32 v8, v[6:7], off offset:6144
	global_load_b32 v9, v[4:5], off offset:6144
	s_wait_loadcnt 0x0
	ds_store_b64 v2, v[8:9] offset:12288
.LBB380_39:
	s_or_b32 exec_lo, exec_lo, s8
                                        ; implicit-def: $vgpr2
.LBB380_40:
	s_or_saveexec_b32 s3, s3
	s_load_b64 s[8:9], s[0:1], 0x38
	s_xor_b32 exec_lo, exec_lo, s3
	s_cbranch_execz .LBB380_42
; %bb.41:
	s_clause 0x1
	global_load_b32 v4, v0, s[6:7] offset:6144 scale_offset
	global_load_b32 v5, v0, s[12:13] offset:6144 scale_offset
	s_wait_loadcnt 0x0
	ds_store_b64 v2, v[4:5] offset:12288
.LBB380_42:
	s_or_b32 exec_lo, exec_lo, s3
	v_mul_u32_u24_e32 v2, 7, v0
	s_wait_xcnt 0x0
	s_mov_b32 s0, exec_lo
	s_wait_dscnt 0x0
	s_barrier_signal -1
	s_barrier_wait -1
	v_sub_nc_u32_e64 v15, v2, s2 clamp
	v_min_u32_e32 v3, s18, v2
	v_lshlrev_b32_e32 v1, 3, v2
	s_delay_alu instid0(VALU_DEP_2)
	v_cmpx_lt_u32_e64 v15, v3
	s_cbranch_execz .LBB380_46
; %bb.43:
	s_delay_alu instid0(VALU_DEP_2)
	v_lshl_add_u32 v4, s18, 3, v1
	s_mov_b32 s1, 0
.LBB380_44:                             ; =>This Inner Loop Header: Depth=1
	v_add_nc_u32_e32 v5, v3, v15
	s_delay_alu instid0(VALU_DEP_1) | instskip(NEXT) | instid1(VALU_DEP_1)
	v_lshrrev_b32_e32 v5, 1, v5
	v_not_b32_e32 v6, v5
	v_dual_lshlrev_b32 v7, 3, v5 :: v_dual_add_nc_u32 v8, 1, v5
	s_delay_alu instid0(VALU_DEP_2)
	v_lshl_add_u32 v6, v6, 3, v4
	ds_load_b32 v7, v7
	ds_load_b32 v6, v6
	s_wait_dscnt 0x0
	v_cmp_gt_u32_e32 vcc_lo, v6, v7
	v_dual_cndmask_b32 v3, v3, v5, vcc_lo :: v_dual_cndmask_b32 v15, v8, v15, vcc_lo
	s_delay_alu instid0(VALU_DEP_1) | instskip(SKIP_1) | instid1(SALU_CYCLE_1)
	v_cmp_ge_u32_e32 vcc_lo, v15, v3
	s_or_b32 s1, vcc_lo, s1
	s_and_not1_b32 exec_lo, exec_lo, s1
	s_cbranch_execnz .LBB380_44
; %bb.45:
	s_or_b32 exec_lo, exec_lo, s1
.LBB380_46:
	s_delay_alu instid0(SALU_CYCLE_1)
	s_or_b32 exec_lo, exec_lo, s0
	v_add_nc_u32_e32 v6, s18, v2
	s_add_co_i32 s10, s2, s18
	v_cmp_ge_u32_e32 vcc_lo, s18, v15
	v_mov_b64_e32 v[2:3], 0
	v_mov_b64_e32 v[4:5], 0
	v_sub_nc_u32_e32 v17, v6, v15
	v_mov_b64_e32 v[6:7], 0
	v_mov_b64_e32 v[8:9], 0
	;; [unrolled: 1-line block ×4, first 2 shown]
	v_cmp_ge_u32_e64 s0, s10, v17
	v_mov_b64_e32 v[26:27], 0
	s_or_b32 s0, vcc_lo, s0
	s_delay_alu instid0(SALU_CYCLE_1)
	s_and_saveexec_b32 s7, s0
	s_cbranch_execz .LBB380_52
; %bb.47:
	v_cmp_gt_u32_e32 vcc_lo, s18, v15
	v_dual_mov_b32 v2, 0 :: v_dual_mov_b32 v4, 0
	v_mov_b32_e32 v5, 0
	s_and_saveexec_b32 s0, vcc_lo
; %bb.48:
	v_lshlrev_b32_e32 v3, 3, v15
	ds_load_b64 v[4:5], v3
; %bb.49:
	s_or_b32 exec_lo, exec_lo, s0
	v_cmp_le_u32_e64 s0, s10, v17
	v_mov_b32_e32 v3, 0
	s_mov_b32 s2, exec_lo
	v_cmpx_gt_u32_e64 s10, v17
; %bb.50:
	v_lshlrev_b32_e32 v2, 3, v17
	ds_load_b64 v[2:3], v2
; %bb.51:
	s_or_b32 exec_lo, exec_lo, s2
	s_wait_dscnt 0x0
	v_cmp_le_u32_e64 s1, v2, v4
	s_and_b32 s1, vcc_lo, s1
	s_delay_alu instid0(SALU_CYCLE_1) | instskip(SKIP_1) | instid1(VALU_DEP_1)
	s_or_b32 vcc_lo, s0, s1
	v_dual_mov_b32 v19, s18 :: v_dual_cndmask_b32 v6, v17, v15
	v_dual_cndmask_b32 v7, s10, v19 :: v_dual_add_nc_u32 v8, 1, v6
	s_delay_alu instid0(VALU_DEP_1) | instskip(SKIP_1) | instid1(VALU_DEP_2)
	v_add_min_u32_e64 v6, v7, -1, v8
	v_dual_cndmask_b32 v10, v15, v8 :: v_dual_cndmask_b32 v11, v8, v17
	v_lshlrev_b32_e32 v6, 3, v6
	s_delay_alu instid0(VALU_DEP_2) | instskip(NEXT) | instid1(VALU_DEP_3)
	v_cmp_gt_u32_e64 s0, s18, v10
	v_cmp_le_u32_e64 s2, s10, v11
	ds_load_b64 v[6:7], v6
	s_wait_dscnt 0x0
	v_cndmask_b32_e32 v15, v6, v2, vcc_lo
	v_dual_cndmask_b32 v6, v4, v6 :: v_dual_cndmask_b32 v33, v7, v3
	v_dual_cndmask_b32 v2, v2, v4 :: v_dual_cndmask_b32 v7, v5, v7
	v_cndmask_b32_e32 v3, v3, v5, vcc_lo
	s_delay_alu instid0(VALU_DEP_3) | instskip(SKIP_1) | instid1(SALU_CYCLE_1)
	v_cmp_le_u32_e64 s1, v15, v6
	s_and_b32 s0, s0, s1
	s_or_b32 s0, s2, s0
	s_delay_alu instid0(SALU_CYCLE_1) | instskip(NEXT) | instid1(VALU_DEP_1)
	v_cndmask_b32_e64 v8, v11, v10, s0
	v_dual_cndmask_b32 v9, s10, v19, s0 :: v_dual_add_nc_u32 v12, 1, v8
	v_dual_cndmask_b32 v5, v33, v7, s0 :: v_dual_cndmask_b32 v4, v15, v6, s0
	s_delay_alu instid0(VALU_DEP_2) | instskip(SKIP_1) | instid1(VALU_DEP_2)
	v_add_min_u32_e64 v8, v9, -1, v12
	v_dual_cndmask_b32 v13, v10, v12, s0 :: v_dual_cndmask_b32 v12, v12, v11, s0
	v_lshlrev_b32_e32 v8, 3, v8
	s_delay_alu instid0(VALU_DEP_2) | instskip(NEXT) | instid1(VALU_DEP_3)
	v_cmp_gt_u32_e64 s1, s18, v13
	v_cmp_le_u32_e64 s3, s10, v12
	ds_load_b64 v[8:9], v8
	s_wait_dscnt 0x0
	v_dual_cndmask_b32 v17, v8, v15, s0 :: v_dual_cndmask_b32 v8, v6, v8, s0
	s_delay_alu instid0(VALU_DEP_1) | instskip(SKIP_1) | instid1(SALU_CYCLE_1)
	v_cmp_le_u32_e64 s2, v17, v8
	s_and_b32 s1, s1, s2
	s_or_b32 s1, s3, s1
	s_delay_alu instid0(SALU_CYCLE_1) | instskip(NEXT) | instid1(VALU_DEP_1)
	v_cndmask_b32_e64 v10, v12, v13, s1
	v_dual_cndmask_b32 v11, s10, v19, s1 :: v_dual_add_nc_u32 v21, 1, v10
	s_delay_alu instid0(VALU_DEP_1) | instskip(NEXT) | instid1(VALU_DEP_1)
	v_add_min_u32_e64 v10, v11, -1, v21
	v_lshlrev_b32_e32 v10, 3, v10
	ds_load_b64 v[10:11], v10
	v_cndmask_b32_e64 v23, v13, v21, s1
	v_cndmask_b32_e64 v21, v21, v12, s1
	s_delay_alu instid0(VALU_DEP_1) | instskip(SKIP_3) | instid1(VALU_DEP_2)
	v_cmp_le_u32_e64 s4, s10, v21
	s_wait_dscnt 0x0
	v_dual_cndmask_b32 v25, v10, v17, s1 :: v_dual_cndmask_b32 v10, v8, v10, s1
	v_cmp_gt_u32_e64 s2, s18, v23
	v_cmp_le_u32_e64 s3, v25, v10
	s_and_b32 s2, s2, s3
	s_delay_alu instid0(SALU_CYCLE_1) | instskip(NEXT) | instid1(SALU_CYCLE_1)
	s_or_b32 s2, s4, s2
	v_cndmask_b32_e64 v12, v21, v23, s2
	s_delay_alu instid0(VALU_DEP_1) | instskip(NEXT) | instid1(VALU_DEP_1)
	v_dual_cndmask_b32 v13, s10, v19, s2 :: v_dual_add_nc_u32 v26, 1, v12
	v_add_min_u32_e64 v12, v13, -1, v26
	v_dual_cndmask_b32 v21, v26, v21, s2 :: v_dual_cndmask_b32 v23, v23, v26, s2
	s_delay_alu instid0(VALU_DEP_2) | instskip(NEXT) | instid1(VALU_DEP_2)
	v_lshlrev_b32_e32 v12, 3, v12
	v_cmp_le_u32_e64 s5, s10, v21
	s_delay_alu instid0(VALU_DEP_3) | instskip(SKIP_3) | instid1(VALU_DEP_1)
	v_cmp_gt_u32_e64 s3, s18, v23
	ds_load_b64 v[12:13], v12
	s_wait_dscnt 0x0
	v_dual_cndmask_b32 v30, v12, v25, s2 :: v_dual_cndmask_b32 v12, v10, v12, s2
	v_cmp_le_u32_e64 s4, v30, v12
	s_and_b32 s3, s3, s4
	s_delay_alu instid0(SALU_CYCLE_1) | instskip(NEXT) | instid1(SALU_CYCLE_1)
	s_or_b32 s3, s5, s3
	v_cndmask_b32_e64 v26, v21, v23, s3
	s_delay_alu instid0(VALU_DEP_1) | instskip(NEXT) | instid1(VALU_DEP_1)
	v_dual_cndmask_b32 v27, s10, v19, s3 :: v_dual_add_nc_u32 v28, 1, v26
	v_add_min_u32_e64 v26, v27, -1, v28
	v_dual_cndmask_b32 v23, v23, v28, s3 :: v_dual_cndmask_b32 v21, v28, v21, s3
	s_delay_alu instid0(VALU_DEP_2) | instskip(NEXT) | instid1(VALU_DEP_2)
	v_lshlrev_b32_e32 v26, 3, v26
	v_cmp_gt_u32_e64 s4, s18, v23
	s_delay_alu instid0(VALU_DEP_3) | instskip(SKIP_4) | instid1(VALU_DEP_1)
	v_cmp_le_u32_e64 s6, s10, v21
	ds_load_b64 v[26:27], v26
	s_wait_dscnt 0x0
	v_cndmask_b32_e64 v31, v26, v30, s3
	v_cndmask_b32_e64 v26, v12, v26, s3
	v_cmp_le_u32_e64 s5, v31, v26
	s_and_b32 s4, s4, s5
	s_delay_alu instid0(SALU_CYCLE_1) | instskip(NEXT) | instid1(SALU_CYCLE_1)
	s_or_b32 s4, s6, s4
	v_cndmask_b32_e64 v28, v21, v23, s4
	s_delay_alu instid0(VALU_DEP_1) | instskip(NEXT) | instid1(VALU_DEP_1)
	v_dual_cndmask_b32 v19, s10, v19, s4 :: v_dual_add_nc_u32 v32, 1, v28
	v_add_min_u32_e64 v19, v19, -1, v32
	s_delay_alu instid0(VALU_DEP_1) | instskip(SKIP_3) | instid1(VALU_DEP_2)
	v_dual_cndmask_b32 v21, v32, v21, s4 :: v_dual_lshlrev_b32 v19, 3, v19
	ds_load_b64 v[28:29], v19
	v_cndmask_b32_e64 v19, v9, v33, s0
	v_cndmask_b32_e64 v9, v7, v9, s0
	;; [unrolled: 1-line block ×3, first 2 shown]
	s_delay_alu instid0(VALU_DEP_2) | instskip(NEXT) | instid1(VALU_DEP_1)
	v_dual_cndmask_b32 v11, v9, v11, s1 :: v_dual_cndmask_b32 v7, v19, v9, s1
	v_dual_cndmask_b32 v15, v13, v34, s2 :: v_dual_cndmask_b32 v13, v11, v13, s2
	;; [unrolled: 1-line block ×4, first 2 shown]
	v_cndmask_b32_e64 v12, v23, v32, s4
	s_delay_alu instid0(VALU_DEP_4)
	v_cndmask_b32_e64 v11, v15, v13, s3
	s_wait_dscnt 0x0
	v_dual_cndmask_b32 v15, v27, v15, s3 :: v_dual_cndmask_b32 v19, v26, v28, s4
	v_cndmask_b32_e64 v17, v28, v31, s4
	v_cndmask_b32_e64 v13, v13, v27, s3
	v_cmp_gt_u32_e32 vcc_lo, s18, v12
	v_cmp_le_u32_e64 s1, s10, v21
	v_cndmask_b32_e64 v12, v31, v26, s4
	v_cmp_le_u32_e64 s0, v17, v19
	v_cndmask_b32_e64 v23, v29, v15, s4
	v_cndmask_b32_e64 v21, v13, v29, s4
	;; [unrolled: 1-line block ×3, first 2 shown]
	s_and_b32 s0, vcc_lo, s0
	s_delay_alu instid0(SALU_CYCLE_1) | instskip(NEXT) | instid1(VALU_DEP_2)
	s_or_b32 vcc_lo, s1, s0
	v_dual_cndmask_b32 v27, v23, v21 :: v_dual_cndmask_b32 v26, v17, v19
.LBB380_52:
	s_or_b32 exec_lo, exec_lo, s7
	v_mul_i32_i24_e32 v15, 0xffffffd0, v0
	s_mov_b32 s17, 0
	s_sub_co_i32 s4, s24, s16
	s_lshl_b64 s[2:3], s[16:17], 2
	s_cmp_gt_u32 s4, 0x6ff
	v_add_nc_u32_e32 v15, v1, v15
	s_add_nc_u64 s[0:1], s[14:15], s[2:3]
	s_wait_kmcnt 0x0
	s_add_nc_u64 s[2:3], s[8:9], s[2:3]
	s_barrier_signal -1
	s_barrier_wait -1
	ds_store_2addr_b64 v1, v[2:3], v[4:5] offset1:1
	ds_store_2addr_b64 v1, v[6:7], v[8:9] offset0:2 offset1:3
	ds_store_2addr_b64 v1, v[10:11], v[12:13] offset0:4 offset1:5
	ds_store_b64 v1, v[26:27] offset:48
	s_wait_dscnt 0x0
	s_cbranch_scc0 .LBB380_54
; %bb.53:
	s_barrier_signal -1
	s_barrier_wait -1
	ds_load_2addr_stride64_b64 v[6:9], v15 offset1:4
	ds_load_2addr_stride64_b64 v[10:13], v15 offset0:8 offset1:12
	ds_load_2addr_stride64_b64 v[26:29], v15 offset0:16 offset1:20
	ds_load_b64 v[4:5], v15 offset:12288
	s_mov_b32 s17, -1
	s_wait_dscnt 0x3
	s_clause 0x3
	global_store_b32 v0, v6, s[0:1] scale_offset
	global_store_b32 v0, v7, s[2:3] scale_offset
	global_store_b32 v0, v8, s[0:1] offset:1024 scale_offset
	global_store_b32 v0, v9, s[2:3] offset:1024 scale_offset
	s_wait_dscnt 0x2
	s_clause 0x3
	global_store_b32 v0, v10, s[0:1] offset:2048 scale_offset
	global_store_b32 v0, v11, s[2:3] offset:2048 scale_offset
	;; [unrolled: 1-line block ×4, first 2 shown]
	s_wait_dscnt 0x1
	s_clause 0x3
	global_store_b32 v0, v26, s[0:1] offset:4096 scale_offset
	global_store_b32 v0, v27, s[2:3] offset:4096 scale_offset
	;; [unrolled: 1-line block ×4, first 2 shown]
	s_cbranch_execz .LBB380_55
	s_branch .LBB380_63
.LBB380_54:
                                        ; implicit-def: $vgpr4_vgpr5
.LBB380_55:
	s_barrier_signal -1
	s_barrier_wait -1
	s_wait_storecnt_dscnt 0x0
	s_wait_xcnt 0x4
	ds_load_2addr_stride64_b64 v[10:13], v15 offset0:4 offset1:8
	ds_load_2addr_stride64_b64 v[6:9], v15 offset0:12 offset1:16
	ds_load_2addr_stride64_b64 v[2:5], v15 offset0:20 offset1:24
	s_wait_xcnt 0x0
	v_dual_mov_b32 v29, 0 :: v_dual_lshlrev_b32 v28, 2, v0
	s_mov_b32 s5, exec_lo
	s_delay_alu instid0(VALU_DEP_1)
	v_add_nc_u64_e32 v[26:27], s[0:1], v[28:29]
	v_add_nc_u64_e32 v[28:29], s[2:3], v[28:29]
	v_cmpx_gt_u32_e64 s4, v0
	s_cbranch_execnz .LBB380_66
; %bb.56:
	s_or_b32 exec_lo, exec_lo, s5
	s_delay_alu instid0(SALU_CYCLE_1)
	s_mov_b32 s5, exec_lo
	v_cmpx_gt_u32_e64 s4, v14
	s_cbranch_execnz .LBB380_67
.LBB380_57:
	s_or_b32 exec_lo, exec_lo, s5
	s_delay_alu instid0(SALU_CYCLE_1)
	s_mov_b32 s5, exec_lo
	v_cmpx_gt_u32_e64 s4, v16
	s_cbranch_execnz .LBB380_68
.LBB380_58:
	s_or_b32 exec_lo, exec_lo, s5
	s_delay_alu instid0(SALU_CYCLE_1)
	s_mov_b32 s5, exec_lo
	v_cmpx_gt_u32_e64 s4, v18
	s_cbranch_execnz .LBB380_69
.LBB380_59:
	s_or_b32 exec_lo, exec_lo, s5
	s_delay_alu instid0(SALU_CYCLE_1)
	s_mov_b32 s5, exec_lo
	v_cmpx_gt_u32_e64 s4, v20
	s_cbranch_execnz .LBB380_70
.LBB380_60:
	s_or_b32 exec_lo, exec_lo, s5
	s_delay_alu instid0(SALU_CYCLE_1)
	s_mov_b32 s5, exec_lo
	v_cmpx_gt_u32_e64 s4, v22
	s_cbranch_execz .LBB380_62
.LBB380_61:
	s_wait_dscnt 0x0
	global_store_b32 v[26:27], v2, off offset:5120
	global_store_b32 v[28:29], v3, off offset:5120
.LBB380_62:
	s_wait_xcnt 0x0
	s_or_b32 exec_lo, exec_lo, s5
	v_cmp_gt_u32_e64 s17, s4, v24
.LBB380_63:
	s_wait_xcnt 0x0
	s_delay_alu instid0(VALU_DEP_1)
	s_and_saveexec_b32 s4, s17
	s_cbranch_execnz .LBB380_65
; %bb.64:
	s_endpgm
.LBB380_65:
	s_wait_dscnt 0x0
	s_clause 0x1
	global_store_b32 v0, v4, s[0:1] offset:6144 scale_offset
	global_store_b32 v0, v5, s[2:3] offset:6144 scale_offset
	s_endpgm
.LBB380_66:
	ds_load_b64 v[30:31], v15
	s_wait_dscnt 0x0
	global_store_b32 v[26:27], v30, off
	global_store_b32 v[28:29], v31, off
	s_wait_xcnt 0x0
	s_or_b32 exec_lo, exec_lo, s5
	s_delay_alu instid0(SALU_CYCLE_1)
	s_mov_b32 s5, exec_lo
	v_cmpx_gt_u32_e64 s4, v14
	s_cbranch_execz .LBB380_57
.LBB380_67:
	s_wait_dscnt 0x2
	global_store_b32 v[26:27], v10, off offset:1024
	global_store_b32 v[28:29], v11, off offset:1024
	s_wait_xcnt 0x0
	s_or_b32 exec_lo, exec_lo, s5
	s_delay_alu instid0(SALU_CYCLE_1)
	s_mov_b32 s5, exec_lo
	v_cmpx_gt_u32_e64 s4, v16
	s_cbranch_execz .LBB380_58
.LBB380_68:
	s_wait_dscnt 0x2
	global_store_b32 v[26:27], v12, off offset:2048
	global_store_b32 v[28:29], v13, off offset:2048
	s_wait_xcnt 0x0
	s_or_b32 exec_lo, exec_lo, s5
	s_delay_alu instid0(SALU_CYCLE_1)
	s_mov_b32 s5, exec_lo
	v_cmpx_gt_u32_e64 s4, v18
	s_cbranch_execz .LBB380_59
.LBB380_69:
	s_wait_dscnt 0x1
	global_store_b32 v[26:27], v6, off offset:3072
	global_store_b32 v[28:29], v7, off offset:3072
	s_wait_xcnt 0x0
	s_or_b32 exec_lo, exec_lo, s5
	s_delay_alu instid0(SALU_CYCLE_1)
	s_mov_b32 s5, exec_lo
	v_cmpx_gt_u32_e64 s4, v20
	s_cbranch_execz .LBB380_60
.LBB380_70:
	s_wait_dscnt 0x1
	global_store_b32 v[26:27], v8, off offset:4096
	global_store_b32 v[28:29], v9, off offset:4096
	s_wait_xcnt 0x0
	s_or_b32 exec_lo, exec_lo, s5
	s_delay_alu instid0(SALU_CYCLE_1)
	s_mov_b32 s5, exec_lo
	v_cmpx_gt_u32_e64 s4, v22
	s_cbranch_execnz .LBB380_61
	s_branch .LBB380_62
	.section	.rodata,"a",@progbits
	.p2align	6, 0x0
	.amdhsa_kernel _ZN7rocprim17ROCPRIM_400000_NS6detail17trampoline_kernelINS0_14default_configENS1_21merge_config_selectorINS0_5tupleIJjjEEENS0_10empty_typeEEEZNS1_10merge_implIS3_NS0_12zip_iteratorINS5_IJN6thrust23THRUST_200600_302600_NS6detail15normal_iteratorINSC_10device_ptrIKjEEEESI_EEEEESK_NSA_INS5_IJNSE_INSF_IjEEEESM_EEEEEPS7_SP_SP_NSC_11hip_rocprim7__merge17predicate_wrapperIjjNSC_7greaterIjEEEEEE10hipError_tPvRmT0_T1_T2_T3_T4_T5_mmT6_P12ihipStream_tbEUlT_E0_NS1_11comp_targetILNS1_3genE0ELNS1_11target_archE4294967295ELNS1_3gpuE0ELNS1_3repE0EEENS1_30default_config_static_selectorELNS0_4arch9wavefront6targetE0EEEvS10_
		.amdhsa_group_segment_fixed_size 14352
		.amdhsa_private_segment_fixed_size 0
		.amdhsa_kernarg_size 112
		.amdhsa_user_sgpr_count 2
		.amdhsa_user_sgpr_dispatch_ptr 0
		.amdhsa_user_sgpr_queue_ptr 0
		.amdhsa_user_sgpr_kernarg_segment_ptr 1
		.amdhsa_user_sgpr_dispatch_id 0
		.amdhsa_user_sgpr_kernarg_preload_length 0
		.amdhsa_user_sgpr_kernarg_preload_offset 0
		.amdhsa_user_sgpr_private_segment_size 0
		.amdhsa_wavefront_size32 1
		.amdhsa_uses_dynamic_stack 0
		.amdhsa_enable_private_segment 0
		.amdhsa_system_sgpr_workgroup_id_x 1
		.amdhsa_system_sgpr_workgroup_id_y 0
		.amdhsa_system_sgpr_workgroup_id_z 0
		.amdhsa_system_sgpr_workgroup_info 0
		.amdhsa_system_vgpr_workitem_id 0
		.amdhsa_next_free_vgpr 35
		.amdhsa_next_free_sgpr 26
		.amdhsa_named_barrier_count 0
		.amdhsa_reserve_vcc 1
		.amdhsa_float_round_mode_32 0
		.amdhsa_float_round_mode_16_64 0
		.amdhsa_float_denorm_mode_32 3
		.amdhsa_float_denorm_mode_16_64 3
		.amdhsa_fp16_overflow 0
		.amdhsa_memory_ordered 1
		.amdhsa_forward_progress 1
		.amdhsa_inst_pref_size 28
		.amdhsa_round_robin_scheduling 0
		.amdhsa_exception_fp_ieee_invalid_op 0
		.amdhsa_exception_fp_denorm_src 0
		.amdhsa_exception_fp_ieee_div_zero 0
		.amdhsa_exception_fp_ieee_overflow 0
		.amdhsa_exception_fp_ieee_underflow 0
		.amdhsa_exception_fp_ieee_inexact 0
		.amdhsa_exception_int_div_zero 0
	.end_amdhsa_kernel
	.section	.text._ZN7rocprim17ROCPRIM_400000_NS6detail17trampoline_kernelINS0_14default_configENS1_21merge_config_selectorINS0_5tupleIJjjEEENS0_10empty_typeEEEZNS1_10merge_implIS3_NS0_12zip_iteratorINS5_IJN6thrust23THRUST_200600_302600_NS6detail15normal_iteratorINSC_10device_ptrIKjEEEESI_EEEEESK_NSA_INS5_IJNSE_INSF_IjEEEESM_EEEEEPS7_SP_SP_NSC_11hip_rocprim7__merge17predicate_wrapperIjjNSC_7greaterIjEEEEEE10hipError_tPvRmT0_T1_T2_T3_T4_T5_mmT6_P12ihipStream_tbEUlT_E0_NS1_11comp_targetILNS1_3genE0ELNS1_11target_archE4294967295ELNS1_3gpuE0ELNS1_3repE0EEENS1_30default_config_static_selectorELNS0_4arch9wavefront6targetE0EEEvS10_,"axG",@progbits,_ZN7rocprim17ROCPRIM_400000_NS6detail17trampoline_kernelINS0_14default_configENS1_21merge_config_selectorINS0_5tupleIJjjEEENS0_10empty_typeEEEZNS1_10merge_implIS3_NS0_12zip_iteratorINS5_IJN6thrust23THRUST_200600_302600_NS6detail15normal_iteratorINSC_10device_ptrIKjEEEESI_EEEEESK_NSA_INS5_IJNSE_INSF_IjEEEESM_EEEEEPS7_SP_SP_NSC_11hip_rocprim7__merge17predicate_wrapperIjjNSC_7greaterIjEEEEEE10hipError_tPvRmT0_T1_T2_T3_T4_T5_mmT6_P12ihipStream_tbEUlT_E0_NS1_11comp_targetILNS1_3genE0ELNS1_11target_archE4294967295ELNS1_3gpuE0ELNS1_3repE0EEENS1_30default_config_static_selectorELNS0_4arch9wavefront6targetE0EEEvS10_,comdat
.Lfunc_end380:
	.size	_ZN7rocprim17ROCPRIM_400000_NS6detail17trampoline_kernelINS0_14default_configENS1_21merge_config_selectorINS0_5tupleIJjjEEENS0_10empty_typeEEEZNS1_10merge_implIS3_NS0_12zip_iteratorINS5_IJN6thrust23THRUST_200600_302600_NS6detail15normal_iteratorINSC_10device_ptrIKjEEEESI_EEEEESK_NSA_INS5_IJNSE_INSF_IjEEEESM_EEEEEPS7_SP_SP_NSC_11hip_rocprim7__merge17predicate_wrapperIjjNSC_7greaterIjEEEEEE10hipError_tPvRmT0_T1_T2_T3_T4_T5_mmT6_P12ihipStream_tbEUlT_E0_NS1_11comp_targetILNS1_3genE0ELNS1_11target_archE4294967295ELNS1_3gpuE0ELNS1_3repE0EEENS1_30default_config_static_selectorELNS0_4arch9wavefront6targetE0EEEvS10_, .Lfunc_end380-_ZN7rocprim17ROCPRIM_400000_NS6detail17trampoline_kernelINS0_14default_configENS1_21merge_config_selectorINS0_5tupleIJjjEEENS0_10empty_typeEEEZNS1_10merge_implIS3_NS0_12zip_iteratorINS5_IJN6thrust23THRUST_200600_302600_NS6detail15normal_iteratorINSC_10device_ptrIKjEEEESI_EEEEESK_NSA_INS5_IJNSE_INSF_IjEEEESM_EEEEEPS7_SP_SP_NSC_11hip_rocprim7__merge17predicate_wrapperIjjNSC_7greaterIjEEEEEE10hipError_tPvRmT0_T1_T2_T3_T4_T5_mmT6_P12ihipStream_tbEUlT_E0_NS1_11comp_targetILNS1_3genE0ELNS1_11target_archE4294967295ELNS1_3gpuE0ELNS1_3repE0EEENS1_30default_config_static_selectorELNS0_4arch9wavefront6targetE0EEEvS10_
                                        ; -- End function
	.set _ZN7rocprim17ROCPRIM_400000_NS6detail17trampoline_kernelINS0_14default_configENS1_21merge_config_selectorINS0_5tupleIJjjEEENS0_10empty_typeEEEZNS1_10merge_implIS3_NS0_12zip_iteratorINS5_IJN6thrust23THRUST_200600_302600_NS6detail15normal_iteratorINSC_10device_ptrIKjEEEESI_EEEEESK_NSA_INS5_IJNSE_INSF_IjEEEESM_EEEEEPS7_SP_SP_NSC_11hip_rocprim7__merge17predicate_wrapperIjjNSC_7greaterIjEEEEEE10hipError_tPvRmT0_T1_T2_T3_T4_T5_mmT6_P12ihipStream_tbEUlT_E0_NS1_11comp_targetILNS1_3genE0ELNS1_11target_archE4294967295ELNS1_3gpuE0ELNS1_3repE0EEENS1_30default_config_static_selectorELNS0_4arch9wavefront6targetE0EEEvS10_.num_vgpr, 35
	.set _ZN7rocprim17ROCPRIM_400000_NS6detail17trampoline_kernelINS0_14default_configENS1_21merge_config_selectorINS0_5tupleIJjjEEENS0_10empty_typeEEEZNS1_10merge_implIS3_NS0_12zip_iteratorINS5_IJN6thrust23THRUST_200600_302600_NS6detail15normal_iteratorINSC_10device_ptrIKjEEEESI_EEEEESK_NSA_INS5_IJNSE_INSF_IjEEEESM_EEEEEPS7_SP_SP_NSC_11hip_rocprim7__merge17predicate_wrapperIjjNSC_7greaterIjEEEEEE10hipError_tPvRmT0_T1_T2_T3_T4_T5_mmT6_P12ihipStream_tbEUlT_E0_NS1_11comp_targetILNS1_3genE0ELNS1_11target_archE4294967295ELNS1_3gpuE0ELNS1_3repE0EEENS1_30default_config_static_selectorELNS0_4arch9wavefront6targetE0EEEvS10_.num_agpr, 0
	.set _ZN7rocprim17ROCPRIM_400000_NS6detail17trampoline_kernelINS0_14default_configENS1_21merge_config_selectorINS0_5tupleIJjjEEENS0_10empty_typeEEEZNS1_10merge_implIS3_NS0_12zip_iteratorINS5_IJN6thrust23THRUST_200600_302600_NS6detail15normal_iteratorINSC_10device_ptrIKjEEEESI_EEEEESK_NSA_INS5_IJNSE_INSF_IjEEEESM_EEEEEPS7_SP_SP_NSC_11hip_rocprim7__merge17predicate_wrapperIjjNSC_7greaterIjEEEEEE10hipError_tPvRmT0_T1_T2_T3_T4_T5_mmT6_P12ihipStream_tbEUlT_E0_NS1_11comp_targetILNS1_3genE0ELNS1_11target_archE4294967295ELNS1_3gpuE0ELNS1_3repE0EEENS1_30default_config_static_selectorELNS0_4arch9wavefront6targetE0EEEvS10_.numbered_sgpr, 26
	.set _ZN7rocprim17ROCPRIM_400000_NS6detail17trampoline_kernelINS0_14default_configENS1_21merge_config_selectorINS0_5tupleIJjjEEENS0_10empty_typeEEEZNS1_10merge_implIS3_NS0_12zip_iteratorINS5_IJN6thrust23THRUST_200600_302600_NS6detail15normal_iteratorINSC_10device_ptrIKjEEEESI_EEEEESK_NSA_INS5_IJNSE_INSF_IjEEEESM_EEEEEPS7_SP_SP_NSC_11hip_rocprim7__merge17predicate_wrapperIjjNSC_7greaterIjEEEEEE10hipError_tPvRmT0_T1_T2_T3_T4_T5_mmT6_P12ihipStream_tbEUlT_E0_NS1_11comp_targetILNS1_3genE0ELNS1_11target_archE4294967295ELNS1_3gpuE0ELNS1_3repE0EEENS1_30default_config_static_selectorELNS0_4arch9wavefront6targetE0EEEvS10_.num_named_barrier, 0
	.set _ZN7rocprim17ROCPRIM_400000_NS6detail17trampoline_kernelINS0_14default_configENS1_21merge_config_selectorINS0_5tupleIJjjEEENS0_10empty_typeEEEZNS1_10merge_implIS3_NS0_12zip_iteratorINS5_IJN6thrust23THRUST_200600_302600_NS6detail15normal_iteratorINSC_10device_ptrIKjEEEESI_EEEEESK_NSA_INS5_IJNSE_INSF_IjEEEESM_EEEEEPS7_SP_SP_NSC_11hip_rocprim7__merge17predicate_wrapperIjjNSC_7greaterIjEEEEEE10hipError_tPvRmT0_T1_T2_T3_T4_T5_mmT6_P12ihipStream_tbEUlT_E0_NS1_11comp_targetILNS1_3genE0ELNS1_11target_archE4294967295ELNS1_3gpuE0ELNS1_3repE0EEENS1_30default_config_static_selectorELNS0_4arch9wavefront6targetE0EEEvS10_.private_seg_size, 0
	.set _ZN7rocprim17ROCPRIM_400000_NS6detail17trampoline_kernelINS0_14default_configENS1_21merge_config_selectorINS0_5tupleIJjjEEENS0_10empty_typeEEEZNS1_10merge_implIS3_NS0_12zip_iteratorINS5_IJN6thrust23THRUST_200600_302600_NS6detail15normal_iteratorINSC_10device_ptrIKjEEEESI_EEEEESK_NSA_INS5_IJNSE_INSF_IjEEEESM_EEEEEPS7_SP_SP_NSC_11hip_rocprim7__merge17predicate_wrapperIjjNSC_7greaterIjEEEEEE10hipError_tPvRmT0_T1_T2_T3_T4_T5_mmT6_P12ihipStream_tbEUlT_E0_NS1_11comp_targetILNS1_3genE0ELNS1_11target_archE4294967295ELNS1_3gpuE0ELNS1_3repE0EEENS1_30default_config_static_selectorELNS0_4arch9wavefront6targetE0EEEvS10_.uses_vcc, 1
	.set _ZN7rocprim17ROCPRIM_400000_NS6detail17trampoline_kernelINS0_14default_configENS1_21merge_config_selectorINS0_5tupleIJjjEEENS0_10empty_typeEEEZNS1_10merge_implIS3_NS0_12zip_iteratorINS5_IJN6thrust23THRUST_200600_302600_NS6detail15normal_iteratorINSC_10device_ptrIKjEEEESI_EEEEESK_NSA_INS5_IJNSE_INSF_IjEEEESM_EEEEEPS7_SP_SP_NSC_11hip_rocprim7__merge17predicate_wrapperIjjNSC_7greaterIjEEEEEE10hipError_tPvRmT0_T1_T2_T3_T4_T5_mmT6_P12ihipStream_tbEUlT_E0_NS1_11comp_targetILNS1_3genE0ELNS1_11target_archE4294967295ELNS1_3gpuE0ELNS1_3repE0EEENS1_30default_config_static_selectorELNS0_4arch9wavefront6targetE0EEEvS10_.uses_flat_scratch, 0
	.set _ZN7rocprim17ROCPRIM_400000_NS6detail17trampoline_kernelINS0_14default_configENS1_21merge_config_selectorINS0_5tupleIJjjEEENS0_10empty_typeEEEZNS1_10merge_implIS3_NS0_12zip_iteratorINS5_IJN6thrust23THRUST_200600_302600_NS6detail15normal_iteratorINSC_10device_ptrIKjEEEESI_EEEEESK_NSA_INS5_IJNSE_INSF_IjEEEESM_EEEEEPS7_SP_SP_NSC_11hip_rocprim7__merge17predicate_wrapperIjjNSC_7greaterIjEEEEEE10hipError_tPvRmT0_T1_T2_T3_T4_T5_mmT6_P12ihipStream_tbEUlT_E0_NS1_11comp_targetILNS1_3genE0ELNS1_11target_archE4294967295ELNS1_3gpuE0ELNS1_3repE0EEENS1_30default_config_static_selectorELNS0_4arch9wavefront6targetE0EEEvS10_.has_dyn_sized_stack, 0
	.set _ZN7rocprim17ROCPRIM_400000_NS6detail17trampoline_kernelINS0_14default_configENS1_21merge_config_selectorINS0_5tupleIJjjEEENS0_10empty_typeEEEZNS1_10merge_implIS3_NS0_12zip_iteratorINS5_IJN6thrust23THRUST_200600_302600_NS6detail15normal_iteratorINSC_10device_ptrIKjEEEESI_EEEEESK_NSA_INS5_IJNSE_INSF_IjEEEESM_EEEEEPS7_SP_SP_NSC_11hip_rocprim7__merge17predicate_wrapperIjjNSC_7greaterIjEEEEEE10hipError_tPvRmT0_T1_T2_T3_T4_T5_mmT6_P12ihipStream_tbEUlT_E0_NS1_11comp_targetILNS1_3genE0ELNS1_11target_archE4294967295ELNS1_3gpuE0ELNS1_3repE0EEENS1_30default_config_static_selectorELNS0_4arch9wavefront6targetE0EEEvS10_.has_recursion, 0
	.set _ZN7rocprim17ROCPRIM_400000_NS6detail17trampoline_kernelINS0_14default_configENS1_21merge_config_selectorINS0_5tupleIJjjEEENS0_10empty_typeEEEZNS1_10merge_implIS3_NS0_12zip_iteratorINS5_IJN6thrust23THRUST_200600_302600_NS6detail15normal_iteratorINSC_10device_ptrIKjEEEESI_EEEEESK_NSA_INS5_IJNSE_INSF_IjEEEESM_EEEEEPS7_SP_SP_NSC_11hip_rocprim7__merge17predicate_wrapperIjjNSC_7greaterIjEEEEEE10hipError_tPvRmT0_T1_T2_T3_T4_T5_mmT6_P12ihipStream_tbEUlT_E0_NS1_11comp_targetILNS1_3genE0ELNS1_11target_archE4294967295ELNS1_3gpuE0ELNS1_3repE0EEENS1_30default_config_static_selectorELNS0_4arch9wavefront6targetE0EEEvS10_.has_indirect_call, 0
	.section	.AMDGPU.csdata,"",@progbits
; Kernel info:
; codeLenInByte = 3508
; TotalNumSgprs: 28
; NumVgprs: 35
; ScratchSize: 0
; MemoryBound: 0
; FloatMode: 240
; IeeeMode: 1
; LDSByteSize: 14352 bytes/workgroup (compile time only)
; SGPRBlocks: 0
; VGPRBlocks: 2
; NumSGPRsForWavesPerEU: 28
; NumVGPRsForWavesPerEU: 35
; NamedBarCnt: 0
; Occupancy: 16
; WaveLimiterHint : 1
; COMPUTE_PGM_RSRC2:SCRATCH_EN: 0
; COMPUTE_PGM_RSRC2:USER_SGPR: 2
; COMPUTE_PGM_RSRC2:TRAP_HANDLER: 0
; COMPUTE_PGM_RSRC2:TGID_X_EN: 1
; COMPUTE_PGM_RSRC2:TGID_Y_EN: 0
; COMPUTE_PGM_RSRC2:TGID_Z_EN: 0
; COMPUTE_PGM_RSRC2:TIDIG_COMP_CNT: 0
	.section	.text._ZN7rocprim17ROCPRIM_400000_NS6detail17trampoline_kernelINS0_14default_configENS1_21merge_config_selectorINS0_5tupleIJjjEEENS0_10empty_typeEEEZNS1_10merge_implIS3_NS0_12zip_iteratorINS5_IJN6thrust23THRUST_200600_302600_NS6detail15normal_iteratorINSC_10device_ptrIKjEEEESI_EEEEESK_NSA_INS5_IJNSE_INSF_IjEEEESM_EEEEEPS7_SP_SP_NSC_11hip_rocprim7__merge17predicate_wrapperIjjNSC_7greaterIjEEEEEE10hipError_tPvRmT0_T1_T2_T3_T4_T5_mmT6_P12ihipStream_tbEUlT_E0_NS1_11comp_targetILNS1_3genE5ELNS1_11target_archE942ELNS1_3gpuE9ELNS1_3repE0EEENS1_30default_config_static_selectorELNS0_4arch9wavefront6targetE0EEEvS10_,"axG",@progbits,_ZN7rocprim17ROCPRIM_400000_NS6detail17trampoline_kernelINS0_14default_configENS1_21merge_config_selectorINS0_5tupleIJjjEEENS0_10empty_typeEEEZNS1_10merge_implIS3_NS0_12zip_iteratorINS5_IJN6thrust23THRUST_200600_302600_NS6detail15normal_iteratorINSC_10device_ptrIKjEEEESI_EEEEESK_NSA_INS5_IJNSE_INSF_IjEEEESM_EEEEEPS7_SP_SP_NSC_11hip_rocprim7__merge17predicate_wrapperIjjNSC_7greaterIjEEEEEE10hipError_tPvRmT0_T1_T2_T3_T4_T5_mmT6_P12ihipStream_tbEUlT_E0_NS1_11comp_targetILNS1_3genE5ELNS1_11target_archE942ELNS1_3gpuE9ELNS1_3repE0EEENS1_30default_config_static_selectorELNS0_4arch9wavefront6targetE0EEEvS10_,comdat
	.protected	_ZN7rocprim17ROCPRIM_400000_NS6detail17trampoline_kernelINS0_14default_configENS1_21merge_config_selectorINS0_5tupleIJjjEEENS0_10empty_typeEEEZNS1_10merge_implIS3_NS0_12zip_iteratorINS5_IJN6thrust23THRUST_200600_302600_NS6detail15normal_iteratorINSC_10device_ptrIKjEEEESI_EEEEESK_NSA_INS5_IJNSE_INSF_IjEEEESM_EEEEEPS7_SP_SP_NSC_11hip_rocprim7__merge17predicate_wrapperIjjNSC_7greaterIjEEEEEE10hipError_tPvRmT0_T1_T2_T3_T4_T5_mmT6_P12ihipStream_tbEUlT_E0_NS1_11comp_targetILNS1_3genE5ELNS1_11target_archE942ELNS1_3gpuE9ELNS1_3repE0EEENS1_30default_config_static_selectorELNS0_4arch9wavefront6targetE0EEEvS10_ ; -- Begin function _ZN7rocprim17ROCPRIM_400000_NS6detail17trampoline_kernelINS0_14default_configENS1_21merge_config_selectorINS0_5tupleIJjjEEENS0_10empty_typeEEEZNS1_10merge_implIS3_NS0_12zip_iteratorINS5_IJN6thrust23THRUST_200600_302600_NS6detail15normal_iteratorINSC_10device_ptrIKjEEEESI_EEEEESK_NSA_INS5_IJNSE_INSF_IjEEEESM_EEEEEPS7_SP_SP_NSC_11hip_rocprim7__merge17predicate_wrapperIjjNSC_7greaterIjEEEEEE10hipError_tPvRmT0_T1_T2_T3_T4_T5_mmT6_P12ihipStream_tbEUlT_E0_NS1_11comp_targetILNS1_3genE5ELNS1_11target_archE942ELNS1_3gpuE9ELNS1_3repE0EEENS1_30default_config_static_selectorELNS0_4arch9wavefront6targetE0EEEvS10_
	.globl	_ZN7rocprim17ROCPRIM_400000_NS6detail17trampoline_kernelINS0_14default_configENS1_21merge_config_selectorINS0_5tupleIJjjEEENS0_10empty_typeEEEZNS1_10merge_implIS3_NS0_12zip_iteratorINS5_IJN6thrust23THRUST_200600_302600_NS6detail15normal_iteratorINSC_10device_ptrIKjEEEESI_EEEEESK_NSA_INS5_IJNSE_INSF_IjEEEESM_EEEEEPS7_SP_SP_NSC_11hip_rocprim7__merge17predicate_wrapperIjjNSC_7greaterIjEEEEEE10hipError_tPvRmT0_T1_T2_T3_T4_T5_mmT6_P12ihipStream_tbEUlT_E0_NS1_11comp_targetILNS1_3genE5ELNS1_11target_archE942ELNS1_3gpuE9ELNS1_3repE0EEENS1_30default_config_static_selectorELNS0_4arch9wavefront6targetE0EEEvS10_
	.p2align	8
	.type	_ZN7rocprim17ROCPRIM_400000_NS6detail17trampoline_kernelINS0_14default_configENS1_21merge_config_selectorINS0_5tupleIJjjEEENS0_10empty_typeEEEZNS1_10merge_implIS3_NS0_12zip_iteratorINS5_IJN6thrust23THRUST_200600_302600_NS6detail15normal_iteratorINSC_10device_ptrIKjEEEESI_EEEEESK_NSA_INS5_IJNSE_INSF_IjEEEESM_EEEEEPS7_SP_SP_NSC_11hip_rocprim7__merge17predicate_wrapperIjjNSC_7greaterIjEEEEEE10hipError_tPvRmT0_T1_T2_T3_T4_T5_mmT6_P12ihipStream_tbEUlT_E0_NS1_11comp_targetILNS1_3genE5ELNS1_11target_archE942ELNS1_3gpuE9ELNS1_3repE0EEENS1_30default_config_static_selectorELNS0_4arch9wavefront6targetE0EEEvS10_,@function
_ZN7rocprim17ROCPRIM_400000_NS6detail17trampoline_kernelINS0_14default_configENS1_21merge_config_selectorINS0_5tupleIJjjEEENS0_10empty_typeEEEZNS1_10merge_implIS3_NS0_12zip_iteratorINS5_IJN6thrust23THRUST_200600_302600_NS6detail15normal_iteratorINSC_10device_ptrIKjEEEESI_EEEEESK_NSA_INS5_IJNSE_INSF_IjEEEESM_EEEEEPS7_SP_SP_NSC_11hip_rocprim7__merge17predicate_wrapperIjjNSC_7greaterIjEEEEEE10hipError_tPvRmT0_T1_T2_T3_T4_T5_mmT6_P12ihipStream_tbEUlT_E0_NS1_11comp_targetILNS1_3genE5ELNS1_11target_archE942ELNS1_3gpuE9ELNS1_3repE0EEENS1_30default_config_static_selectorELNS0_4arch9wavefront6targetE0EEEvS10_: ; @_ZN7rocprim17ROCPRIM_400000_NS6detail17trampoline_kernelINS0_14default_configENS1_21merge_config_selectorINS0_5tupleIJjjEEENS0_10empty_typeEEEZNS1_10merge_implIS3_NS0_12zip_iteratorINS5_IJN6thrust23THRUST_200600_302600_NS6detail15normal_iteratorINSC_10device_ptrIKjEEEESI_EEEEESK_NSA_INS5_IJNSE_INSF_IjEEEESM_EEEEEPS7_SP_SP_NSC_11hip_rocprim7__merge17predicate_wrapperIjjNSC_7greaterIjEEEEEE10hipError_tPvRmT0_T1_T2_T3_T4_T5_mmT6_P12ihipStream_tbEUlT_E0_NS1_11comp_targetILNS1_3genE5ELNS1_11target_archE942ELNS1_3gpuE9ELNS1_3repE0EEENS1_30default_config_static_selectorELNS0_4arch9wavefront6targetE0EEEvS10_
; %bb.0:
	.section	.rodata,"a",@progbits
	.p2align	6, 0x0
	.amdhsa_kernel _ZN7rocprim17ROCPRIM_400000_NS6detail17trampoline_kernelINS0_14default_configENS1_21merge_config_selectorINS0_5tupleIJjjEEENS0_10empty_typeEEEZNS1_10merge_implIS3_NS0_12zip_iteratorINS5_IJN6thrust23THRUST_200600_302600_NS6detail15normal_iteratorINSC_10device_ptrIKjEEEESI_EEEEESK_NSA_INS5_IJNSE_INSF_IjEEEESM_EEEEEPS7_SP_SP_NSC_11hip_rocprim7__merge17predicate_wrapperIjjNSC_7greaterIjEEEEEE10hipError_tPvRmT0_T1_T2_T3_T4_T5_mmT6_P12ihipStream_tbEUlT_E0_NS1_11comp_targetILNS1_3genE5ELNS1_11target_archE942ELNS1_3gpuE9ELNS1_3repE0EEENS1_30default_config_static_selectorELNS0_4arch9wavefront6targetE0EEEvS10_
		.amdhsa_group_segment_fixed_size 0
		.amdhsa_private_segment_fixed_size 0
		.amdhsa_kernarg_size 112
		.amdhsa_user_sgpr_count 2
		.amdhsa_user_sgpr_dispatch_ptr 0
		.amdhsa_user_sgpr_queue_ptr 0
		.amdhsa_user_sgpr_kernarg_segment_ptr 1
		.amdhsa_user_sgpr_dispatch_id 0
		.amdhsa_user_sgpr_kernarg_preload_length 0
		.amdhsa_user_sgpr_kernarg_preload_offset 0
		.amdhsa_user_sgpr_private_segment_size 0
		.amdhsa_wavefront_size32 1
		.amdhsa_uses_dynamic_stack 0
		.amdhsa_enable_private_segment 0
		.amdhsa_system_sgpr_workgroup_id_x 1
		.amdhsa_system_sgpr_workgroup_id_y 0
		.amdhsa_system_sgpr_workgroup_id_z 0
		.amdhsa_system_sgpr_workgroup_info 0
		.amdhsa_system_vgpr_workitem_id 0
		.amdhsa_next_free_vgpr 1
		.amdhsa_next_free_sgpr 1
		.amdhsa_named_barrier_count 0
		.amdhsa_reserve_vcc 0
		.amdhsa_float_round_mode_32 0
		.amdhsa_float_round_mode_16_64 0
		.amdhsa_float_denorm_mode_32 3
		.amdhsa_float_denorm_mode_16_64 3
		.amdhsa_fp16_overflow 0
		.amdhsa_memory_ordered 1
		.amdhsa_forward_progress 1
		.amdhsa_inst_pref_size 0
		.amdhsa_round_robin_scheduling 0
		.amdhsa_exception_fp_ieee_invalid_op 0
		.amdhsa_exception_fp_denorm_src 0
		.amdhsa_exception_fp_ieee_div_zero 0
		.amdhsa_exception_fp_ieee_overflow 0
		.amdhsa_exception_fp_ieee_underflow 0
		.amdhsa_exception_fp_ieee_inexact 0
		.amdhsa_exception_int_div_zero 0
	.end_amdhsa_kernel
	.section	.text._ZN7rocprim17ROCPRIM_400000_NS6detail17trampoline_kernelINS0_14default_configENS1_21merge_config_selectorINS0_5tupleIJjjEEENS0_10empty_typeEEEZNS1_10merge_implIS3_NS0_12zip_iteratorINS5_IJN6thrust23THRUST_200600_302600_NS6detail15normal_iteratorINSC_10device_ptrIKjEEEESI_EEEEESK_NSA_INS5_IJNSE_INSF_IjEEEESM_EEEEEPS7_SP_SP_NSC_11hip_rocprim7__merge17predicate_wrapperIjjNSC_7greaterIjEEEEEE10hipError_tPvRmT0_T1_T2_T3_T4_T5_mmT6_P12ihipStream_tbEUlT_E0_NS1_11comp_targetILNS1_3genE5ELNS1_11target_archE942ELNS1_3gpuE9ELNS1_3repE0EEENS1_30default_config_static_selectorELNS0_4arch9wavefront6targetE0EEEvS10_,"axG",@progbits,_ZN7rocprim17ROCPRIM_400000_NS6detail17trampoline_kernelINS0_14default_configENS1_21merge_config_selectorINS0_5tupleIJjjEEENS0_10empty_typeEEEZNS1_10merge_implIS3_NS0_12zip_iteratorINS5_IJN6thrust23THRUST_200600_302600_NS6detail15normal_iteratorINSC_10device_ptrIKjEEEESI_EEEEESK_NSA_INS5_IJNSE_INSF_IjEEEESM_EEEEEPS7_SP_SP_NSC_11hip_rocprim7__merge17predicate_wrapperIjjNSC_7greaterIjEEEEEE10hipError_tPvRmT0_T1_T2_T3_T4_T5_mmT6_P12ihipStream_tbEUlT_E0_NS1_11comp_targetILNS1_3genE5ELNS1_11target_archE942ELNS1_3gpuE9ELNS1_3repE0EEENS1_30default_config_static_selectorELNS0_4arch9wavefront6targetE0EEEvS10_,comdat
.Lfunc_end381:
	.size	_ZN7rocprim17ROCPRIM_400000_NS6detail17trampoline_kernelINS0_14default_configENS1_21merge_config_selectorINS0_5tupleIJjjEEENS0_10empty_typeEEEZNS1_10merge_implIS3_NS0_12zip_iteratorINS5_IJN6thrust23THRUST_200600_302600_NS6detail15normal_iteratorINSC_10device_ptrIKjEEEESI_EEEEESK_NSA_INS5_IJNSE_INSF_IjEEEESM_EEEEEPS7_SP_SP_NSC_11hip_rocprim7__merge17predicate_wrapperIjjNSC_7greaterIjEEEEEE10hipError_tPvRmT0_T1_T2_T3_T4_T5_mmT6_P12ihipStream_tbEUlT_E0_NS1_11comp_targetILNS1_3genE5ELNS1_11target_archE942ELNS1_3gpuE9ELNS1_3repE0EEENS1_30default_config_static_selectorELNS0_4arch9wavefront6targetE0EEEvS10_, .Lfunc_end381-_ZN7rocprim17ROCPRIM_400000_NS6detail17trampoline_kernelINS0_14default_configENS1_21merge_config_selectorINS0_5tupleIJjjEEENS0_10empty_typeEEEZNS1_10merge_implIS3_NS0_12zip_iteratorINS5_IJN6thrust23THRUST_200600_302600_NS6detail15normal_iteratorINSC_10device_ptrIKjEEEESI_EEEEESK_NSA_INS5_IJNSE_INSF_IjEEEESM_EEEEEPS7_SP_SP_NSC_11hip_rocprim7__merge17predicate_wrapperIjjNSC_7greaterIjEEEEEE10hipError_tPvRmT0_T1_T2_T3_T4_T5_mmT6_P12ihipStream_tbEUlT_E0_NS1_11comp_targetILNS1_3genE5ELNS1_11target_archE942ELNS1_3gpuE9ELNS1_3repE0EEENS1_30default_config_static_selectorELNS0_4arch9wavefront6targetE0EEEvS10_
                                        ; -- End function
	.set _ZN7rocprim17ROCPRIM_400000_NS6detail17trampoline_kernelINS0_14default_configENS1_21merge_config_selectorINS0_5tupleIJjjEEENS0_10empty_typeEEEZNS1_10merge_implIS3_NS0_12zip_iteratorINS5_IJN6thrust23THRUST_200600_302600_NS6detail15normal_iteratorINSC_10device_ptrIKjEEEESI_EEEEESK_NSA_INS5_IJNSE_INSF_IjEEEESM_EEEEEPS7_SP_SP_NSC_11hip_rocprim7__merge17predicate_wrapperIjjNSC_7greaterIjEEEEEE10hipError_tPvRmT0_T1_T2_T3_T4_T5_mmT6_P12ihipStream_tbEUlT_E0_NS1_11comp_targetILNS1_3genE5ELNS1_11target_archE942ELNS1_3gpuE9ELNS1_3repE0EEENS1_30default_config_static_selectorELNS0_4arch9wavefront6targetE0EEEvS10_.num_vgpr, 0
	.set _ZN7rocprim17ROCPRIM_400000_NS6detail17trampoline_kernelINS0_14default_configENS1_21merge_config_selectorINS0_5tupleIJjjEEENS0_10empty_typeEEEZNS1_10merge_implIS3_NS0_12zip_iteratorINS5_IJN6thrust23THRUST_200600_302600_NS6detail15normal_iteratorINSC_10device_ptrIKjEEEESI_EEEEESK_NSA_INS5_IJNSE_INSF_IjEEEESM_EEEEEPS7_SP_SP_NSC_11hip_rocprim7__merge17predicate_wrapperIjjNSC_7greaterIjEEEEEE10hipError_tPvRmT0_T1_T2_T3_T4_T5_mmT6_P12ihipStream_tbEUlT_E0_NS1_11comp_targetILNS1_3genE5ELNS1_11target_archE942ELNS1_3gpuE9ELNS1_3repE0EEENS1_30default_config_static_selectorELNS0_4arch9wavefront6targetE0EEEvS10_.num_agpr, 0
	.set _ZN7rocprim17ROCPRIM_400000_NS6detail17trampoline_kernelINS0_14default_configENS1_21merge_config_selectorINS0_5tupleIJjjEEENS0_10empty_typeEEEZNS1_10merge_implIS3_NS0_12zip_iteratorINS5_IJN6thrust23THRUST_200600_302600_NS6detail15normal_iteratorINSC_10device_ptrIKjEEEESI_EEEEESK_NSA_INS5_IJNSE_INSF_IjEEEESM_EEEEEPS7_SP_SP_NSC_11hip_rocprim7__merge17predicate_wrapperIjjNSC_7greaterIjEEEEEE10hipError_tPvRmT0_T1_T2_T3_T4_T5_mmT6_P12ihipStream_tbEUlT_E0_NS1_11comp_targetILNS1_3genE5ELNS1_11target_archE942ELNS1_3gpuE9ELNS1_3repE0EEENS1_30default_config_static_selectorELNS0_4arch9wavefront6targetE0EEEvS10_.numbered_sgpr, 0
	.set _ZN7rocprim17ROCPRIM_400000_NS6detail17trampoline_kernelINS0_14default_configENS1_21merge_config_selectorINS0_5tupleIJjjEEENS0_10empty_typeEEEZNS1_10merge_implIS3_NS0_12zip_iteratorINS5_IJN6thrust23THRUST_200600_302600_NS6detail15normal_iteratorINSC_10device_ptrIKjEEEESI_EEEEESK_NSA_INS5_IJNSE_INSF_IjEEEESM_EEEEEPS7_SP_SP_NSC_11hip_rocprim7__merge17predicate_wrapperIjjNSC_7greaterIjEEEEEE10hipError_tPvRmT0_T1_T2_T3_T4_T5_mmT6_P12ihipStream_tbEUlT_E0_NS1_11comp_targetILNS1_3genE5ELNS1_11target_archE942ELNS1_3gpuE9ELNS1_3repE0EEENS1_30default_config_static_selectorELNS0_4arch9wavefront6targetE0EEEvS10_.num_named_barrier, 0
	.set _ZN7rocprim17ROCPRIM_400000_NS6detail17trampoline_kernelINS0_14default_configENS1_21merge_config_selectorINS0_5tupleIJjjEEENS0_10empty_typeEEEZNS1_10merge_implIS3_NS0_12zip_iteratorINS5_IJN6thrust23THRUST_200600_302600_NS6detail15normal_iteratorINSC_10device_ptrIKjEEEESI_EEEEESK_NSA_INS5_IJNSE_INSF_IjEEEESM_EEEEEPS7_SP_SP_NSC_11hip_rocprim7__merge17predicate_wrapperIjjNSC_7greaterIjEEEEEE10hipError_tPvRmT0_T1_T2_T3_T4_T5_mmT6_P12ihipStream_tbEUlT_E0_NS1_11comp_targetILNS1_3genE5ELNS1_11target_archE942ELNS1_3gpuE9ELNS1_3repE0EEENS1_30default_config_static_selectorELNS0_4arch9wavefront6targetE0EEEvS10_.private_seg_size, 0
	.set _ZN7rocprim17ROCPRIM_400000_NS6detail17trampoline_kernelINS0_14default_configENS1_21merge_config_selectorINS0_5tupleIJjjEEENS0_10empty_typeEEEZNS1_10merge_implIS3_NS0_12zip_iteratorINS5_IJN6thrust23THRUST_200600_302600_NS6detail15normal_iteratorINSC_10device_ptrIKjEEEESI_EEEEESK_NSA_INS5_IJNSE_INSF_IjEEEESM_EEEEEPS7_SP_SP_NSC_11hip_rocprim7__merge17predicate_wrapperIjjNSC_7greaterIjEEEEEE10hipError_tPvRmT0_T1_T2_T3_T4_T5_mmT6_P12ihipStream_tbEUlT_E0_NS1_11comp_targetILNS1_3genE5ELNS1_11target_archE942ELNS1_3gpuE9ELNS1_3repE0EEENS1_30default_config_static_selectorELNS0_4arch9wavefront6targetE0EEEvS10_.uses_vcc, 0
	.set _ZN7rocprim17ROCPRIM_400000_NS6detail17trampoline_kernelINS0_14default_configENS1_21merge_config_selectorINS0_5tupleIJjjEEENS0_10empty_typeEEEZNS1_10merge_implIS3_NS0_12zip_iteratorINS5_IJN6thrust23THRUST_200600_302600_NS6detail15normal_iteratorINSC_10device_ptrIKjEEEESI_EEEEESK_NSA_INS5_IJNSE_INSF_IjEEEESM_EEEEEPS7_SP_SP_NSC_11hip_rocprim7__merge17predicate_wrapperIjjNSC_7greaterIjEEEEEE10hipError_tPvRmT0_T1_T2_T3_T4_T5_mmT6_P12ihipStream_tbEUlT_E0_NS1_11comp_targetILNS1_3genE5ELNS1_11target_archE942ELNS1_3gpuE9ELNS1_3repE0EEENS1_30default_config_static_selectorELNS0_4arch9wavefront6targetE0EEEvS10_.uses_flat_scratch, 0
	.set _ZN7rocprim17ROCPRIM_400000_NS6detail17trampoline_kernelINS0_14default_configENS1_21merge_config_selectorINS0_5tupleIJjjEEENS0_10empty_typeEEEZNS1_10merge_implIS3_NS0_12zip_iteratorINS5_IJN6thrust23THRUST_200600_302600_NS6detail15normal_iteratorINSC_10device_ptrIKjEEEESI_EEEEESK_NSA_INS5_IJNSE_INSF_IjEEEESM_EEEEEPS7_SP_SP_NSC_11hip_rocprim7__merge17predicate_wrapperIjjNSC_7greaterIjEEEEEE10hipError_tPvRmT0_T1_T2_T3_T4_T5_mmT6_P12ihipStream_tbEUlT_E0_NS1_11comp_targetILNS1_3genE5ELNS1_11target_archE942ELNS1_3gpuE9ELNS1_3repE0EEENS1_30default_config_static_selectorELNS0_4arch9wavefront6targetE0EEEvS10_.has_dyn_sized_stack, 0
	.set _ZN7rocprim17ROCPRIM_400000_NS6detail17trampoline_kernelINS0_14default_configENS1_21merge_config_selectorINS0_5tupleIJjjEEENS0_10empty_typeEEEZNS1_10merge_implIS3_NS0_12zip_iteratorINS5_IJN6thrust23THRUST_200600_302600_NS6detail15normal_iteratorINSC_10device_ptrIKjEEEESI_EEEEESK_NSA_INS5_IJNSE_INSF_IjEEEESM_EEEEEPS7_SP_SP_NSC_11hip_rocprim7__merge17predicate_wrapperIjjNSC_7greaterIjEEEEEE10hipError_tPvRmT0_T1_T2_T3_T4_T5_mmT6_P12ihipStream_tbEUlT_E0_NS1_11comp_targetILNS1_3genE5ELNS1_11target_archE942ELNS1_3gpuE9ELNS1_3repE0EEENS1_30default_config_static_selectorELNS0_4arch9wavefront6targetE0EEEvS10_.has_recursion, 0
	.set _ZN7rocprim17ROCPRIM_400000_NS6detail17trampoline_kernelINS0_14default_configENS1_21merge_config_selectorINS0_5tupleIJjjEEENS0_10empty_typeEEEZNS1_10merge_implIS3_NS0_12zip_iteratorINS5_IJN6thrust23THRUST_200600_302600_NS6detail15normal_iteratorINSC_10device_ptrIKjEEEESI_EEEEESK_NSA_INS5_IJNSE_INSF_IjEEEESM_EEEEEPS7_SP_SP_NSC_11hip_rocprim7__merge17predicate_wrapperIjjNSC_7greaterIjEEEEEE10hipError_tPvRmT0_T1_T2_T3_T4_T5_mmT6_P12ihipStream_tbEUlT_E0_NS1_11comp_targetILNS1_3genE5ELNS1_11target_archE942ELNS1_3gpuE9ELNS1_3repE0EEENS1_30default_config_static_selectorELNS0_4arch9wavefront6targetE0EEEvS10_.has_indirect_call, 0
	.section	.AMDGPU.csdata,"",@progbits
; Kernel info:
; codeLenInByte = 0
; TotalNumSgprs: 0
; NumVgprs: 0
; ScratchSize: 0
; MemoryBound: 0
; FloatMode: 240
; IeeeMode: 1
; LDSByteSize: 0 bytes/workgroup (compile time only)
; SGPRBlocks: 0
; VGPRBlocks: 0
; NumSGPRsForWavesPerEU: 1
; NumVGPRsForWavesPerEU: 1
; NamedBarCnt: 0
; Occupancy: 16
; WaveLimiterHint : 0
; COMPUTE_PGM_RSRC2:SCRATCH_EN: 0
; COMPUTE_PGM_RSRC2:USER_SGPR: 2
; COMPUTE_PGM_RSRC2:TRAP_HANDLER: 0
; COMPUTE_PGM_RSRC2:TGID_X_EN: 1
; COMPUTE_PGM_RSRC2:TGID_Y_EN: 0
; COMPUTE_PGM_RSRC2:TGID_Z_EN: 0
; COMPUTE_PGM_RSRC2:TIDIG_COMP_CNT: 0
	.section	.text._ZN7rocprim17ROCPRIM_400000_NS6detail17trampoline_kernelINS0_14default_configENS1_21merge_config_selectorINS0_5tupleIJjjEEENS0_10empty_typeEEEZNS1_10merge_implIS3_NS0_12zip_iteratorINS5_IJN6thrust23THRUST_200600_302600_NS6detail15normal_iteratorINSC_10device_ptrIKjEEEESI_EEEEESK_NSA_INS5_IJNSE_INSF_IjEEEESM_EEEEEPS7_SP_SP_NSC_11hip_rocprim7__merge17predicate_wrapperIjjNSC_7greaterIjEEEEEE10hipError_tPvRmT0_T1_T2_T3_T4_T5_mmT6_P12ihipStream_tbEUlT_E0_NS1_11comp_targetILNS1_3genE4ELNS1_11target_archE910ELNS1_3gpuE8ELNS1_3repE0EEENS1_30default_config_static_selectorELNS0_4arch9wavefront6targetE0EEEvS10_,"axG",@progbits,_ZN7rocprim17ROCPRIM_400000_NS6detail17trampoline_kernelINS0_14default_configENS1_21merge_config_selectorINS0_5tupleIJjjEEENS0_10empty_typeEEEZNS1_10merge_implIS3_NS0_12zip_iteratorINS5_IJN6thrust23THRUST_200600_302600_NS6detail15normal_iteratorINSC_10device_ptrIKjEEEESI_EEEEESK_NSA_INS5_IJNSE_INSF_IjEEEESM_EEEEEPS7_SP_SP_NSC_11hip_rocprim7__merge17predicate_wrapperIjjNSC_7greaterIjEEEEEE10hipError_tPvRmT0_T1_T2_T3_T4_T5_mmT6_P12ihipStream_tbEUlT_E0_NS1_11comp_targetILNS1_3genE4ELNS1_11target_archE910ELNS1_3gpuE8ELNS1_3repE0EEENS1_30default_config_static_selectorELNS0_4arch9wavefront6targetE0EEEvS10_,comdat
	.protected	_ZN7rocprim17ROCPRIM_400000_NS6detail17trampoline_kernelINS0_14default_configENS1_21merge_config_selectorINS0_5tupleIJjjEEENS0_10empty_typeEEEZNS1_10merge_implIS3_NS0_12zip_iteratorINS5_IJN6thrust23THRUST_200600_302600_NS6detail15normal_iteratorINSC_10device_ptrIKjEEEESI_EEEEESK_NSA_INS5_IJNSE_INSF_IjEEEESM_EEEEEPS7_SP_SP_NSC_11hip_rocprim7__merge17predicate_wrapperIjjNSC_7greaterIjEEEEEE10hipError_tPvRmT0_T1_T2_T3_T4_T5_mmT6_P12ihipStream_tbEUlT_E0_NS1_11comp_targetILNS1_3genE4ELNS1_11target_archE910ELNS1_3gpuE8ELNS1_3repE0EEENS1_30default_config_static_selectorELNS0_4arch9wavefront6targetE0EEEvS10_ ; -- Begin function _ZN7rocprim17ROCPRIM_400000_NS6detail17trampoline_kernelINS0_14default_configENS1_21merge_config_selectorINS0_5tupleIJjjEEENS0_10empty_typeEEEZNS1_10merge_implIS3_NS0_12zip_iteratorINS5_IJN6thrust23THRUST_200600_302600_NS6detail15normal_iteratorINSC_10device_ptrIKjEEEESI_EEEEESK_NSA_INS5_IJNSE_INSF_IjEEEESM_EEEEEPS7_SP_SP_NSC_11hip_rocprim7__merge17predicate_wrapperIjjNSC_7greaterIjEEEEEE10hipError_tPvRmT0_T1_T2_T3_T4_T5_mmT6_P12ihipStream_tbEUlT_E0_NS1_11comp_targetILNS1_3genE4ELNS1_11target_archE910ELNS1_3gpuE8ELNS1_3repE0EEENS1_30default_config_static_selectorELNS0_4arch9wavefront6targetE0EEEvS10_
	.globl	_ZN7rocprim17ROCPRIM_400000_NS6detail17trampoline_kernelINS0_14default_configENS1_21merge_config_selectorINS0_5tupleIJjjEEENS0_10empty_typeEEEZNS1_10merge_implIS3_NS0_12zip_iteratorINS5_IJN6thrust23THRUST_200600_302600_NS6detail15normal_iteratorINSC_10device_ptrIKjEEEESI_EEEEESK_NSA_INS5_IJNSE_INSF_IjEEEESM_EEEEEPS7_SP_SP_NSC_11hip_rocprim7__merge17predicate_wrapperIjjNSC_7greaterIjEEEEEE10hipError_tPvRmT0_T1_T2_T3_T4_T5_mmT6_P12ihipStream_tbEUlT_E0_NS1_11comp_targetILNS1_3genE4ELNS1_11target_archE910ELNS1_3gpuE8ELNS1_3repE0EEENS1_30default_config_static_selectorELNS0_4arch9wavefront6targetE0EEEvS10_
	.p2align	8
	.type	_ZN7rocprim17ROCPRIM_400000_NS6detail17trampoline_kernelINS0_14default_configENS1_21merge_config_selectorINS0_5tupleIJjjEEENS0_10empty_typeEEEZNS1_10merge_implIS3_NS0_12zip_iteratorINS5_IJN6thrust23THRUST_200600_302600_NS6detail15normal_iteratorINSC_10device_ptrIKjEEEESI_EEEEESK_NSA_INS5_IJNSE_INSF_IjEEEESM_EEEEEPS7_SP_SP_NSC_11hip_rocprim7__merge17predicate_wrapperIjjNSC_7greaterIjEEEEEE10hipError_tPvRmT0_T1_T2_T3_T4_T5_mmT6_P12ihipStream_tbEUlT_E0_NS1_11comp_targetILNS1_3genE4ELNS1_11target_archE910ELNS1_3gpuE8ELNS1_3repE0EEENS1_30default_config_static_selectorELNS0_4arch9wavefront6targetE0EEEvS10_,@function
_ZN7rocprim17ROCPRIM_400000_NS6detail17trampoline_kernelINS0_14default_configENS1_21merge_config_selectorINS0_5tupleIJjjEEENS0_10empty_typeEEEZNS1_10merge_implIS3_NS0_12zip_iteratorINS5_IJN6thrust23THRUST_200600_302600_NS6detail15normal_iteratorINSC_10device_ptrIKjEEEESI_EEEEESK_NSA_INS5_IJNSE_INSF_IjEEEESM_EEEEEPS7_SP_SP_NSC_11hip_rocprim7__merge17predicate_wrapperIjjNSC_7greaterIjEEEEEE10hipError_tPvRmT0_T1_T2_T3_T4_T5_mmT6_P12ihipStream_tbEUlT_E0_NS1_11comp_targetILNS1_3genE4ELNS1_11target_archE910ELNS1_3gpuE8ELNS1_3repE0EEENS1_30default_config_static_selectorELNS0_4arch9wavefront6targetE0EEEvS10_: ; @_ZN7rocprim17ROCPRIM_400000_NS6detail17trampoline_kernelINS0_14default_configENS1_21merge_config_selectorINS0_5tupleIJjjEEENS0_10empty_typeEEEZNS1_10merge_implIS3_NS0_12zip_iteratorINS5_IJN6thrust23THRUST_200600_302600_NS6detail15normal_iteratorINSC_10device_ptrIKjEEEESI_EEEEESK_NSA_INS5_IJNSE_INSF_IjEEEESM_EEEEEPS7_SP_SP_NSC_11hip_rocprim7__merge17predicate_wrapperIjjNSC_7greaterIjEEEEEE10hipError_tPvRmT0_T1_T2_T3_T4_T5_mmT6_P12ihipStream_tbEUlT_E0_NS1_11comp_targetILNS1_3genE4ELNS1_11target_archE910ELNS1_3gpuE8ELNS1_3repE0EEENS1_30default_config_static_selectorELNS0_4arch9wavefront6targetE0EEEvS10_
; %bb.0:
	.section	.rodata,"a",@progbits
	.p2align	6, 0x0
	.amdhsa_kernel _ZN7rocprim17ROCPRIM_400000_NS6detail17trampoline_kernelINS0_14default_configENS1_21merge_config_selectorINS0_5tupleIJjjEEENS0_10empty_typeEEEZNS1_10merge_implIS3_NS0_12zip_iteratorINS5_IJN6thrust23THRUST_200600_302600_NS6detail15normal_iteratorINSC_10device_ptrIKjEEEESI_EEEEESK_NSA_INS5_IJNSE_INSF_IjEEEESM_EEEEEPS7_SP_SP_NSC_11hip_rocprim7__merge17predicate_wrapperIjjNSC_7greaterIjEEEEEE10hipError_tPvRmT0_T1_T2_T3_T4_T5_mmT6_P12ihipStream_tbEUlT_E0_NS1_11comp_targetILNS1_3genE4ELNS1_11target_archE910ELNS1_3gpuE8ELNS1_3repE0EEENS1_30default_config_static_selectorELNS0_4arch9wavefront6targetE0EEEvS10_
		.amdhsa_group_segment_fixed_size 0
		.amdhsa_private_segment_fixed_size 0
		.amdhsa_kernarg_size 112
		.amdhsa_user_sgpr_count 2
		.amdhsa_user_sgpr_dispatch_ptr 0
		.amdhsa_user_sgpr_queue_ptr 0
		.amdhsa_user_sgpr_kernarg_segment_ptr 1
		.amdhsa_user_sgpr_dispatch_id 0
		.amdhsa_user_sgpr_kernarg_preload_length 0
		.amdhsa_user_sgpr_kernarg_preload_offset 0
		.amdhsa_user_sgpr_private_segment_size 0
		.amdhsa_wavefront_size32 1
		.amdhsa_uses_dynamic_stack 0
		.amdhsa_enable_private_segment 0
		.amdhsa_system_sgpr_workgroup_id_x 1
		.amdhsa_system_sgpr_workgroup_id_y 0
		.amdhsa_system_sgpr_workgroup_id_z 0
		.amdhsa_system_sgpr_workgroup_info 0
		.amdhsa_system_vgpr_workitem_id 0
		.amdhsa_next_free_vgpr 1
		.amdhsa_next_free_sgpr 1
		.amdhsa_named_barrier_count 0
		.amdhsa_reserve_vcc 0
		.amdhsa_float_round_mode_32 0
		.amdhsa_float_round_mode_16_64 0
		.amdhsa_float_denorm_mode_32 3
		.amdhsa_float_denorm_mode_16_64 3
		.amdhsa_fp16_overflow 0
		.amdhsa_memory_ordered 1
		.amdhsa_forward_progress 1
		.amdhsa_inst_pref_size 0
		.amdhsa_round_robin_scheduling 0
		.amdhsa_exception_fp_ieee_invalid_op 0
		.amdhsa_exception_fp_denorm_src 0
		.amdhsa_exception_fp_ieee_div_zero 0
		.amdhsa_exception_fp_ieee_overflow 0
		.amdhsa_exception_fp_ieee_underflow 0
		.amdhsa_exception_fp_ieee_inexact 0
		.amdhsa_exception_int_div_zero 0
	.end_amdhsa_kernel
	.section	.text._ZN7rocprim17ROCPRIM_400000_NS6detail17trampoline_kernelINS0_14default_configENS1_21merge_config_selectorINS0_5tupleIJjjEEENS0_10empty_typeEEEZNS1_10merge_implIS3_NS0_12zip_iteratorINS5_IJN6thrust23THRUST_200600_302600_NS6detail15normal_iteratorINSC_10device_ptrIKjEEEESI_EEEEESK_NSA_INS5_IJNSE_INSF_IjEEEESM_EEEEEPS7_SP_SP_NSC_11hip_rocprim7__merge17predicate_wrapperIjjNSC_7greaterIjEEEEEE10hipError_tPvRmT0_T1_T2_T3_T4_T5_mmT6_P12ihipStream_tbEUlT_E0_NS1_11comp_targetILNS1_3genE4ELNS1_11target_archE910ELNS1_3gpuE8ELNS1_3repE0EEENS1_30default_config_static_selectorELNS0_4arch9wavefront6targetE0EEEvS10_,"axG",@progbits,_ZN7rocprim17ROCPRIM_400000_NS6detail17trampoline_kernelINS0_14default_configENS1_21merge_config_selectorINS0_5tupleIJjjEEENS0_10empty_typeEEEZNS1_10merge_implIS3_NS0_12zip_iteratorINS5_IJN6thrust23THRUST_200600_302600_NS6detail15normal_iteratorINSC_10device_ptrIKjEEEESI_EEEEESK_NSA_INS5_IJNSE_INSF_IjEEEESM_EEEEEPS7_SP_SP_NSC_11hip_rocprim7__merge17predicate_wrapperIjjNSC_7greaterIjEEEEEE10hipError_tPvRmT0_T1_T2_T3_T4_T5_mmT6_P12ihipStream_tbEUlT_E0_NS1_11comp_targetILNS1_3genE4ELNS1_11target_archE910ELNS1_3gpuE8ELNS1_3repE0EEENS1_30default_config_static_selectorELNS0_4arch9wavefront6targetE0EEEvS10_,comdat
.Lfunc_end382:
	.size	_ZN7rocprim17ROCPRIM_400000_NS6detail17trampoline_kernelINS0_14default_configENS1_21merge_config_selectorINS0_5tupleIJjjEEENS0_10empty_typeEEEZNS1_10merge_implIS3_NS0_12zip_iteratorINS5_IJN6thrust23THRUST_200600_302600_NS6detail15normal_iteratorINSC_10device_ptrIKjEEEESI_EEEEESK_NSA_INS5_IJNSE_INSF_IjEEEESM_EEEEEPS7_SP_SP_NSC_11hip_rocprim7__merge17predicate_wrapperIjjNSC_7greaterIjEEEEEE10hipError_tPvRmT0_T1_T2_T3_T4_T5_mmT6_P12ihipStream_tbEUlT_E0_NS1_11comp_targetILNS1_3genE4ELNS1_11target_archE910ELNS1_3gpuE8ELNS1_3repE0EEENS1_30default_config_static_selectorELNS0_4arch9wavefront6targetE0EEEvS10_, .Lfunc_end382-_ZN7rocprim17ROCPRIM_400000_NS6detail17trampoline_kernelINS0_14default_configENS1_21merge_config_selectorINS0_5tupleIJjjEEENS0_10empty_typeEEEZNS1_10merge_implIS3_NS0_12zip_iteratorINS5_IJN6thrust23THRUST_200600_302600_NS6detail15normal_iteratorINSC_10device_ptrIKjEEEESI_EEEEESK_NSA_INS5_IJNSE_INSF_IjEEEESM_EEEEEPS7_SP_SP_NSC_11hip_rocprim7__merge17predicate_wrapperIjjNSC_7greaterIjEEEEEE10hipError_tPvRmT0_T1_T2_T3_T4_T5_mmT6_P12ihipStream_tbEUlT_E0_NS1_11comp_targetILNS1_3genE4ELNS1_11target_archE910ELNS1_3gpuE8ELNS1_3repE0EEENS1_30default_config_static_selectorELNS0_4arch9wavefront6targetE0EEEvS10_
                                        ; -- End function
	.set _ZN7rocprim17ROCPRIM_400000_NS6detail17trampoline_kernelINS0_14default_configENS1_21merge_config_selectorINS0_5tupleIJjjEEENS0_10empty_typeEEEZNS1_10merge_implIS3_NS0_12zip_iteratorINS5_IJN6thrust23THRUST_200600_302600_NS6detail15normal_iteratorINSC_10device_ptrIKjEEEESI_EEEEESK_NSA_INS5_IJNSE_INSF_IjEEEESM_EEEEEPS7_SP_SP_NSC_11hip_rocprim7__merge17predicate_wrapperIjjNSC_7greaterIjEEEEEE10hipError_tPvRmT0_T1_T2_T3_T4_T5_mmT6_P12ihipStream_tbEUlT_E0_NS1_11comp_targetILNS1_3genE4ELNS1_11target_archE910ELNS1_3gpuE8ELNS1_3repE0EEENS1_30default_config_static_selectorELNS0_4arch9wavefront6targetE0EEEvS10_.num_vgpr, 0
	.set _ZN7rocprim17ROCPRIM_400000_NS6detail17trampoline_kernelINS0_14default_configENS1_21merge_config_selectorINS0_5tupleIJjjEEENS0_10empty_typeEEEZNS1_10merge_implIS3_NS0_12zip_iteratorINS5_IJN6thrust23THRUST_200600_302600_NS6detail15normal_iteratorINSC_10device_ptrIKjEEEESI_EEEEESK_NSA_INS5_IJNSE_INSF_IjEEEESM_EEEEEPS7_SP_SP_NSC_11hip_rocprim7__merge17predicate_wrapperIjjNSC_7greaterIjEEEEEE10hipError_tPvRmT0_T1_T2_T3_T4_T5_mmT6_P12ihipStream_tbEUlT_E0_NS1_11comp_targetILNS1_3genE4ELNS1_11target_archE910ELNS1_3gpuE8ELNS1_3repE0EEENS1_30default_config_static_selectorELNS0_4arch9wavefront6targetE0EEEvS10_.num_agpr, 0
	.set _ZN7rocprim17ROCPRIM_400000_NS6detail17trampoline_kernelINS0_14default_configENS1_21merge_config_selectorINS0_5tupleIJjjEEENS0_10empty_typeEEEZNS1_10merge_implIS3_NS0_12zip_iteratorINS5_IJN6thrust23THRUST_200600_302600_NS6detail15normal_iteratorINSC_10device_ptrIKjEEEESI_EEEEESK_NSA_INS5_IJNSE_INSF_IjEEEESM_EEEEEPS7_SP_SP_NSC_11hip_rocprim7__merge17predicate_wrapperIjjNSC_7greaterIjEEEEEE10hipError_tPvRmT0_T1_T2_T3_T4_T5_mmT6_P12ihipStream_tbEUlT_E0_NS1_11comp_targetILNS1_3genE4ELNS1_11target_archE910ELNS1_3gpuE8ELNS1_3repE0EEENS1_30default_config_static_selectorELNS0_4arch9wavefront6targetE0EEEvS10_.numbered_sgpr, 0
	.set _ZN7rocprim17ROCPRIM_400000_NS6detail17trampoline_kernelINS0_14default_configENS1_21merge_config_selectorINS0_5tupleIJjjEEENS0_10empty_typeEEEZNS1_10merge_implIS3_NS0_12zip_iteratorINS5_IJN6thrust23THRUST_200600_302600_NS6detail15normal_iteratorINSC_10device_ptrIKjEEEESI_EEEEESK_NSA_INS5_IJNSE_INSF_IjEEEESM_EEEEEPS7_SP_SP_NSC_11hip_rocprim7__merge17predicate_wrapperIjjNSC_7greaterIjEEEEEE10hipError_tPvRmT0_T1_T2_T3_T4_T5_mmT6_P12ihipStream_tbEUlT_E0_NS1_11comp_targetILNS1_3genE4ELNS1_11target_archE910ELNS1_3gpuE8ELNS1_3repE0EEENS1_30default_config_static_selectorELNS0_4arch9wavefront6targetE0EEEvS10_.num_named_barrier, 0
	.set _ZN7rocprim17ROCPRIM_400000_NS6detail17trampoline_kernelINS0_14default_configENS1_21merge_config_selectorINS0_5tupleIJjjEEENS0_10empty_typeEEEZNS1_10merge_implIS3_NS0_12zip_iteratorINS5_IJN6thrust23THRUST_200600_302600_NS6detail15normal_iteratorINSC_10device_ptrIKjEEEESI_EEEEESK_NSA_INS5_IJNSE_INSF_IjEEEESM_EEEEEPS7_SP_SP_NSC_11hip_rocprim7__merge17predicate_wrapperIjjNSC_7greaterIjEEEEEE10hipError_tPvRmT0_T1_T2_T3_T4_T5_mmT6_P12ihipStream_tbEUlT_E0_NS1_11comp_targetILNS1_3genE4ELNS1_11target_archE910ELNS1_3gpuE8ELNS1_3repE0EEENS1_30default_config_static_selectorELNS0_4arch9wavefront6targetE0EEEvS10_.private_seg_size, 0
	.set _ZN7rocprim17ROCPRIM_400000_NS6detail17trampoline_kernelINS0_14default_configENS1_21merge_config_selectorINS0_5tupleIJjjEEENS0_10empty_typeEEEZNS1_10merge_implIS3_NS0_12zip_iteratorINS5_IJN6thrust23THRUST_200600_302600_NS6detail15normal_iteratorINSC_10device_ptrIKjEEEESI_EEEEESK_NSA_INS5_IJNSE_INSF_IjEEEESM_EEEEEPS7_SP_SP_NSC_11hip_rocprim7__merge17predicate_wrapperIjjNSC_7greaterIjEEEEEE10hipError_tPvRmT0_T1_T2_T3_T4_T5_mmT6_P12ihipStream_tbEUlT_E0_NS1_11comp_targetILNS1_3genE4ELNS1_11target_archE910ELNS1_3gpuE8ELNS1_3repE0EEENS1_30default_config_static_selectorELNS0_4arch9wavefront6targetE0EEEvS10_.uses_vcc, 0
	.set _ZN7rocprim17ROCPRIM_400000_NS6detail17trampoline_kernelINS0_14default_configENS1_21merge_config_selectorINS0_5tupleIJjjEEENS0_10empty_typeEEEZNS1_10merge_implIS3_NS0_12zip_iteratorINS5_IJN6thrust23THRUST_200600_302600_NS6detail15normal_iteratorINSC_10device_ptrIKjEEEESI_EEEEESK_NSA_INS5_IJNSE_INSF_IjEEEESM_EEEEEPS7_SP_SP_NSC_11hip_rocprim7__merge17predicate_wrapperIjjNSC_7greaterIjEEEEEE10hipError_tPvRmT0_T1_T2_T3_T4_T5_mmT6_P12ihipStream_tbEUlT_E0_NS1_11comp_targetILNS1_3genE4ELNS1_11target_archE910ELNS1_3gpuE8ELNS1_3repE0EEENS1_30default_config_static_selectorELNS0_4arch9wavefront6targetE0EEEvS10_.uses_flat_scratch, 0
	.set _ZN7rocprim17ROCPRIM_400000_NS6detail17trampoline_kernelINS0_14default_configENS1_21merge_config_selectorINS0_5tupleIJjjEEENS0_10empty_typeEEEZNS1_10merge_implIS3_NS0_12zip_iteratorINS5_IJN6thrust23THRUST_200600_302600_NS6detail15normal_iteratorINSC_10device_ptrIKjEEEESI_EEEEESK_NSA_INS5_IJNSE_INSF_IjEEEESM_EEEEEPS7_SP_SP_NSC_11hip_rocprim7__merge17predicate_wrapperIjjNSC_7greaterIjEEEEEE10hipError_tPvRmT0_T1_T2_T3_T4_T5_mmT6_P12ihipStream_tbEUlT_E0_NS1_11comp_targetILNS1_3genE4ELNS1_11target_archE910ELNS1_3gpuE8ELNS1_3repE0EEENS1_30default_config_static_selectorELNS0_4arch9wavefront6targetE0EEEvS10_.has_dyn_sized_stack, 0
	.set _ZN7rocprim17ROCPRIM_400000_NS6detail17trampoline_kernelINS0_14default_configENS1_21merge_config_selectorINS0_5tupleIJjjEEENS0_10empty_typeEEEZNS1_10merge_implIS3_NS0_12zip_iteratorINS5_IJN6thrust23THRUST_200600_302600_NS6detail15normal_iteratorINSC_10device_ptrIKjEEEESI_EEEEESK_NSA_INS5_IJNSE_INSF_IjEEEESM_EEEEEPS7_SP_SP_NSC_11hip_rocprim7__merge17predicate_wrapperIjjNSC_7greaterIjEEEEEE10hipError_tPvRmT0_T1_T2_T3_T4_T5_mmT6_P12ihipStream_tbEUlT_E0_NS1_11comp_targetILNS1_3genE4ELNS1_11target_archE910ELNS1_3gpuE8ELNS1_3repE0EEENS1_30default_config_static_selectorELNS0_4arch9wavefront6targetE0EEEvS10_.has_recursion, 0
	.set _ZN7rocprim17ROCPRIM_400000_NS6detail17trampoline_kernelINS0_14default_configENS1_21merge_config_selectorINS0_5tupleIJjjEEENS0_10empty_typeEEEZNS1_10merge_implIS3_NS0_12zip_iteratorINS5_IJN6thrust23THRUST_200600_302600_NS6detail15normal_iteratorINSC_10device_ptrIKjEEEESI_EEEEESK_NSA_INS5_IJNSE_INSF_IjEEEESM_EEEEEPS7_SP_SP_NSC_11hip_rocprim7__merge17predicate_wrapperIjjNSC_7greaterIjEEEEEE10hipError_tPvRmT0_T1_T2_T3_T4_T5_mmT6_P12ihipStream_tbEUlT_E0_NS1_11comp_targetILNS1_3genE4ELNS1_11target_archE910ELNS1_3gpuE8ELNS1_3repE0EEENS1_30default_config_static_selectorELNS0_4arch9wavefront6targetE0EEEvS10_.has_indirect_call, 0
	.section	.AMDGPU.csdata,"",@progbits
; Kernel info:
; codeLenInByte = 0
; TotalNumSgprs: 0
; NumVgprs: 0
; ScratchSize: 0
; MemoryBound: 0
; FloatMode: 240
; IeeeMode: 1
; LDSByteSize: 0 bytes/workgroup (compile time only)
; SGPRBlocks: 0
; VGPRBlocks: 0
; NumSGPRsForWavesPerEU: 1
; NumVGPRsForWavesPerEU: 1
; NamedBarCnt: 0
; Occupancy: 16
; WaveLimiterHint : 0
; COMPUTE_PGM_RSRC2:SCRATCH_EN: 0
; COMPUTE_PGM_RSRC2:USER_SGPR: 2
; COMPUTE_PGM_RSRC2:TRAP_HANDLER: 0
; COMPUTE_PGM_RSRC2:TGID_X_EN: 1
; COMPUTE_PGM_RSRC2:TGID_Y_EN: 0
; COMPUTE_PGM_RSRC2:TGID_Z_EN: 0
; COMPUTE_PGM_RSRC2:TIDIG_COMP_CNT: 0
	.section	.text._ZN7rocprim17ROCPRIM_400000_NS6detail17trampoline_kernelINS0_14default_configENS1_21merge_config_selectorINS0_5tupleIJjjEEENS0_10empty_typeEEEZNS1_10merge_implIS3_NS0_12zip_iteratorINS5_IJN6thrust23THRUST_200600_302600_NS6detail15normal_iteratorINSC_10device_ptrIKjEEEESI_EEEEESK_NSA_INS5_IJNSE_INSF_IjEEEESM_EEEEEPS7_SP_SP_NSC_11hip_rocprim7__merge17predicate_wrapperIjjNSC_7greaterIjEEEEEE10hipError_tPvRmT0_T1_T2_T3_T4_T5_mmT6_P12ihipStream_tbEUlT_E0_NS1_11comp_targetILNS1_3genE3ELNS1_11target_archE908ELNS1_3gpuE7ELNS1_3repE0EEENS1_30default_config_static_selectorELNS0_4arch9wavefront6targetE0EEEvS10_,"axG",@progbits,_ZN7rocprim17ROCPRIM_400000_NS6detail17trampoline_kernelINS0_14default_configENS1_21merge_config_selectorINS0_5tupleIJjjEEENS0_10empty_typeEEEZNS1_10merge_implIS3_NS0_12zip_iteratorINS5_IJN6thrust23THRUST_200600_302600_NS6detail15normal_iteratorINSC_10device_ptrIKjEEEESI_EEEEESK_NSA_INS5_IJNSE_INSF_IjEEEESM_EEEEEPS7_SP_SP_NSC_11hip_rocprim7__merge17predicate_wrapperIjjNSC_7greaterIjEEEEEE10hipError_tPvRmT0_T1_T2_T3_T4_T5_mmT6_P12ihipStream_tbEUlT_E0_NS1_11comp_targetILNS1_3genE3ELNS1_11target_archE908ELNS1_3gpuE7ELNS1_3repE0EEENS1_30default_config_static_selectorELNS0_4arch9wavefront6targetE0EEEvS10_,comdat
	.protected	_ZN7rocprim17ROCPRIM_400000_NS6detail17trampoline_kernelINS0_14default_configENS1_21merge_config_selectorINS0_5tupleIJjjEEENS0_10empty_typeEEEZNS1_10merge_implIS3_NS0_12zip_iteratorINS5_IJN6thrust23THRUST_200600_302600_NS6detail15normal_iteratorINSC_10device_ptrIKjEEEESI_EEEEESK_NSA_INS5_IJNSE_INSF_IjEEEESM_EEEEEPS7_SP_SP_NSC_11hip_rocprim7__merge17predicate_wrapperIjjNSC_7greaterIjEEEEEE10hipError_tPvRmT0_T1_T2_T3_T4_T5_mmT6_P12ihipStream_tbEUlT_E0_NS1_11comp_targetILNS1_3genE3ELNS1_11target_archE908ELNS1_3gpuE7ELNS1_3repE0EEENS1_30default_config_static_selectorELNS0_4arch9wavefront6targetE0EEEvS10_ ; -- Begin function _ZN7rocprim17ROCPRIM_400000_NS6detail17trampoline_kernelINS0_14default_configENS1_21merge_config_selectorINS0_5tupleIJjjEEENS0_10empty_typeEEEZNS1_10merge_implIS3_NS0_12zip_iteratorINS5_IJN6thrust23THRUST_200600_302600_NS6detail15normal_iteratorINSC_10device_ptrIKjEEEESI_EEEEESK_NSA_INS5_IJNSE_INSF_IjEEEESM_EEEEEPS7_SP_SP_NSC_11hip_rocprim7__merge17predicate_wrapperIjjNSC_7greaterIjEEEEEE10hipError_tPvRmT0_T1_T2_T3_T4_T5_mmT6_P12ihipStream_tbEUlT_E0_NS1_11comp_targetILNS1_3genE3ELNS1_11target_archE908ELNS1_3gpuE7ELNS1_3repE0EEENS1_30default_config_static_selectorELNS0_4arch9wavefront6targetE0EEEvS10_
	.globl	_ZN7rocprim17ROCPRIM_400000_NS6detail17trampoline_kernelINS0_14default_configENS1_21merge_config_selectorINS0_5tupleIJjjEEENS0_10empty_typeEEEZNS1_10merge_implIS3_NS0_12zip_iteratorINS5_IJN6thrust23THRUST_200600_302600_NS6detail15normal_iteratorINSC_10device_ptrIKjEEEESI_EEEEESK_NSA_INS5_IJNSE_INSF_IjEEEESM_EEEEEPS7_SP_SP_NSC_11hip_rocprim7__merge17predicate_wrapperIjjNSC_7greaterIjEEEEEE10hipError_tPvRmT0_T1_T2_T3_T4_T5_mmT6_P12ihipStream_tbEUlT_E0_NS1_11comp_targetILNS1_3genE3ELNS1_11target_archE908ELNS1_3gpuE7ELNS1_3repE0EEENS1_30default_config_static_selectorELNS0_4arch9wavefront6targetE0EEEvS10_
	.p2align	8
	.type	_ZN7rocprim17ROCPRIM_400000_NS6detail17trampoline_kernelINS0_14default_configENS1_21merge_config_selectorINS0_5tupleIJjjEEENS0_10empty_typeEEEZNS1_10merge_implIS3_NS0_12zip_iteratorINS5_IJN6thrust23THRUST_200600_302600_NS6detail15normal_iteratorINSC_10device_ptrIKjEEEESI_EEEEESK_NSA_INS5_IJNSE_INSF_IjEEEESM_EEEEEPS7_SP_SP_NSC_11hip_rocprim7__merge17predicate_wrapperIjjNSC_7greaterIjEEEEEE10hipError_tPvRmT0_T1_T2_T3_T4_T5_mmT6_P12ihipStream_tbEUlT_E0_NS1_11comp_targetILNS1_3genE3ELNS1_11target_archE908ELNS1_3gpuE7ELNS1_3repE0EEENS1_30default_config_static_selectorELNS0_4arch9wavefront6targetE0EEEvS10_,@function
_ZN7rocprim17ROCPRIM_400000_NS6detail17trampoline_kernelINS0_14default_configENS1_21merge_config_selectorINS0_5tupleIJjjEEENS0_10empty_typeEEEZNS1_10merge_implIS3_NS0_12zip_iteratorINS5_IJN6thrust23THRUST_200600_302600_NS6detail15normal_iteratorINSC_10device_ptrIKjEEEESI_EEEEESK_NSA_INS5_IJNSE_INSF_IjEEEESM_EEEEEPS7_SP_SP_NSC_11hip_rocprim7__merge17predicate_wrapperIjjNSC_7greaterIjEEEEEE10hipError_tPvRmT0_T1_T2_T3_T4_T5_mmT6_P12ihipStream_tbEUlT_E0_NS1_11comp_targetILNS1_3genE3ELNS1_11target_archE908ELNS1_3gpuE7ELNS1_3repE0EEENS1_30default_config_static_selectorELNS0_4arch9wavefront6targetE0EEEvS10_: ; @_ZN7rocprim17ROCPRIM_400000_NS6detail17trampoline_kernelINS0_14default_configENS1_21merge_config_selectorINS0_5tupleIJjjEEENS0_10empty_typeEEEZNS1_10merge_implIS3_NS0_12zip_iteratorINS5_IJN6thrust23THRUST_200600_302600_NS6detail15normal_iteratorINSC_10device_ptrIKjEEEESI_EEEEESK_NSA_INS5_IJNSE_INSF_IjEEEESM_EEEEEPS7_SP_SP_NSC_11hip_rocprim7__merge17predicate_wrapperIjjNSC_7greaterIjEEEEEE10hipError_tPvRmT0_T1_T2_T3_T4_T5_mmT6_P12ihipStream_tbEUlT_E0_NS1_11comp_targetILNS1_3genE3ELNS1_11target_archE908ELNS1_3gpuE7ELNS1_3repE0EEENS1_30default_config_static_selectorELNS0_4arch9wavefront6targetE0EEEvS10_
; %bb.0:
	.section	.rodata,"a",@progbits
	.p2align	6, 0x0
	.amdhsa_kernel _ZN7rocprim17ROCPRIM_400000_NS6detail17trampoline_kernelINS0_14default_configENS1_21merge_config_selectorINS0_5tupleIJjjEEENS0_10empty_typeEEEZNS1_10merge_implIS3_NS0_12zip_iteratorINS5_IJN6thrust23THRUST_200600_302600_NS6detail15normal_iteratorINSC_10device_ptrIKjEEEESI_EEEEESK_NSA_INS5_IJNSE_INSF_IjEEEESM_EEEEEPS7_SP_SP_NSC_11hip_rocprim7__merge17predicate_wrapperIjjNSC_7greaterIjEEEEEE10hipError_tPvRmT0_T1_T2_T3_T4_T5_mmT6_P12ihipStream_tbEUlT_E0_NS1_11comp_targetILNS1_3genE3ELNS1_11target_archE908ELNS1_3gpuE7ELNS1_3repE0EEENS1_30default_config_static_selectorELNS0_4arch9wavefront6targetE0EEEvS10_
		.amdhsa_group_segment_fixed_size 0
		.amdhsa_private_segment_fixed_size 0
		.amdhsa_kernarg_size 112
		.amdhsa_user_sgpr_count 2
		.amdhsa_user_sgpr_dispatch_ptr 0
		.amdhsa_user_sgpr_queue_ptr 0
		.amdhsa_user_sgpr_kernarg_segment_ptr 1
		.amdhsa_user_sgpr_dispatch_id 0
		.amdhsa_user_sgpr_kernarg_preload_length 0
		.amdhsa_user_sgpr_kernarg_preload_offset 0
		.amdhsa_user_sgpr_private_segment_size 0
		.amdhsa_wavefront_size32 1
		.amdhsa_uses_dynamic_stack 0
		.amdhsa_enable_private_segment 0
		.amdhsa_system_sgpr_workgroup_id_x 1
		.amdhsa_system_sgpr_workgroup_id_y 0
		.amdhsa_system_sgpr_workgroup_id_z 0
		.amdhsa_system_sgpr_workgroup_info 0
		.amdhsa_system_vgpr_workitem_id 0
		.amdhsa_next_free_vgpr 1
		.amdhsa_next_free_sgpr 1
		.amdhsa_named_barrier_count 0
		.amdhsa_reserve_vcc 0
		.amdhsa_float_round_mode_32 0
		.amdhsa_float_round_mode_16_64 0
		.amdhsa_float_denorm_mode_32 3
		.amdhsa_float_denorm_mode_16_64 3
		.amdhsa_fp16_overflow 0
		.amdhsa_memory_ordered 1
		.amdhsa_forward_progress 1
		.amdhsa_inst_pref_size 0
		.amdhsa_round_robin_scheduling 0
		.amdhsa_exception_fp_ieee_invalid_op 0
		.amdhsa_exception_fp_denorm_src 0
		.amdhsa_exception_fp_ieee_div_zero 0
		.amdhsa_exception_fp_ieee_overflow 0
		.amdhsa_exception_fp_ieee_underflow 0
		.amdhsa_exception_fp_ieee_inexact 0
		.amdhsa_exception_int_div_zero 0
	.end_amdhsa_kernel
	.section	.text._ZN7rocprim17ROCPRIM_400000_NS6detail17trampoline_kernelINS0_14default_configENS1_21merge_config_selectorINS0_5tupleIJjjEEENS0_10empty_typeEEEZNS1_10merge_implIS3_NS0_12zip_iteratorINS5_IJN6thrust23THRUST_200600_302600_NS6detail15normal_iteratorINSC_10device_ptrIKjEEEESI_EEEEESK_NSA_INS5_IJNSE_INSF_IjEEEESM_EEEEEPS7_SP_SP_NSC_11hip_rocprim7__merge17predicate_wrapperIjjNSC_7greaterIjEEEEEE10hipError_tPvRmT0_T1_T2_T3_T4_T5_mmT6_P12ihipStream_tbEUlT_E0_NS1_11comp_targetILNS1_3genE3ELNS1_11target_archE908ELNS1_3gpuE7ELNS1_3repE0EEENS1_30default_config_static_selectorELNS0_4arch9wavefront6targetE0EEEvS10_,"axG",@progbits,_ZN7rocprim17ROCPRIM_400000_NS6detail17trampoline_kernelINS0_14default_configENS1_21merge_config_selectorINS0_5tupleIJjjEEENS0_10empty_typeEEEZNS1_10merge_implIS3_NS0_12zip_iteratorINS5_IJN6thrust23THRUST_200600_302600_NS6detail15normal_iteratorINSC_10device_ptrIKjEEEESI_EEEEESK_NSA_INS5_IJNSE_INSF_IjEEEESM_EEEEEPS7_SP_SP_NSC_11hip_rocprim7__merge17predicate_wrapperIjjNSC_7greaterIjEEEEEE10hipError_tPvRmT0_T1_T2_T3_T4_T5_mmT6_P12ihipStream_tbEUlT_E0_NS1_11comp_targetILNS1_3genE3ELNS1_11target_archE908ELNS1_3gpuE7ELNS1_3repE0EEENS1_30default_config_static_selectorELNS0_4arch9wavefront6targetE0EEEvS10_,comdat
.Lfunc_end383:
	.size	_ZN7rocprim17ROCPRIM_400000_NS6detail17trampoline_kernelINS0_14default_configENS1_21merge_config_selectorINS0_5tupleIJjjEEENS0_10empty_typeEEEZNS1_10merge_implIS3_NS0_12zip_iteratorINS5_IJN6thrust23THRUST_200600_302600_NS6detail15normal_iteratorINSC_10device_ptrIKjEEEESI_EEEEESK_NSA_INS5_IJNSE_INSF_IjEEEESM_EEEEEPS7_SP_SP_NSC_11hip_rocprim7__merge17predicate_wrapperIjjNSC_7greaterIjEEEEEE10hipError_tPvRmT0_T1_T2_T3_T4_T5_mmT6_P12ihipStream_tbEUlT_E0_NS1_11comp_targetILNS1_3genE3ELNS1_11target_archE908ELNS1_3gpuE7ELNS1_3repE0EEENS1_30default_config_static_selectorELNS0_4arch9wavefront6targetE0EEEvS10_, .Lfunc_end383-_ZN7rocprim17ROCPRIM_400000_NS6detail17trampoline_kernelINS0_14default_configENS1_21merge_config_selectorINS0_5tupleIJjjEEENS0_10empty_typeEEEZNS1_10merge_implIS3_NS0_12zip_iteratorINS5_IJN6thrust23THRUST_200600_302600_NS6detail15normal_iteratorINSC_10device_ptrIKjEEEESI_EEEEESK_NSA_INS5_IJNSE_INSF_IjEEEESM_EEEEEPS7_SP_SP_NSC_11hip_rocprim7__merge17predicate_wrapperIjjNSC_7greaterIjEEEEEE10hipError_tPvRmT0_T1_T2_T3_T4_T5_mmT6_P12ihipStream_tbEUlT_E0_NS1_11comp_targetILNS1_3genE3ELNS1_11target_archE908ELNS1_3gpuE7ELNS1_3repE0EEENS1_30default_config_static_selectorELNS0_4arch9wavefront6targetE0EEEvS10_
                                        ; -- End function
	.set _ZN7rocprim17ROCPRIM_400000_NS6detail17trampoline_kernelINS0_14default_configENS1_21merge_config_selectorINS0_5tupleIJjjEEENS0_10empty_typeEEEZNS1_10merge_implIS3_NS0_12zip_iteratorINS5_IJN6thrust23THRUST_200600_302600_NS6detail15normal_iteratorINSC_10device_ptrIKjEEEESI_EEEEESK_NSA_INS5_IJNSE_INSF_IjEEEESM_EEEEEPS7_SP_SP_NSC_11hip_rocprim7__merge17predicate_wrapperIjjNSC_7greaterIjEEEEEE10hipError_tPvRmT0_T1_T2_T3_T4_T5_mmT6_P12ihipStream_tbEUlT_E0_NS1_11comp_targetILNS1_3genE3ELNS1_11target_archE908ELNS1_3gpuE7ELNS1_3repE0EEENS1_30default_config_static_selectorELNS0_4arch9wavefront6targetE0EEEvS10_.num_vgpr, 0
	.set _ZN7rocprim17ROCPRIM_400000_NS6detail17trampoline_kernelINS0_14default_configENS1_21merge_config_selectorINS0_5tupleIJjjEEENS0_10empty_typeEEEZNS1_10merge_implIS3_NS0_12zip_iteratorINS5_IJN6thrust23THRUST_200600_302600_NS6detail15normal_iteratorINSC_10device_ptrIKjEEEESI_EEEEESK_NSA_INS5_IJNSE_INSF_IjEEEESM_EEEEEPS7_SP_SP_NSC_11hip_rocprim7__merge17predicate_wrapperIjjNSC_7greaterIjEEEEEE10hipError_tPvRmT0_T1_T2_T3_T4_T5_mmT6_P12ihipStream_tbEUlT_E0_NS1_11comp_targetILNS1_3genE3ELNS1_11target_archE908ELNS1_3gpuE7ELNS1_3repE0EEENS1_30default_config_static_selectorELNS0_4arch9wavefront6targetE0EEEvS10_.num_agpr, 0
	.set _ZN7rocprim17ROCPRIM_400000_NS6detail17trampoline_kernelINS0_14default_configENS1_21merge_config_selectorINS0_5tupleIJjjEEENS0_10empty_typeEEEZNS1_10merge_implIS3_NS0_12zip_iteratorINS5_IJN6thrust23THRUST_200600_302600_NS6detail15normal_iteratorINSC_10device_ptrIKjEEEESI_EEEEESK_NSA_INS5_IJNSE_INSF_IjEEEESM_EEEEEPS7_SP_SP_NSC_11hip_rocprim7__merge17predicate_wrapperIjjNSC_7greaterIjEEEEEE10hipError_tPvRmT0_T1_T2_T3_T4_T5_mmT6_P12ihipStream_tbEUlT_E0_NS1_11comp_targetILNS1_3genE3ELNS1_11target_archE908ELNS1_3gpuE7ELNS1_3repE0EEENS1_30default_config_static_selectorELNS0_4arch9wavefront6targetE0EEEvS10_.numbered_sgpr, 0
	.set _ZN7rocprim17ROCPRIM_400000_NS6detail17trampoline_kernelINS0_14default_configENS1_21merge_config_selectorINS0_5tupleIJjjEEENS0_10empty_typeEEEZNS1_10merge_implIS3_NS0_12zip_iteratorINS5_IJN6thrust23THRUST_200600_302600_NS6detail15normal_iteratorINSC_10device_ptrIKjEEEESI_EEEEESK_NSA_INS5_IJNSE_INSF_IjEEEESM_EEEEEPS7_SP_SP_NSC_11hip_rocprim7__merge17predicate_wrapperIjjNSC_7greaterIjEEEEEE10hipError_tPvRmT0_T1_T2_T3_T4_T5_mmT6_P12ihipStream_tbEUlT_E0_NS1_11comp_targetILNS1_3genE3ELNS1_11target_archE908ELNS1_3gpuE7ELNS1_3repE0EEENS1_30default_config_static_selectorELNS0_4arch9wavefront6targetE0EEEvS10_.num_named_barrier, 0
	.set _ZN7rocprim17ROCPRIM_400000_NS6detail17trampoline_kernelINS0_14default_configENS1_21merge_config_selectorINS0_5tupleIJjjEEENS0_10empty_typeEEEZNS1_10merge_implIS3_NS0_12zip_iteratorINS5_IJN6thrust23THRUST_200600_302600_NS6detail15normal_iteratorINSC_10device_ptrIKjEEEESI_EEEEESK_NSA_INS5_IJNSE_INSF_IjEEEESM_EEEEEPS7_SP_SP_NSC_11hip_rocprim7__merge17predicate_wrapperIjjNSC_7greaterIjEEEEEE10hipError_tPvRmT0_T1_T2_T3_T4_T5_mmT6_P12ihipStream_tbEUlT_E0_NS1_11comp_targetILNS1_3genE3ELNS1_11target_archE908ELNS1_3gpuE7ELNS1_3repE0EEENS1_30default_config_static_selectorELNS0_4arch9wavefront6targetE0EEEvS10_.private_seg_size, 0
	.set _ZN7rocprim17ROCPRIM_400000_NS6detail17trampoline_kernelINS0_14default_configENS1_21merge_config_selectorINS0_5tupleIJjjEEENS0_10empty_typeEEEZNS1_10merge_implIS3_NS0_12zip_iteratorINS5_IJN6thrust23THRUST_200600_302600_NS6detail15normal_iteratorINSC_10device_ptrIKjEEEESI_EEEEESK_NSA_INS5_IJNSE_INSF_IjEEEESM_EEEEEPS7_SP_SP_NSC_11hip_rocprim7__merge17predicate_wrapperIjjNSC_7greaterIjEEEEEE10hipError_tPvRmT0_T1_T2_T3_T4_T5_mmT6_P12ihipStream_tbEUlT_E0_NS1_11comp_targetILNS1_3genE3ELNS1_11target_archE908ELNS1_3gpuE7ELNS1_3repE0EEENS1_30default_config_static_selectorELNS0_4arch9wavefront6targetE0EEEvS10_.uses_vcc, 0
	.set _ZN7rocprim17ROCPRIM_400000_NS6detail17trampoline_kernelINS0_14default_configENS1_21merge_config_selectorINS0_5tupleIJjjEEENS0_10empty_typeEEEZNS1_10merge_implIS3_NS0_12zip_iteratorINS5_IJN6thrust23THRUST_200600_302600_NS6detail15normal_iteratorINSC_10device_ptrIKjEEEESI_EEEEESK_NSA_INS5_IJNSE_INSF_IjEEEESM_EEEEEPS7_SP_SP_NSC_11hip_rocprim7__merge17predicate_wrapperIjjNSC_7greaterIjEEEEEE10hipError_tPvRmT0_T1_T2_T3_T4_T5_mmT6_P12ihipStream_tbEUlT_E0_NS1_11comp_targetILNS1_3genE3ELNS1_11target_archE908ELNS1_3gpuE7ELNS1_3repE0EEENS1_30default_config_static_selectorELNS0_4arch9wavefront6targetE0EEEvS10_.uses_flat_scratch, 0
	.set _ZN7rocprim17ROCPRIM_400000_NS6detail17trampoline_kernelINS0_14default_configENS1_21merge_config_selectorINS0_5tupleIJjjEEENS0_10empty_typeEEEZNS1_10merge_implIS3_NS0_12zip_iteratorINS5_IJN6thrust23THRUST_200600_302600_NS6detail15normal_iteratorINSC_10device_ptrIKjEEEESI_EEEEESK_NSA_INS5_IJNSE_INSF_IjEEEESM_EEEEEPS7_SP_SP_NSC_11hip_rocprim7__merge17predicate_wrapperIjjNSC_7greaterIjEEEEEE10hipError_tPvRmT0_T1_T2_T3_T4_T5_mmT6_P12ihipStream_tbEUlT_E0_NS1_11comp_targetILNS1_3genE3ELNS1_11target_archE908ELNS1_3gpuE7ELNS1_3repE0EEENS1_30default_config_static_selectorELNS0_4arch9wavefront6targetE0EEEvS10_.has_dyn_sized_stack, 0
	.set _ZN7rocprim17ROCPRIM_400000_NS6detail17trampoline_kernelINS0_14default_configENS1_21merge_config_selectorINS0_5tupleIJjjEEENS0_10empty_typeEEEZNS1_10merge_implIS3_NS0_12zip_iteratorINS5_IJN6thrust23THRUST_200600_302600_NS6detail15normal_iteratorINSC_10device_ptrIKjEEEESI_EEEEESK_NSA_INS5_IJNSE_INSF_IjEEEESM_EEEEEPS7_SP_SP_NSC_11hip_rocprim7__merge17predicate_wrapperIjjNSC_7greaterIjEEEEEE10hipError_tPvRmT0_T1_T2_T3_T4_T5_mmT6_P12ihipStream_tbEUlT_E0_NS1_11comp_targetILNS1_3genE3ELNS1_11target_archE908ELNS1_3gpuE7ELNS1_3repE0EEENS1_30default_config_static_selectorELNS0_4arch9wavefront6targetE0EEEvS10_.has_recursion, 0
	.set _ZN7rocprim17ROCPRIM_400000_NS6detail17trampoline_kernelINS0_14default_configENS1_21merge_config_selectorINS0_5tupleIJjjEEENS0_10empty_typeEEEZNS1_10merge_implIS3_NS0_12zip_iteratorINS5_IJN6thrust23THRUST_200600_302600_NS6detail15normal_iteratorINSC_10device_ptrIKjEEEESI_EEEEESK_NSA_INS5_IJNSE_INSF_IjEEEESM_EEEEEPS7_SP_SP_NSC_11hip_rocprim7__merge17predicate_wrapperIjjNSC_7greaterIjEEEEEE10hipError_tPvRmT0_T1_T2_T3_T4_T5_mmT6_P12ihipStream_tbEUlT_E0_NS1_11comp_targetILNS1_3genE3ELNS1_11target_archE908ELNS1_3gpuE7ELNS1_3repE0EEENS1_30default_config_static_selectorELNS0_4arch9wavefront6targetE0EEEvS10_.has_indirect_call, 0
	.section	.AMDGPU.csdata,"",@progbits
; Kernel info:
; codeLenInByte = 0
; TotalNumSgprs: 0
; NumVgprs: 0
; ScratchSize: 0
; MemoryBound: 0
; FloatMode: 240
; IeeeMode: 1
; LDSByteSize: 0 bytes/workgroup (compile time only)
; SGPRBlocks: 0
; VGPRBlocks: 0
; NumSGPRsForWavesPerEU: 1
; NumVGPRsForWavesPerEU: 1
; NamedBarCnt: 0
; Occupancy: 16
; WaveLimiterHint : 0
; COMPUTE_PGM_RSRC2:SCRATCH_EN: 0
; COMPUTE_PGM_RSRC2:USER_SGPR: 2
; COMPUTE_PGM_RSRC2:TRAP_HANDLER: 0
; COMPUTE_PGM_RSRC2:TGID_X_EN: 1
; COMPUTE_PGM_RSRC2:TGID_Y_EN: 0
; COMPUTE_PGM_RSRC2:TGID_Z_EN: 0
; COMPUTE_PGM_RSRC2:TIDIG_COMP_CNT: 0
	.section	.text._ZN7rocprim17ROCPRIM_400000_NS6detail17trampoline_kernelINS0_14default_configENS1_21merge_config_selectorINS0_5tupleIJjjEEENS0_10empty_typeEEEZNS1_10merge_implIS3_NS0_12zip_iteratorINS5_IJN6thrust23THRUST_200600_302600_NS6detail15normal_iteratorINSC_10device_ptrIKjEEEESI_EEEEESK_NSA_INS5_IJNSE_INSF_IjEEEESM_EEEEEPS7_SP_SP_NSC_11hip_rocprim7__merge17predicate_wrapperIjjNSC_7greaterIjEEEEEE10hipError_tPvRmT0_T1_T2_T3_T4_T5_mmT6_P12ihipStream_tbEUlT_E0_NS1_11comp_targetILNS1_3genE2ELNS1_11target_archE906ELNS1_3gpuE6ELNS1_3repE0EEENS1_30default_config_static_selectorELNS0_4arch9wavefront6targetE0EEEvS10_,"axG",@progbits,_ZN7rocprim17ROCPRIM_400000_NS6detail17trampoline_kernelINS0_14default_configENS1_21merge_config_selectorINS0_5tupleIJjjEEENS0_10empty_typeEEEZNS1_10merge_implIS3_NS0_12zip_iteratorINS5_IJN6thrust23THRUST_200600_302600_NS6detail15normal_iteratorINSC_10device_ptrIKjEEEESI_EEEEESK_NSA_INS5_IJNSE_INSF_IjEEEESM_EEEEEPS7_SP_SP_NSC_11hip_rocprim7__merge17predicate_wrapperIjjNSC_7greaterIjEEEEEE10hipError_tPvRmT0_T1_T2_T3_T4_T5_mmT6_P12ihipStream_tbEUlT_E0_NS1_11comp_targetILNS1_3genE2ELNS1_11target_archE906ELNS1_3gpuE6ELNS1_3repE0EEENS1_30default_config_static_selectorELNS0_4arch9wavefront6targetE0EEEvS10_,comdat
	.protected	_ZN7rocprim17ROCPRIM_400000_NS6detail17trampoline_kernelINS0_14default_configENS1_21merge_config_selectorINS0_5tupleIJjjEEENS0_10empty_typeEEEZNS1_10merge_implIS3_NS0_12zip_iteratorINS5_IJN6thrust23THRUST_200600_302600_NS6detail15normal_iteratorINSC_10device_ptrIKjEEEESI_EEEEESK_NSA_INS5_IJNSE_INSF_IjEEEESM_EEEEEPS7_SP_SP_NSC_11hip_rocprim7__merge17predicate_wrapperIjjNSC_7greaterIjEEEEEE10hipError_tPvRmT0_T1_T2_T3_T4_T5_mmT6_P12ihipStream_tbEUlT_E0_NS1_11comp_targetILNS1_3genE2ELNS1_11target_archE906ELNS1_3gpuE6ELNS1_3repE0EEENS1_30default_config_static_selectorELNS0_4arch9wavefront6targetE0EEEvS10_ ; -- Begin function _ZN7rocprim17ROCPRIM_400000_NS6detail17trampoline_kernelINS0_14default_configENS1_21merge_config_selectorINS0_5tupleIJjjEEENS0_10empty_typeEEEZNS1_10merge_implIS3_NS0_12zip_iteratorINS5_IJN6thrust23THRUST_200600_302600_NS6detail15normal_iteratorINSC_10device_ptrIKjEEEESI_EEEEESK_NSA_INS5_IJNSE_INSF_IjEEEESM_EEEEEPS7_SP_SP_NSC_11hip_rocprim7__merge17predicate_wrapperIjjNSC_7greaterIjEEEEEE10hipError_tPvRmT0_T1_T2_T3_T4_T5_mmT6_P12ihipStream_tbEUlT_E0_NS1_11comp_targetILNS1_3genE2ELNS1_11target_archE906ELNS1_3gpuE6ELNS1_3repE0EEENS1_30default_config_static_selectorELNS0_4arch9wavefront6targetE0EEEvS10_
	.globl	_ZN7rocprim17ROCPRIM_400000_NS6detail17trampoline_kernelINS0_14default_configENS1_21merge_config_selectorINS0_5tupleIJjjEEENS0_10empty_typeEEEZNS1_10merge_implIS3_NS0_12zip_iteratorINS5_IJN6thrust23THRUST_200600_302600_NS6detail15normal_iteratorINSC_10device_ptrIKjEEEESI_EEEEESK_NSA_INS5_IJNSE_INSF_IjEEEESM_EEEEEPS7_SP_SP_NSC_11hip_rocprim7__merge17predicate_wrapperIjjNSC_7greaterIjEEEEEE10hipError_tPvRmT0_T1_T2_T3_T4_T5_mmT6_P12ihipStream_tbEUlT_E0_NS1_11comp_targetILNS1_3genE2ELNS1_11target_archE906ELNS1_3gpuE6ELNS1_3repE0EEENS1_30default_config_static_selectorELNS0_4arch9wavefront6targetE0EEEvS10_
	.p2align	8
	.type	_ZN7rocprim17ROCPRIM_400000_NS6detail17trampoline_kernelINS0_14default_configENS1_21merge_config_selectorINS0_5tupleIJjjEEENS0_10empty_typeEEEZNS1_10merge_implIS3_NS0_12zip_iteratorINS5_IJN6thrust23THRUST_200600_302600_NS6detail15normal_iteratorINSC_10device_ptrIKjEEEESI_EEEEESK_NSA_INS5_IJNSE_INSF_IjEEEESM_EEEEEPS7_SP_SP_NSC_11hip_rocprim7__merge17predicate_wrapperIjjNSC_7greaterIjEEEEEE10hipError_tPvRmT0_T1_T2_T3_T4_T5_mmT6_P12ihipStream_tbEUlT_E0_NS1_11comp_targetILNS1_3genE2ELNS1_11target_archE906ELNS1_3gpuE6ELNS1_3repE0EEENS1_30default_config_static_selectorELNS0_4arch9wavefront6targetE0EEEvS10_,@function
_ZN7rocprim17ROCPRIM_400000_NS6detail17trampoline_kernelINS0_14default_configENS1_21merge_config_selectorINS0_5tupleIJjjEEENS0_10empty_typeEEEZNS1_10merge_implIS3_NS0_12zip_iteratorINS5_IJN6thrust23THRUST_200600_302600_NS6detail15normal_iteratorINSC_10device_ptrIKjEEEESI_EEEEESK_NSA_INS5_IJNSE_INSF_IjEEEESM_EEEEEPS7_SP_SP_NSC_11hip_rocprim7__merge17predicate_wrapperIjjNSC_7greaterIjEEEEEE10hipError_tPvRmT0_T1_T2_T3_T4_T5_mmT6_P12ihipStream_tbEUlT_E0_NS1_11comp_targetILNS1_3genE2ELNS1_11target_archE906ELNS1_3gpuE6ELNS1_3repE0EEENS1_30default_config_static_selectorELNS0_4arch9wavefront6targetE0EEEvS10_: ; @_ZN7rocprim17ROCPRIM_400000_NS6detail17trampoline_kernelINS0_14default_configENS1_21merge_config_selectorINS0_5tupleIJjjEEENS0_10empty_typeEEEZNS1_10merge_implIS3_NS0_12zip_iteratorINS5_IJN6thrust23THRUST_200600_302600_NS6detail15normal_iteratorINSC_10device_ptrIKjEEEESI_EEEEESK_NSA_INS5_IJNSE_INSF_IjEEEESM_EEEEEPS7_SP_SP_NSC_11hip_rocprim7__merge17predicate_wrapperIjjNSC_7greaterIjEEEEEE10hipError_tPvRmT0_T1_T2_T3_T4_T5_mmT6_P12ihipStream_tbEUlT_E0_NS1_11comp_targetILNS1_3genE2ELNS1_11target_archE906ELNS1_3gpuE6ELNS1_3repE0EEENS1_30default_config_static_selectorELNS0_4arch9wavefront6targetE0EEEvS10_
; %bb.0:
	.section	.rodata,"a",@progbits
	.p2align	6, 0x0
	.amdhsa_kernel _ZN7rocprim17ROCPRIM_400000_NS6detail17trampoline_kernelINS0_14default_configENS1_21merge_config_selectorINS0_5tupleIJjjEEENS0_10empty_typeEEEZNS1_10merge_implIS3_NS0_12zip_iteratorINS5_IJN6thrust23THRUST_200600_302600_NS6detail15normal_iteratorINSC_10device_ptrIKjEEEESI_EEEEESK_NSA_INS5_IJNSE_INSF_IjEEEESM_EEEEEPS7_SP_SP_NSC_11hip_rocprim7__merge17predicate_wrapperIjjNSC_7greaterIjEEEEEE10hipError_tPvRmT0_T1_T2_T3_T4_T5_mmT6_P12ihipStream_tbEUlT_E0_NS1_11comp_targetILNS1_3genE2ELNS1_11target_archE906ELNS1_3gpuE6ELNS1_3repE0EEENS1_30default_config_static_selectorELNS0_4arch9wavefront6targetE0EEEvS10_
		.amdhsa_group_segment_fixed_size 0
		.amdhsa_private_segment_fixed_size 0
		.amdhsa_kernarg_size 112
		.amdhsa_user_sgpr_count 2
		.amdhsa_user_sgpr_dispatch_ptr 0
		.amdhsa_user_sgpr_queue_ptr 0
		.amdhsa_user_sgpr_kernarg_segment_ptr 1
		.amdhsa_user_sgpr_dispatch_id 0
		.amdhsa_user_sgpr_kernarg_preload_length 0
		.amdhsa_user_sgpr_kernarg_preload_offset 0
		.amdhsa_user_sgpr_private_segment_size 0
		.amdhsa_wavefront_size32 1
		.amdhsa_uses_dynamic_stack 0
		.amdhsa_enable_private_segment 0
		.amdhsa_system_sgpr_workgroup_id_x 1
		.amdhsa_system_sgpr_workgroup_id_y 0
		.amdhsa_system_sgpr_workgroup_id_z 0
		.amdhsa_system_sgpr_workgroup_info 0
		.amdhsa_system_vgpr_workitem_id 0
		.amdhsa_next_free_vgpr 1
		.amdhsa_next_free_sgpr 1
		.amdhsa_named_barrier_count 0
		.amdhsa_reserve_vcc 0
		.amdhsa_float_round_mode_32 0
		.amdhsa_float_round_mode_16_64 0
		.amdhsa_float_denorm_mode_32 3
		.amdhsa_float_denorm_mode_16_64 3
		.amdhsa_fp16_overflow 0
		.amdhsa_memory_ordered 1
		.amdhsa_forward_progress 1
		.amdhsa_inst_pref_size 0
		.amdhsa_round_robin_scheduling 0
		.amdhsa_exception_fp_ieee_invalid_op 0
		.amdhsa_exception_fp_denorm_src 0
		.amdhsa_exception_fp_ieee_div_zero 0
		.amdhsa_exception_fp_ieee_overflow 0
		.amdhsa_exception_fp_ieee_underflow 0
		.amdhsa_exception_fp_ieee_inexact 0
		.amdhsa_exception_int_div_zero 0
	.end_amdhsa_kernel
	.section	.text._ZN7rocprim17ROCPRIM_400000_NS6detail17trampoline_kernelINS0_14default_configENS1_21merge_config_selectorINS0_5tupleIJjjEEENS0_10empty_typeEEEZNS1_10merge_implIS3_NS0_12zip_iteratorINS5_IJN6thrust23THRUST_200600_302600_NS6detail15normal_iteratorINSC_10device_ptrIKjEEEESI_EEEEESK_NSA_INS5_IJNSE_INSF_IjEEEESM_EEEEEPS7_SP_SP_NSC_11hip_rocprim7__merge17predicate_wrapperIjjNSC_7greaterIjEEEEEE10hipError_tPvRmT0_T1_T2_T3_T4_T5_mmT6_P12ihipStream_tbEUlT_E0_NS1_11comp_targetILNS1_3genE2ELNS1_11target_archE906ELNS1_3gpuE6ELNS1_3repE0EEENS1_30default_config_static_selectorELNS0_4arch9wavefront6targetE0EEEvS10_,"axG",@progbits,_ZN7rocprim17ROCPRIM_400000_NS6detail17trampoline_kernelINS0_14default_configENS1_21merge_config_selectorINS0_5tupleIJjjEEENS0_10empty_typeEEEZNS1_10merge_implIS3_NS0_12zip_iteratorINS5_IJN6thrust23THRUST_200600_302600_NS6detail15normal_iteratorINSC_10device_ptrIKjEEEESI_EEEEESK_NSA_INS5_IJNSE_INSF_IjEEEESM_EEEEEPS7_SP_SP_NSC_11hip_rocprim7__merge17predicate_wrapperIjjNSC_7greaterIjEEEEEE10hipError_tPvRmT0_T1_T2_T3_T4_T5_mmT6_P12ihipStream_tbEUlT_E0_NS1_11comp_targetILNS1_3genE2ELNS1_11target_archE906ELNS1_3gpuE6ELNS1_3repE0EEENS1_30default_config_static_selectorELNS0_4arch9wavefront6targetE0EEEvS10_,comdat
.Lfunc_end384:
	.size	_ZN7rocprim17ROCPRIM_400000_NS6detail17trampoline_kernelINS0_14default_configENS1_21merge_config_selectorINS0_5tupleIJjjEEENS0_10empty_typeEEEZNS1_10merge_implIS3_NS0_12zip_iteratorINS5_IJN6thrust23THRUST_200600_302600_NS6detail15normal_iteratorINSC_10device_ptrIKjEEEESI_EEEEESK_NSA_INS5_IJNSE_INSF_IjEEEESM_EEEEEPS7_SP_SP_NSC_11hip_rocprim7__merge17predicate_wrapperIjjNSC_7greaterIjEEEEEE10hipError_tPvRmT0_T1_T2_T3_T4_T5_mmT6_P12ihipStream_tbEUlT_E0_NS1_11comp_targetILNS1_3genE2ELNS1_11target_archE906ELNS1_3gpuE6ELNS1_3repE0EEENS1_30default_config_static_selectorELNS0_4arch9wavefront6targetE0EEEvS10_, .Lfunc_end384-_ZN7rocprim17ROCPRIM_400000_NS6detail17trampoline_kernelINS0_14default_configENS1_21merge_config_selectorINS0_5tupleIJjjEEENS0_10empty_typeEEEZNS1_10merge_implIS3_NS0_12zip_iteratorINS5_IJN6thrust23THRUST_200600_302600_NS6detail15normal_iteratorINSC_10device_ptrIKjEEEESI_EEEEESK_NSA_INS5_IJNSE_INSF_IjEEEESM_EEEEEPS7_SP_SP_NSC_11hip_rocprim7__merge17predicate_wrapperIjjNSC_7greaterIjEEEEEE10hipError_tPvRmT0_T1_T2_T3_T4_T5_mmT6_P12ihipStream_tbEUlT_E0_NS1_11comp_targetILNS1_3genE2ELNS1_11target_archE906ELNS1_3gpuE6ELNS1_3repE0EEENS1_30default_config_static_selectorELNS0_4arch9wavefront6targetE0EEEvS10_
                                        ; -- End function
	.set _ZN7rocprim17ROCPRIM_400000_NS6detail17trampoline_kernelINS0_14default_configENS1_21merge_config_selectorINS0_5tupleIJjjEEENS0_10empty_typeEEEZNS1_10merge_implIS3_NS0_12zip_iteratorINS5_IJN6thrust23THRUST_200600_302600_NS6detail15normal_iteratorINSC_10device_ptrIKjEEEESI_EEEEESK_NSA_INS5_IJNSE_INSF_IjEEEESM_EEEEEPS7_SP_SP_NSC_11hip_rocprim7__merge17predicate_wrapperIjjNSC_7greaterIjEEEEEE10hipError_tPvRmT0_T1_T2_T3_T4_T5_mmT6_P12ihipStream_tbEUlT_E0_NS1_11comp_targetILNS1_3genE2ELNS1_11target_archE906ELNS1_3gpuE6ELNS1_3repE0EEENS1_30default_config_static_selectorELNS0_4arch9wavefront6targetE0EEEvS10_.num_vgpr, 0
	.set _ZN7rocprim17ROCPRIM_400000_NS6detail17trampoline_kernelINS0_14default_configENS1_21merge_config_selectorINS0_5tupleIJjjEEENS0_10empty_typeEEEZNS1_10merge_implIS3_NS0_12zip_iteratorINS5_IJN6thrust23THRUST_200600_302600_NS6detail15normal_iteratorINSC_10device_ptrIKjEEEESI_EEEEESK_NSA_INS5_IJNSE_INSF_IjEEEESM_EEEEEPS7_SP_SP_NSC_11hip_rocprim7__merge17predicate_wrapperIjjNSC_7greaterIjEEEEEE10hipError_tPvRmT0_T1_T2_T3_T4_T5_mmT6_P12ihipStream_tbEUlT_E0_NS1_11comp_targetILNS1_3genE2ELNS1_11target_archE906ELNS1_3gpuE6ELNS1_3repE0EEENS1_30default_config_static_selectorELNS0_4arch9wavefront6targetE0EEEvS10_.num_agpr, 0
	.set _ZN7rocprim17ROCPRIM_400000_NS6detail17trampoline_kernelINS0_14default_configENS1_21merge_config_selectorINS0_5tupleIJjjEEENS0_10empty_typeEEEZNS1_10merge_implIS3_NS0_12zip_iteratorINS5_IJN6thrust23THRUST_200600_302600_NS6detail15normal_iteratorINSC_10device_ptrIKjEEEESI_EEEEESK_NSA_INS5_IJNSE_INSF_IjEEEESM_EEEEEPS7_SP_SP_NSC_11hip_rocprim7__merge17predicate_wrapperIjjNSC_7greaterIjEEEEEE10hipError_tPvRmT0_T1_T2_T3_T4_T5_mmT6_P12ihipStream_tbEUlT_E0_NS1_11comp_targetILNS1_3genE2ELNS1_11target_archE906ELNS1_3gpuE6ELNS1_3repE0EEENS1_30default_config_static_selectorELNS0_4arch9wavefront6targetE0EEEvS10_.numbered_sgpr, 0
	.set _ZN7rocprim17ROCPRIM_400000_NS6detail17trampoline_kernelINS0_14default_configENS1_21merge_config_selectorINS0_5tupleIJjjEEENS0_10empty_typeEEEZNS1_10merge_implIS3_NS0_12zip_iteratorINS5_IJN6thrust23THRUST_200600_302600_NS6detail15normal_iteratorINSC_10device_ptrIKjEEEESI_EEEEESK_NSA_INS5_IJNSE_INSF_IjEEEESM_EEEEEPS7_SP_SP_NSC_11hip_rocprim7__merge17predicate_wrapperIjjNSC_7greaterIjEEEEEE10hipError_tPvRmT0_T1_T2_T3_T4_T5_mmT6_P12ihipStream_tbEUlT_E0_NS1_11comp_targetILNS1_3genE2ELNS1_11target_archE906ELNS1_3gpuE6ELNS1_3repE0EEENS1_30default_config_static_selectorELNS0_4arch9wavefront6targetE0EEEvS10_.num_named_barrier, 0
	.set _ZN7rocprim17ROCPRIM_400000_NS6detail17trampoline_kernelINS0_14default_configENS1_21merge_config_selectorINS0_5tupleIJjjEEENS0_10empty_typeEEEZNS1_10merge_implIS3_NS0_12zip_iteratorINS5_IJN6thrust23THRUST_200600_302600_NS6detail15normal_iteratorINSC_10device_ptrIKjEEEESI_EEEEESK_NSA_INS5_IJNSE_INSF_IjEEEESM_EEEEEPS7_SP_SP_NSC_11hip_rocprim7__merge17predicate_wrapperIjjNSC_7greaterIjEEEEEE10hipError_tPvRmT0_T1_T2_T3_T4_T5_mmT6_P12ihipStream_tbEUlT_E0_NS1_11comp_targetILNS1_3genE2ELNS1_11target_archE906ELNS1_3gpuE6ELNS1_3repE0EEENS1_30default_config_static_selectorELNS0_4arch9wavefront6targetE0EEEvS10_.private_seg_size, 0
	.set _ZN7rocprim17ROCPRIM_400000_NS6detail17trampoline_kernelINS0_14default_configENS1_21merge_config_selectorINS0_5tupleIJjjEEENS0_10empty_typeEEEZNS1_10merge_implIS3_NS0_12zip_iteratorINS5_IJN6thrust23THRUST_200600_302600_NS6detail15normal_iteratorINSC_10device_ptrIKjEEEESI_EEEEESK_NSA_INS5_IJNSE_INSF_IjEEEESM_EEEEEPS7_SP_SP_NSC_11hip_rocprim7__merge17predicate_wrapperIjjNSC_7greaterIjEEEEEE10hipError_tPvRmT0_T1_T2_T3_T4_T5_mmT6_P12ihipStream_tbEUlT_E0_NS1_11comp_targetILNS1_3genE2ELNS1_11target_archE906ELNS1_3gpuE6ELNS1_3repE0EEENS1_30default_config_static_selectorELNS0_4arch9wavefront6targetE0EEEvS10_.uses_vcc, 0
	.set _ZN7rocprim17ROCPRIM_400000_NS6detail17trampoline_kernelINS0_14default_configENS1_21merge_config_selectorINS0_5tupleIJjjEEENS0_10empty_typeEEEZNS1_10merge_implIS3_NS0_12zip_iteratorINS5_IJN6thrust23THRUST_200600_302600_NS6detail15normal_iteratorINSC_10device_ptrIKjEEEESI_EEEEESK_NSA_INS5_IJNSE_INSF_IjEEEESM_EEEEEPS7_SP_SP_NSC_11hip_rocprim7__merge17predicate_wrapperIjjNSC_7greaterIjEEEEEE10hipError_tPvRmT0_T1_T2_T3_T4_T5_mmT6_P12ihipStream_tbEUlT_E0_NS1_11comp_targetILNS1_3genE2ELNS1_11target_archE906ELNS1_3gpuE6ELNS1_3repE0EEENS1_30default_config_static_selectorELNS0_4arch9wavefront6targetE0EEEvS10_.uses_flat_scratch, 0
	.set _ZN7rocprim17ROCPRIM_400000_NS6detail17trampoline_kernelINS0_14default_configENS1_21merge_config_selectorINS0_5tupleIJjjEEENS0_10empty_typeEEEZNS1_10merge_implIS3_NS0_12zip_iteratorINS5_IJN6thrust23THRUST_200600_302600_NS6detail15normal_iteratorINSC_10device_ptrIKjEEEESI_EEEEESK_NSA_INS5_IJNSE_INSF_IjEEEESM_EEEEEPS7_SP_SP_NSC_11hip_rocprim7__merge17predicate_wrapperIjjNSC_7greaterIjEEEEEE10hipError_tPvRmT0_T1_T2_T3_T4_T5_mmT6_P12ihipStream_tbEUlT_E0_NS1_11comp_targetILNS1_3genE2ELNS1_11target_archE906ELNS1_3gpuE6ELNS1_3repE0EEENS1_30default_config_static_selectorELNS0_4arch9wavefront6targetE0EEEvS10_.has_dyn_sized_stack, 0
	.set _ZN7rocprim17ROCPRIM_400000_NS6detail17trampoline_kernelINS0_14default_configENS1_21merge_config_selectorINS0_5tupleIJjjEEENS0_10empty_typeEEEZNS1_10merge_implIS3_NS0_12zip_iteratorINS5_IJN6thrust23THRUST_200600_302600_NS6detail15normal_iteratorINSC_10device_ptrIKjEEEESI_EEEEESK_NSA_INS5_IJNSE_INSF_IjEEEESM_EEEEEPS7_SP_SP_NSC_11hip_rocprim7__merge17predicate_wrapperIjjNSC_7greaterIjEEEEEE10hipError_tPvRmT0_T1_T2_T3_T4_T5_mmT6_P12ihipStream_tbEUlT_E0_NS1_11comp_targetILNS1_3genE2ELNS1_11target_archE906ELNS1_3gpuE6ELNS1_3repE0EEENS1_30default_config_static_selectorELNS0_4arch9wavefront6targetE0EEEvS10_.has_recursion, 0
	.set _ZN7rocprim17ROCPRIM_400000_NS6detail17trampoline_kernelINS0_14default_configENS1_21merge_config_selectorINS0_5tupleIJjjEEENS0_10empty_typeEEEZNS1_10merge_implIS3_NS0_12zip_iteratorINS5_IJN6thrust23THRUST_200600_302600_NS6detail15normal_iteratorINSC_10device_ptrIKjEEEESI_EEEEESK_NSA_INS5_IJNSE_INSF_IjEEEESM_EEEEEPS7_SP_SP_NSC_11hip_rocprim7__merge17predicate_wrapperIjjNSC_7greaterIjEEEEEE10hipError_tPvRmT0_T1_T2_T3_T4_T5_mmT6_P12ihipStream_tbEUlT_E0_NS1_11comp_targetILNS1_3genE2ELNS1_11target_archE906ELNS1_3gpuE6ELNS1_3repE0EEENS1_30default_config_static_selectorELNS0_4arch9wavefront6targetE0EEEvS10_.has_indirect_call, 0
	.section	.AMDGPU.csdata,"",@progbits
; Kernel info:
; codeLenInByte = 0
; TotalNumSgprs: 0
; NumVgprs: 0
; ScratchSize: 0
; MemoryBound: 0
; FloatMode: 240
; IeeeMode: 1
; LDSByteSize: 0 bytes/workgroup (compile time only)
; SGPRBlocks: 0
; VGPRBlocks: 0
; NumSGPRsForWavesPerEU: 1
; NumVGPRsForWavesPerEU: 1
; NamedBarCnt: 0
; Occupancy: 16
; WaveLimiterHint : 0
; COMPUTE_PGM_RSRC2:SCRATCH_EN: 0
; COMPUTE_PGM_RSRC2:USER_SGPR: 2
; COMPUTE_PGM_RSRC2:TRAP_HANDLER: 0
; COMPUTE_PGM_RSRC2:TGID_X_EN: 1
; COMPUTE_PGM_RSRC2:TGID_Y_EN: 0
; COMPUTE_PGM_RSRC2:TGID_Z_EN: 0
; COMPUTE_PGM_RSRC2:TIDIG_COMP_CNT: 0
	.section	.text._ZN7rocprim17ROCPRIM_400000_NS6detail17trampoline_kernelINS0_14default_configENS1_21merge_config_selectorINS0_5tupleIJjjEEENS0_10empty_typeEEEZNS1_10merge_implIS3_NS0_12zip_iteratorINS5_IJN6thrust23THRUST_200600_302600_NS6detail15normal_iteratorINSC_10device_ptrIKjEEEESI_EEEEESK_NSA_INS5_IJNSE_INSF_IjEEEESM_EEEEEPS7_SP_SP_NSC_11hip_rocprim7__merge17predicate_wrapperIjjNSC_7greaterIjEEEEEE10hipError_tPvRmT0_T1_T2_T3_T4_T5_mmT6_P12ihipStream_tbEUlT_E0_NS1_11comp_targetILNS1_3genE10ELNS1_11target_archE1201ELNS1_3gpuE5ELNS1_3repE0EEENS1_30default_config_static_selectorELNS0_4arch9wavefront6targetE0EEEvS10_,"axG",@progbits,_ZN7rocprim17ROCPRIM_400000_NS6detail17trampoline_kernelINS0_14default_configENS1_21merge_config_selectorINS0_5tupleIJjjEEENS0_10empty_typeEEEZNS1_10merge_implIS3_NS0_12zip_iteratorINS5_IJN6thrust23THRUST_200600_302600_NS6detail15normal_iteratorINSC_10device_ptrIKjEEEESI_EEEEESK_NSA_INS5_IJNSE_INSF_IjEEEESM_EEEEEPS7_SP_SP_NSC_11hip_rocprim7__merge17predicate_wrapperIjjNSC_7greaterIjEEEEEE10hipError_tPvRmT0_T1_T2_T3_T4_T5_mmT6_P12ihipStream_tbEUlT_E0_NS1_11comp_targetILNS1_3genE10ELNS1_11target_archE1201ELNS1_3gpuE5ELNS1_3repE0EEENS1_30default_config_static_selectorELNS0_4arch9wavefront6targetE0EEEvS10_,comdat
	.protected	_ZN7rocprim17ROCPRIM_400000_NS6detail17trampoline_kernelINS0_14default_configENS1_21merge_config_selectorINS0_5tupleIJjjEEENS0_10empty_typeEEEZNS1_10merge_implIS3_NS0_12zip_iteratorINS5_IJN6thrust23THRUST_200600_302600_NS6detail15normal_iteratorINSC_10device_ptrIKjEEEESI_EEEEESK_NSA_INS5_IJNSE_INSF_IjEEEESM_EEEEEPS7_SP_SP_NSC_11hip_rocprim7__merge17predicate_wrapperIjjNSC_7greaterIjEEEEEE10hipError_tPvRmT0_T1_T2_T3_T4_T5_mmT6_P12ihipStream_tbEUlT_E0_NS1_11comp_targetILNS1_3genE10ELNS1_11target_archE1201ELNS1_3gpuE5ELNS1_3repE0EEENS1_30default_config_static_selectorELNS0_4arch9wavefront6targetE0EEEvS10_ ; -- Begin function _ZN7rocprim17ROCPRIM_400000_NS6detail17trampoline_kernelINS0_14default_configENS1_21merge_config_selectorINS0_5tupleIJjjEEENS0_10empty_typeEEEZNS1_10merge_implIS3_NS0_12zip_iteratorINS5_IJN6thrust23THRUST_200600_302600_NS6detail15normal_iteratorINSC_10device_ptrIKjEEEESI_EEEEESK_NSA_INS5_IJNSE_INSF_IjEEEESM_EEEEEPS7_SP_SP_NSC_11hip_rocprim7__merge17predicate_wrapperIjjNSC_7greaterIjEEEEEE10hipError_tPvRmT0_T1_T2_T3_T4_T5_mmT6_P12ihipStream_tbEUlT_E0_NS1_11comp_targetILNS1_3genE10ELNS1_11target_archE1201ELNS1_3gpuE5ELNS1_3repE0EEENS1_30default_config_static_selectorELNS0_4arch9wavefront6targetE0EEEvS10_
	.globl	_ZN7rocprim17ROCPRIM_400000_NS6detail17trampoline_kernelINS0_14default_configENS1_21merge_config_selectorINS0_5tupleIJjjEEENS0_10empty_typeEEEZNS1_10merge_implIS3_NS0_12zip_iteratorINS5_IJN6thrust23THRUST_200600_302600_NS6detail15normal_iteratorINSC_10device_ptrIKjEEEESI_EEEEESK_NSA_INS5_IJNSE_INSF_IjEEEESM_EEEEEPS7_SP_SP_NSC_11hip_rocprim7__merge17predicate_wrapperIjjNSC_7greaterIjEEEEEE10hipError_tPvRmT0_T1_T2_T3_T4_T5_mmT6_P12ihipStream_tbEUlT_E0_NS1_11comp_targetILNS1_3genE10ELNS1_11target_archE1201ELNS1_3gpuE5ELNS1_3repE0EEENS1_30default_config_static_selectorELNS0_4arch9wavefront6targetE0EEEvS10_
	.p2align	8
	.type	_ZN7rocprim17ROCPRIM_400000_NS6detail17trampoline_kernelINS0_14default_configENS1_21merge_config_selectorINS0_5tupleIJjjEEENS0_10empty_typeEEEZNS1_10merge_implIS3_NS0_12zip_iteratorINS5_IJN6thrust23THRUST_200600_302600_NS6detail15normal_iteratorINSC_10device_ptrIKjEEEESI_EEEEESK_NSA_INS5_IJNSE_INSF_IjEEEESM_EEEEEPS7_SP_SP_NSC_11hip_rocprim7__merge17predicate_wrapperIjjNSC_7greaterIjEEEEEE10hipError_tPvRmT0_T1_T2_T3_T4_T5_mmT6_P12ihipStream_tbEUlT_E0_NS1_11comp_targetILNS1_3genE10ELNS1_11target_archE1201ELNS1_3gpuE5ELNS1_3repE0EEENS1_30default_config_static_selectorELNS0_4arch9wavefront6targetE0EEEvS10_,@function
_ZN7rocprim17ROCPRIM_400000_NS6detail17trampoline_kernelINS0_14default_configENS1_21merge_config_selectorINS0_5tupleIJjjEEENS0_10empty_typeEEEZNS1_10merge_implIS3_NS0_12zip_iteratorINS5_IJN6thrust23THRUST_200600_302600_NS6detail15normal_iteratorINSC_10device_ptrIKjEEEESI_EEEEESK_NSA_INS5_IJNSE_INSF_IjEEEESM_EEEEEPS7_SP_SP_NSC_11hip_rocprim7__merge17predicate_wrapperIjjNSC_7greaterIjEEEEEE10hipError_tPvRmT0_T1_T2_T3_T4_T5_mmT6_P12ihipStream_tbEUlT_E0_NS1_11comp_targetILNS1_3genE10ELNS1_11target_archE1201ELNS1_3gpuE5ELNS1_3repE0EEENS1_30default_config_static_selectorELNS0_4arch9wavefront6targetE0EEEvS10_: ; @_ZN7rocprim17ROCPRIM_400000_NS6detail17trampoline_kernelINS0_14default_configENS1_21merge_config_selectorINS0_5tupleIJjjEEENS0_10empty_typeEEEZNS1_10merge_implIS3_NS0_12zip_iteratorINS5_IJN6thrust23THRUST_200600_302600_NS6detail15normal_iteratorINSC_10device_ptrIKjEEEESI_EEEEESK_NSA_INS5_IJNSE_INSF_IjEEEESM_EEEEEPS7_SP_SP_NSC_11hip_rocprim7__merge17predicate_wrapperIjjNSC_7greaterIjEEEEEE10hipError_tPvRmT0_T1_T2_T3_T4_T5_mmT6_P12ihipStream_tbEUlT_E0_NS1_11comp_targetILNS1_3genE10ELNS1_11target_archE1201ELNS1_3gpuE5ELNS1_3repE0EEENS1_30default_config_static_selectorELNS0_4arch9wavefront6targetE0EEEvS10_
; %bb.0:
	.section	.rodata,"a",@progbits
	.p2align	6, 0x0
	.amdhsa_kernel _ZN7rocprim17ROCPRIM_400000_NS6detail17trampoline_kernelINS0_14default_configENS1_21merge_config_selectorINS0_5tupleIJjjEEENS0_10empty_typeEEEZNS1_10merge_implIS3_NS0_12zip_iteratorINS5_IJN6thrust23THRUST_200600_302600_NS6detail15normal_iteratorINSC_10device_ptrIKjEEEESI_EEEEESK_NSA_INS5_IJNSE_INSF_IjEEEESM_EEEEEPS7_SP_SP_NSC_11hip_rocprim7__merge17predicate_wrapperIjjNSC_7greaterIjEEEEEE10hipError_tPvRmT0_T1_T2_T3_T4_T5_mmT6_P12ihipStream_tbEUlT_E0_NS1_11comp_targetILNS1_3genE10ELNS1_11target_archE1201ELNS1_3gpuE5ELNS1_3repE0EEENS1_30default_config_static_selectorELNS0_4arch9wavefront6targetE0EEEvS10_
		.amdhsa_group_segment_fixed_size 0
		.amdhsa_private_segment_fixed_size 0
		.amdhsa_kernarg_size 112
		.amdhsa_user_sgpr_count 2
		.amdhsa_user_sgpr_dispatch_ptr 0
		.amdhsa_user_sgpr_queue_ptr 0
		.amdhsa_user_sgpr_kernarg_segment_ptr 1
		.amdhsa_user_sgpr_dispatch_id 0
		.amdhsa_user_sgpr_kernarg_preload_length 0
		.amdhsa_user_sgpr_kernarg_preload_offset 0
		.amdhsa_user_sgpr_private_segment_size 0
		.amdhsa_wavefront_size32 1
		.amdhsa_uses_dynamic_stack 0
		.amdhsa_enable_private_segment 0
		.amdhsa_system_sgpr_workgroup_id_x 1
		.amdhsa_system_sgpr_workgroup_id_y 0
		.amdhsa_system_sgpr_workgroup_id_z 0
		.amdhsa_system_sgpr_workgroup_info 0
		.amdhsa_system_vgpr_workitem_id 0
		.amdhsa_next_free_vgpr 1
		.amdhsa_next_free_sgpr 1
		.amdhsa_named_barrier_count 0
		.amdhsa_reserve_vcc 0
		.amdhsa_float_round_mode_32 0
		.amdhsa_float_round_mode_16_64 0
		.amdhsa_float_denorm_mode_32 3
		.amdhsa_float_denorm_mode_16_64 3
		.amdhsa_fp16_overflow 0
		.amdhsa_memory_ordered 1
		.amdhsa_forward_progress 1
		.amdhsa_inst_pref_size 0
		.amdhsa_round_robin_scheduling 0
		.amdhsa_exception_fp_ieee_invalid_op 0
		.amdhsa_exception_fp_denorm_src 0
		.amdhsa_exception_fp_ieee_div_zero 0
		.amdhsa_exception_fp_ieee_overflow 0
		.amdhsa_exception_fp_ieee_underflow 0
		.amdhsa_exception_fp_ieee_inexact 0
		.amdhsa_exception_int_div_zero 0
	.end_amdhsa_kernel
	.section	.text._ZN7rocprim17ROCPRIM_400000_NS6detail17trampoline_kernelINS0_14default_configENS1_21merge_config_selectorINS0_5tupleIJjjEEENS0_10empty_typeEEEZNS1_10merge_implIS3_NS0_12zip_iteratorINS5_IJN6thrust23THRUST_200600_302600_NS6detail15normal_iteratorINSC_10device_ptrIKjEEEESI_EEEEESK_NSA_INS5_IJNSE_INSF_IjEEEESM_EEEEEPS7_SP_SP_NSC_11hip_rocprim7__merge17predicate_wrapperIjjNSC_7greaterIjEEEEEE10hipError_tPvRmT0_T1_T2_T3_T4_T5_mmT6_P12ihipStream_tbEUlT_E0_NS1_11comp_targetILNS1_3genE10ELNS1_11target_archE1201ELNS1_3gpuE5ELNS1_3repE0EEENS1_30default_config_static_selectorELNS0_4arch9wavefront6targetE0EEEvS10_,"axG",@progbits,_ZN7rocprim17ROCPRIM_400000_NS6detail17trampoline_kernelINS0_14default_configENS1_21merge_config_selectorINS0_5tupleIJjjEEENS0_10empty_typeEEEZNS1_10merge_implIS3_NS0_12zip_iteratorINS5_IJN6thrust23THRUST_200600_302600_NS6detail15normal_iteratorINSC_10device_ptrIKjEEEESI_EEEEESK_NSA_INS5_IJNSE_INSF_IjEEEESM_EEEEEPS7_SP_SP_NSC_11hip_rocprim7__merge17predicate_wrapperIjjNSC_7greaterIjEEEEEE10hipError_tPvRmT0_T1_T2_T3_T4_T5_mmT6_P12ihipStream_tbEUlT_E0_NS1_11comp_targetILNS1_3genE10ELNS1_11target_archE1201ELNS1_3gpuE5ELNS1_3repE0EEENS1_30default_config_static_selectorELNS0_4arch9wavefront6targetE0EEEvS10_,comdat
.Lfunc_end385:
	.size	_ZN7rocprim17ROCPRIM_400000_NS6detail17trampoline_kernelINS0_14default_configENS1_21merge_config_selectorINS0_5tupleIJjjEEENS0_10empty_typeEEEZNS1_10merge_implIS3_NS0_12zip_iteratorINS5_IJN6thrust23THRUST_200600_302600_NS6detail15normal_iteratorINSC_10device_ptrIKjEEEESI_EEEEESK_NSA_INS5_IJNSE_INSF_IjEEEESM_EEEEEPS7_SP_SP_NSC_11hip_rocprim7__merge17predicate_wrapperIjjNSC_7greaterIjEEEEEE10hipError_tPvRmT0_T1_T2_T3_T4_T5_mmT6_P12ihipStream_tbEUlT_E0_NS1_11comp_targetILNS1_3genE10ELNS1_11target_archE1201ELNS1_3gpuE5ELNS1_3repE0EEENS1_30default_config_static_selectorELNS0_4arch9wavefront6targetE0EEEvS10_, .Lfunc_end385-_ZN7rocprim17ROCPRIM_400000_NS6detail17trampoline_kernelINS0_14default_configENS1_21merge_config_selectorINS0_5tupleIJjjEEENS0_10empty_typeEEEZNS1_10merge_implIS3_NS0_12zip_iteratorINS5_IJN6thrust23THRUST_200600_302600_NS6detail15normal_iteratorINSC_10device_ptrIKjEEEESI_EEEEESK_NSA_INS5_IJNSE_INSF_IjEEEESM_EEEEEPS7_SP_SP_NSC_11hip_rocprim7__merge17predicate_wrapperIjjNSC_7greaterIjEEEEEE10hipError_tPvRmT0_T1_T2_T3_T4_T5_mmT6_P12ihipStream_tbEUlT_E0_NS1_11comp_targetILNS1_3genE10ELNS1_11target_archE1201ELNS1_3gpuE5ELNS1_3repE0EEENS1_30default_config_static_selectorELNS0_4arch9wavefront6targetE0EEEvS10_
                                        ; -- End function
	.set _ZN7rocprim17ROCPRIM_400000_NS6detail17trampoline_kernelINS0_14default_configENS1_21merge_config_selectorINS0_5tupleIJjjEEENS0_10empty_typeEEEZNS1_10merge_implIS3_NS0_12zip_iteratorINS5_IJN6thrust23THRUST_200600_302600_NS6detail15normal_iteratorINSC_10device_ptrIKjEEEESI_EEEEESK_NSA_INS5_IJNSE_INSF_IjEEEESM_EEEEEPS7_SP_SP_NSC_11hip_rocprim7__merge17predicate_wrapperIjjNSC_7greaterIjEEEEEE10hipError_tPvRmT0_T1_T2_T3_T4_T5_mmT6_P12ihipStream_tbEUlT_E0_NS1_11comp_targetILNS1_3genE10ELNS1_11target_archE1201ELNS1_3gpuE5ELNS1_3repE0EEENS1_30default_config_static_selectorELNS0_4arch9wavefront6targetE0EEEvS10_.num_vgpr, 0
	.set _ZN7rocprim17ROCPRIM_400000_NS6detail17trampoline_kernelINS0_14default_configENS1_21merge_config_selectorINS0_5tupleIJjjEEENS0_10empty_typeEEEZNS1_10merge_implIS3_NS0_12zip_iteratorINS5_IJN6thrust23THRUST_200600_302600_NS6detail15normal_iteratorINSC_10device_ptrIKjEEEESI_EEEEESK_NSA_INS5_IJNSE_INSF_IjEEEESM_EEEEEPS7_SP_SP_NSC_11hip_rocprim7__merge17predicate_wrapperIjjNSC_7greaterIjEEEEEE10hipError_tPvRmT0_T1_T2_T3_T4_T5_mmT6_P12ihipStream_tbEUlT_E0_NS1_11comp_targetILNS1_3genE10ELNS1_11target_archE1201ELNS1_3gpuE5ELNS1_3repE0EEENS1_30default_config_static_selectorELNS0_4arch9wavefront6targetE0EEEvS10_.num_agpr, 0
	.set _ZN7rocprim17ROCPRIM_400000_NS6detail17trampoline_kernelINS0_14default_configENS1_21merge_config_selectorINS0_5tupleIJjjEEENS0_10empty_typeEEEZNS1_10merge_implIS3_NS0_12zip_iteratorINS5_IJN6thrust23THRUST_200600_302600_NS6detail15normal_iteratorINSC_10device_ptrIKjEEEESI_EEEEESK_NSA_INS5_IJNSE_INSF_IjEEEESM_EEEEEPS7_SP_SP_NSC_11hip_rocprim7__merge17predicate_wrapperIjjNSC_7greaterIjEEEEEE10hipError_tPvRmT0_T1_T2_T3_T4_T5_mmT6_P12ihipStream_tbEUlT_E0_NS1_11comp_targetILNS1_3genE10ELNS1_11target_archE1201ELNS1_3gpuE5ELNS1_3repE0EEENS1_30default_config_static_selectorELNS0_4arch9wavefront6targetE0EEEvS10_.numbered_sgpr, 0
	.set _ZN7rocprim17ROCPRIM_400000_NS6detail17trampoline_kernelINS0_14default_configENS1_21merge_config_selectorINS0_5tupleIJjjEEENS0_10empty_typeEEEZNS1_10merge_implIS3_NS0_12zip_iteratorINS5_IJN6thrust23THRUST_200600_302600_NS6detail15normal_iteratorINSC_10device_ptrIKjEEEESI_EEEEESK_NSA_INS5_IJNSE_INSF_IjEEEESM_EEEEEPS7_SP_SP_NSC_11hip_rocprim7__merge17predicate_wrapperIjjNSC_7greaterIjEEEEEE10hipError_tPvRmT0_T1_T2_T3_T4_T5_mmT6_P12ihipStream_tbEUlT_E0_NS1_11comp_targetILNS1_3genE10ELNS1_11target_archE1201ELNS1_3gpuE5ELNS1_3repE0EEENS1_30default_config_static_selectorELNS0_4arch9wavefront6targetE0EEEvS10_.num_named_barrier, 0
	.set _ZN7rocprim17ROCPRIM_400000_NS6detail17trampoline_kernelINS0_14default_configENS1_21merge_config_selectorINS0_5tupleIJjjEEENS0_10empty_typeEEEZNS1_10merge_implIS3_NS0_12zip_iteratorINS5_IJN6thrust23THRUST_200600_302600_NS6detail15normal_iteratorINSC_10device_ptrIKjEEEESI_EEEEESK_NSA_INS5_IJNSE_INSF_IjEEEESM_EEEEEPS7_SP_SP_NSC_11hip_rocprim7__merge17predicate_wrapperIjjNSC_7greaterIjEEEEEE10hipError_tPvRmT0_T1_T2_T3_T4_T5_mmT6_P12ihipStream_tbEUlT_E0_NS1_11comp_targetILNS1_3genE10ELNS1_11target_archE1201ELNS1_3gpuE5ELNS1_3repE0EEENS1_30default_config_static_selectorELNS0_4arch9wavefront6targetE0EEEvS10_.private_seg_size, 0
	.set _ZN7rocprim17ROCPRIM_400000_NS6detail17trampoline_kernelINS0_14default_configENS1_21merge_config_selectorINS0_5tupleIJjjEEENS0_10empty_typeEEEZNS1_10merge_implIS3_NS0_12zip_iteratorINS5_IJN6thrust23THRUST_200600_302600_NS6detail15normal_iteratorINSC_10device_ptrIKjEEEESI_EEEEESK_NSA_INS5_IJNSE_INSF_IjEEEESM_EEEEEPS7_SP_SP_NSC_11hip_rocprim7__merge17predicate_wrapperIjjNSC_7greaterIjEEEEEE10hipError_tPvRmT0_T1_T2_T3_T4_T5_mmT6_P12ihipStream_tbEUlT_E0_NS1_11comp_targetILNS1_3genE10ELNS1_11target_archE1201ELNS1_3gpuE5ELNS1_3repE0EEENS1_30default_config_static_selectorELNS0_4arch9wavefront6targetE0EEEvS10_.uses_vcc, 0
	.set _ZN7rocprim17ROCPRIM_400000_NS6detail17trampoline_kernelINS0_14default_configENS1_21merge_config_selectorINS0_5tupleIJjjEEENS0_10empty_typeEEEZNS1_10merge_implIS3_NS0_12zip_iteratorINS5_IJN6thrust23THRUST_200600_302600_NS6detail15normal_iteratorINSC_10device_ptrIKjEEEESI_EEEEESK_NSA_INS5_IJNSE_INSF_IjEEEESM_EEEEEPS7_SP_SP_NSC_11hip_rocprim7__merge17predicate_wrapperIjjNSC_7greaterIjEEEEEE10hipError_tPvRmT0_T1_T2_T3_T4_T5_mmT6_P12ihipStream_tbEUlT_E0_NS1_11comp_targetILNS1_3genE10ELNS1_11target_archE1201ELNS1_3gpuE5ELNS1_3repE0EEENS1_30default_config_static_selectorELNS0_4arch9wavefront6targetE0EEEvS10_.uses_flat_scratch, 0
	.set _ZN7rocprim17ROCPRIM_400000_NS6detail17trampoline_kernelINS0_14default_configENS1_21merge_config_selectorINS0_5tupleIJjjEEENS0_10empty_typeEEEZNS1_10merge_implIS3_NS0_12zip_iteratorINS5_IJN6thrust23THRUST_200600_302600_NS6detail15normal_iteratorINSC_10device_ptrIKjEEEESI_EEEEESK_NSA_INS5_IJNSE_INSF_IjEEEESM_EEEEEPS7_SP_SP_NSC_11hip_rocprim7__merge17predicate_wrapperIjjNSC_7greaterIjEEEEEE10hipError_tPvRmT0_T1_T2_T3_T4_T5_mmT6_P12ihipStream_tbEUlT_E0_NS1_11comp_targetILNS1_3genE10ELNS1_11target_archE1201ELNS1_3gpuE5ELNS1_3repE0EEENS1_30default_config_static_selectorELNS0_4arch9wavefront6targetE0EEEvS10_.has_dyn_sized_stack, 0
	.set _ZN7rocprim17ROCPRIM_400000_NS6detail17trampoline_kernelINS0_14default_configENS1_21merge_config_selectorINS0_5tupleIJjjEEENS0_10empty_typeEEEZNS1_10merge_implIS3_NS0_12zip_iteratorINS5_IJN6thrust23THRUST_200600_302600_NS6detail15normal_iteratorINSC_10device_ptrIKjEEEESI_EEEEESK_NSA_INS5_IJNSE_INSF_IjEEEESM_EEEEEPS7_SP_SP_NSC_11hip_rocprim7__merge17predicate_wrapperIjjNSC_7greaterIjEEEEEE10hipError_tPvRmT0_T1_T2_T3_T4_T5_mmT6_P12ihipStream_tbEUlT_E0_NS1_11comp_targetILNS1_3genE10ELNS1_11target_archE1201ELNS1_3gpuE5ELNS1_3repE0EEENS1_30default_config_static_selectorELNS0_4arch9wavefront6targetE0EEEvS10_.has_recursion, 0
	.set _ZN7rocprim17ROCPRIM_400000_NS6detail17trampoline_kernelINS0_14default_configENS1_21merge_config_selectorINS0_5tupleIJjjEEENS0_10empty_typeEEEZNS1_10merge_implIS3_NS0_12zip_iteratorINS5_IJN6thrust23THRUST_200600_302600_NS6detail15normal_iteratorINSC_10device_ptrIKjEEEESI_EEEEESK_NSA_INS5_IJNSE_INSF_IjEEEESM_EEEEEPS7_SP_SP_NSC_11hip_rocprim7__merge17predicate_wrapperIjjNSC_7greaterIjEEEEEE10hipError_tPvRmT0_T1_T2_T3_T4_T5_mmT6_P12ihipStream_tbEUlT_E0_NS1_11comp_targetILNS1_3genE10ELNS1_11target_archE1201ELNS1_3gpuE5ELNS1_3repE0EEENS1_30default_config_static_selectorELNS0_4arch9wavefront6targetE0EEEvS10_.has_indirect_call, 0
	.section	.AMDGPU.csdata,"",@progbits
; Kernel info:
; codeLenInByte = 0
; TotalNumSgprs: 0
; NumVgprs: 0
; ScratchSize: 0
; MemoryBound: 0
; FloatMode: 240
; IeeeMode: 1
; LDSByteSize: 0 bytes/workgroup (compile time only)
; SGPRBlocks: 0
; VGPRBlocks: 0
; NumSGPRsForWavesPerEU: 1
; NumVGPRsForWavesPerEU: 1
; NamedBarCnt: 0
; Occupancy: 16
; WaveLimiterHint : 0
; COMPUTE_PGM_RSRC2:SCRATCH_EN: 0
; COMPUTE_PGM_RSRC2:USER_SGPR: 2
; COMPUTE_PGM_RSRC2:TRAP_HANDLER: 0
; COMPUTE_PGM_RSRC2:TGID_X_EN: 1
; COMPUTE_PGM_RSRC2:TGID_Y_EN: 0
; COMPUTE_PGM_RSRC2:TGID_Z_EN: 0
; COMPUTE_PGM_RSRC2:TIDIG_COMP_CNT: 0
	.section	.text._ZN7rocprim17ROCPRIM_400000_NS6detail17trampoline_kernelINS0_14default_configENS1_21merge_config_selectorINS0_5tupleIJjjEEENS0_10empty_typeEEEZNS1_10merge_implIS3_NS0_12zip_iteratorINS5_IJN6thrust23THRUST_200600_302600_NS6detail15normal_iteratorINSC_10device_ptrIKjEEEESI_EEEEESK_NSA_INS5_IJNSE_INSF_IjEEEESM_EEEEEPS7_SP_SP_NSC_11hip_rocprim7__merge17predicate_wrapperIjjNSC_7greaterIjEEEEEE10hipError_tPvRmT0_T1_T2_T3_T4_T5_mmT6_P12ihipStream_tbEUlT_E0_NS1_11comp_targetILNS1_3genE10ELNS1_11target_archE1200ELNS1_3gpuE4ELNS1_3repE0EEENS1_30default_config_static_selectorELNS0_4arch9wavefront6targetE0EEEvS10_,"axG",@progbits,_ZN7rocprim17ROCPRIM_400000_NS6detail17trampoline_kernelINS0_14default_configENS1_21merge_config_selectorINS0_5tupleIJjjEEENS0_10empty_typeEEEZNS1_10merge_implIS3_NS0_12zip_iteratorINS5_IJN6thrust23THRUST_200600_302600_NS6detail15normal_iteratorINSC_10device_ptrIKjEEEESI_EEEEESK_NSA_INS5_IJNSE_INSF_IjEEEESM_EEEEEPS7_SP_SP_NSC_11hip_rocprim7__merge17predicate_wrapperIjjNSC_7greaterIjEEEEEE10hipError_tPvRmT0_T1_T2_T3_T4_T5_mmT6_P12ihipStream_tbEUlT_E0_NS1_11comp_targetILNS1_3genE10ELNS1_11target_archE1200ELNS1_3gpuE4ELNS1_3repE0EEENS1_30default_config_static_selectorELNS0_4arch9wavefront6targetE0EEEvS10_,comdat
	.protected	_ZN7rocprim17ROCPRIM_400000_NS6detail17trampoline_kernelINS0_14default_configENS1_21merge_config_selectorINS0_5tupleIJjjEEENS0_10empty_typeEEEZNS1_10merge_implIS3_NS0_12zip_iteratorINS5_IJN6thrust23THRUST_200600_302600_NS6detail15normal_iteratorINSC_10device_ptrIKjEEEESI_EEEEESK_NSA_INS5_IJNSE_INSF_IjEEEESM_EEEEEPS7_SP_SP_NSC_11hip_rocprim7__merge17predicate_wrapperIjjNSC_7greaterIjEEEEEE10hipError_tPvRmT0_T1_T2_T3_T4_T5_mmT6_P12ihipStream_tbEUlT_E0_NS1_11comp_targetILNS1_3genE10ELNS1_11target_archE1200ELNS1_3gpuE4ELNS1_3repE0EEENS1_30default_config_static_selectorELNS0_4arch9wavefront6targetE0EEEvS10_ ; -- Begin function _ZN7rocprim17ROCPRIM_400000_NS6detail17trampoline_kernelINS0_14default_configENS1_21merge_config_selectorINS0_5tupleIJjjEEENS0_10empty_typeEEEZNS1_10merge_implIS3_NS0_12zip_iteratorINS5_IJN6thrust23THRUST_200600_302600_NS6detail15normal_iteratorINSC_10device_ptrIKjEEEESI_EEEEESK_NSA_INS5_IJNSE_INSF_IjEEEESM_EEEEEPS7_SP_SP_NSC_11hip_rocprim7__merge17predicate_wrapperIjjNSC_7greaterIjEEEEEE10hipError_tPvRmT0_T1_T2_T3_T4_T5_mmT6_P12ihipStream_tbEUlT_E0_NS1_11comp_targetILNS1_3genE10ELNS1_11target_archE1200ELNS1_3gpuE4ELNS1_3repE0EEENS1_30default_config_static_selectorELNS0_4arch9wavefront6targetE0EEEvS10_
	.globl	_ZN7rocprim17ROCPRIM_400000_NS6detail17trampoline_kernelINS0_14default_configENS1_21merge_config_selectorINS0_5tupleIJjjEEENS0_10empty_typeEEEZNS1_10merge_implIS3_NS0_12zip_iteratorINS5_IJN6thrust23THRUST_200600_302600_NS6detail15normal_iteratorINSC_10device_ptrIKjEEEESI_EEEEESK_NSA_INS5_IJNSE_INSF_IjEEEESM_EEEEEPS7_SP_SP_NSC_11hip_rocprim7__merge17predicate_wrapperIjjNSC_7greaterIjEEEEEE10hipError_tPvRmT0_T1_T2_T3_T4_T5_mmT6_P12ihipStream_tbEUlT_E0_NS1_11comp_targetILNS1_3genE10ELNS1_11target_archE1200ELNS1_3gpuE4ELNS1_3repE0EEENS1_30default_config_static_selectorELNS0_4arch9wavefront6targetE0EEEvS10_
	.p2align	8
	.type	_ZN7rocprim17ROCPRIM_400000_NS6detail17trampoline_kernelINS0_14default_configENS1_21merge_config_selectorINS0_5tupleIJjjEEENS0_10empty_typeEEEZNS1_10merge_implIS3_NS0_12zip_iteratorINS5_IJN6thrust23THRUST_200600_302600_NS6detail15normal_iteratorINSC_10device_ptrIKjEEEESI_EEEEESK_NSA_INS5_IJNSE_INSF_IjEEEESM_EEEEEPS7_SP_SP_NSC_11hip_rocprim7__merge17predicate_wrapperIjjNSC_7greaterIjEEEEEE10hipError_tPvRmT0_T1_T2_T3_T4_T5_mmT6_P12ihipStream_tbEUlT_E0_NS1_11comp_targetILNS1_3genE10ELNS1_11target_archE1200ELNS1_3gpuE4ELNS1_3repE0EEENS1_30default_config_static_selectorELNS0_4arch9wavefront6targetE0EEEvS10_,@function
_ZN7rocprim17ROCPRIM_400000_NS6detail17trampoline_kernelINS0_14default_configENS1_21merge_config_selectorINS0_5tupleIJjjEEENS0_10empty_typeEEEZNS1_10merge_implIS3_NS0_12zip_iteratorINS5_IJN6thrust23THRUST_200600_302600_NS6detail15normal_iteratorINSC_10device_ptrIKjEEEESI_EEEEESK_NSA_INS5_IJNSE_INSF_IjEEEESM_EEEEEPS7_SP_SP_NSC_11hip_rocprim7__merge17predicate_wrapperIjjNSC_7greaterIjEEEEEE10hipError_tPvRmT0_T1_T2_T3_T4_T5_mmT6_P12ihipStream_tbEUlT_E0_NS1_11comp_targetILNS1_3genE10ELNS1_11target_archE1200ELNS1_3gpuE4ELNS1_3repE0EEENS1_30default_config_static_selectorELNS0_4arch9wavefront6targetE0EEEvS10_: ; @_ZN7rocprim17ROCPRIM_400000_NS6detail17trampoline_kernelINS0_14default_configENS1_21merge_config_selectorINS0_5tupleIJjjEEENS0_10empty_typeEEEZNS1_10merge_implIS3_NS0_12zip_iteratorINS5_IJN6thrust23THRUST_200600_302600_NS6detail15normal_iteratorINSC_10device_ptrIKjEEEESI_EEEEESK_NSA_INS5_IJNSE_INSF_IjEEEESM_EEEEEPS7_SP_SP_NSC_11hip_rocprim7__merge17predicate_wrapperIjjNSC_7greaterIjEEEEEE10hipError_tPvRmT0_T1_T2_T3_T4_T5_mmT6_P12ihipStream_tbEUlT_E0_NS1_11comp_targetILNS1_3genE10ELNS1_11target_archE1200ELNS1_3gpuE4ELNS1_3repE0EEENS1_30default_config_static_selectorELNS0_4arch9wavefront6targetE0EEEvS10_
; %bb.0:
	.section	.rodata,"a",@progbits
	.p2align	6, 0x0
	.amdhsa_kernel _ZN7rocprim17ROCPRIM_400000_NS6detail17trampoline_kernelINS0_14default_configENS1_21merge_config_selectorINS0_5tupleIJjjEEENS0_10empty_typeEEEZNS1_10merge_implIS3_NS0_12zip_iteratorINS5_IJN6thrust23THRUST_200600_302600_NS6detail15normal_iteratorINSC_10device_ptrIKjEEEESI_EEEEESK_NSA_INS5_IJNSE_INSF_IjEEEESM_EEEEEPS7_SP_SP_NSC_11hip_rocprim7__merge17predicate_wrapperIjjNSC_7greaterIjEEEEEE10hipError_tPvRmT0_T1_T2_T3_T4_T5_mmT6_P12ihipStream_tbEUlT_E0_NS1_11comp_targetILNS1_3genE10ELNS1_11target_archE1200ELNS1_3gpuE4ELNS1_3repE0EEENS1_30default_config_static_selectorELNS0_4arch9wavefront6targetE0EEEvS10_
		.amdhsa_group_segment_fixed_size 0
		.amdhsa_private_segment_fixed_size 0
		.amdhsa_kernarg_size 112
		.amdhsa_user_sgpr_count 2
		.amdhsa_user_sgpr_dispatch_ptr 0
		.amdhsa_user_sgpr_queue_ptr 0
		.amdhsa_user_sgpr_kernarg_segment_ptr 1
		.amdhsa_user_sgpr_dispatch_id 0
		.amdhsa_user_sgpr_kernarg_preload_length 0
		.amdhsa_user_sgpr_kernarg_preload_offset 0
		.amdhsa_user_sgpr_private_segment_size 0
		.amdhsa_wavefront_size32 1
		.amdhsa_uses_dynamic_stack 0
		.amdhsa_enable_private_segment 0
		.amdhsa_system_sgpr_workgroup_id_x 1
		.amdhsa_system_sgpr_workgroup_id_y 0
		.amdhsa_system_sgpr_workgroup_id_z 0
		.amdhsa_system_sgpr_workgroup_info 0
		.amdhsa_system_vgpr_workitem_id 0
		.amdhsa_next_free_vgpr 1
		.amdhsa_next_free_sgpr 1
		.amdhsa_named_barrier_count 0
		.amdhsa_reserve_vcc 0
		.amdhsa_float_round_mode_32 0
		.amdhsa_float_round_mode_16_64 0
		.amdhsa_float_denorm_mode_32 3
		.amdhsa_float_denorm_mode_16_64 3
		.amdhsa_fp16_overflow 0
		.amdhsa_memory_ordered 1
		.amdhsa_forward_progress 1
		.amdhsa_inst_pref_size 0
		.amdhsa_round_robin_scheduling 0
		.amdhsa_exception_fp_ieee_invalid_op 0
		.amdhsa_exception_fp_denorm_src 0
		.amdhsa_exception_fp_ieee_div_zero 0
		.amdhsa_exception_fp_ieee_overflow 0
		.amdhsa_exception_fp_ieee_underflow 0
		.amdhsa_exception_fp_ieee_inexact 0
		.amdhsa_exception_int_div_zero 0
	.end_amdhsa_kernel
	.section	.text._ZN7rocprim17ROCPRIM_400000_NS6detail17trampoline_kernelINS0_14default_configENS1_21merge_config_selectorINS0_5tupleIJjjEEENS0_10empty_typeEEEZNS1_10merge_implIS3_NS0_12zip_iteratorINS5_IJN6thrust23THRUST_200600_302600_NS6detail15normal_iteratorINSC_10device_ptrIKjEEEESI_EEEEESK_NSA_INS5_IJNSE_INSF_IjEEEESM_EEEEEPS7_SP_SP_NSC_11hip_rocprim7__merge17predicate_wrapperIjjNSC_7greaterIjEEEEEE10hipError_tPvRmT0_T1_T2_T3_T4_T5_mmT6_P12ihipStream_tbEUlT_E0_NS1_11comp_targetILNS1_3genE10ELNS1_11target_archE1200ELNS1_3gpuE4ELNS1_3repE0EEENS1_30default_config_static_selectorELNS0_4arch9wavefront6targetE0EEEvS10_,"axG",@progbits,_ZN7rocprim17ROCPRIM_400000_NS6detail17trampoline_kernelINS0_14default_configENS1_21merge_config_selectorINS0_5tupleIJjjEEENS0_10empty_typeEEEZNS1_10merge_implIS3_NS0_12zip_iteratorINS5_IJN6thrust23THRUST_200600_302600_NS6detail15normal_iteratorINSC_10device_ptrIKjEEEESI_EEEEESK_NSA_INS5_IJNSE_INSF_IjEEEESM_EEEEEPS7_SP_SP_NSC_11hip_rocprim7__merge17predicate_wrapperIjjNSC_7greaterIjEEEEEE10hipError_tPvRmT0_T1_T2_T3_T4_T5_mmT6_P12ihipStream_tbEUlT_E0_NS1_11comp_targetILNS1_3genE10ELNS1_11target_archE1200ELNS1_3gpuE4ELNS1_3repE0EEENS1_30default_config_static_selectorELNS0_4arch9wavefront6targetE0EEEvS10_,comdat
.Lfunc_end386:
	.size	_ZN7rocprim17ROCPRIM_400000_NS6detail17trampoline_kernelINS0_14default_configENS1_21merge_config_selectorINS0_5tupleIJjjEEENS0_10empty_typeEEEZNS1_10merge_implIS3_NS0_12zip_iteratorINS5_IJN6thrust23THRUST_200600_302600_NS6detail15normal_iteratorINSC_10device_ptrIKjEEEESI_EEEEESK_NSA_INS5_IJNSE_INSF_IjEEEESM_EEEEEPS7_SP_SP_NSC_11hip_rocprim7__merge17predicate_wrapperIjjNSC_7greaterIjEEEEEE10hipError_tPvRmT0_T1_T2_T3_T4_T5_mmT6_P12ihipStream_tbEUlT_E0_NS1_11comp_targetILNS1_3genE10ELNS1_11target_archE1200ELNS1_3gpuE4ELNS1_3repE0EEENS1_30default_config_static_selectorELNS0_4arch9wavefront6targetE0EEEvS10_, .Lfunc_end386-_ZN7rocprim17ROCPRIM_400000_NS6detail17trampoline_kernelINS0_14default_configENS1_21merge_config_selectorINS0_5tupleIJjjEEENS0_10empty_typeEEEZNS1_10merge_implIS3_NS0_12zip_iteratorINS5_IJN6thrust23THRUST_200600_302600_NS6detail15normal_iteratorINSC_10device_ptrIKjEEEESI_EEEEESK_NSA_INS5_IJNSE_INSF_IjEEEESM_EEEEEPS7_SP_SP_NSC_11hip_rocprim7__merge17predicate_wrapperIjjNSC_7greaterIjEEEEEE10hipError_tPvRmT0_T1_T2_T3_T4_T5_mmT6_P12ihipStream_tbEUlT_E0_NS1_11comp_targetILNS1_3genE10ELNS1_11target_archE1200ELNS1_3gpuE4ELNS1_3repE0EEENS1_30default_config_static_selectorELNS0_4arch9wavefront6targetE0EEEvS10_
                                        ; -- End function
	.set _ZN7rocprim17ROCPRIM_400000_NS6detail17trampoline_kernelINS0_14default_configENS1_21merge_config_selectorINS0_5tupleIJjjEEENS0_10empty_typeEEEZNS1_10merge_implIS3_NS0_12zip_iteratorINS5_IJN6thrust23THRUST_200600_302600_NS6detail15normal_iteratorINSC_10device_ptrIKjEEEESI_EEEEESK_NSA_INS5_IJNSE_INSF_IjEEEESM_EEEEEPS7_SP_SP_NSC_11hip_rocprim7__merge17predicate_wrapperIjjNSC_7greaterIjEEEEEE10hipError_tPvRmT0_T1_T2_T3_T4_T5_mmT6_P12ihipStream_tbEUlT_E0_NS1_11comp_targetILNS1_3genE10ELNS1_11target_archE1200ELNS1_3gpuE4ELNS1_3repE0EEENS1_30default_config_static_selectorELNS0_4arch9wavefront6targetE0EEEvS10_.num_vgpr, 0
	.set _ZN7rocprim17ROCPRIM_400000_NS6detail17trampoline_kernelINS0_14default_configENS1_21merge_config_selectorINS0_5tupleIJjjEEENS0_10empty_typeEEEZNS1_10merge_implIS3_NS0_12zip_iteratorINS5_IJN6thrust23THRUST_200600_302600_NS6detail15normal_iteratorINSC_10device_ptrIKjEEEESI_EEEEESK_NSA_INS5_IJNSE_INSF_IjEEEESM_EEEEEPS7_SP_SP_NSC_11hip_rocprim7__merge17predicate_wrapperIjjNSC_7greaterIjEEEEEE10hipError_tPvRmT0_T1_T2_T3_T4_T5_mmT6_P12ihipStream_tbEUlT_E0_NS1_11comp_targetILNS1_3genE10ELNS1_11target_archE1200ELNS1_3gpuE4ELNS1_3repE0EEENS1_30default_config_static_selectorELNS0_4arch9wavefront6targetE0EEEvS10_.num_agpr, 0
	.set _ZN7rocprim17ROCPRIM_400000_NS6detail17trampoline_kernelINS0_14default_configENS1_21merge_config_selectorINS0_5tupleIJjjEEENS0_10empty_typeEEEZNS1_10merge_implIS3_NS0_12zip_iteratorINS5_IJN6thrust23THRUST_200600_302600_NS6detail15normal_iteratorINSC_10device_ptrIKjEEEESI_EEEEESK_NSA_INS5_IJNSE_INSF_IjEEEESM_EEEEEPS7_SP_SP_NSC_11hip_rocprim7__merge17predicate_wrapperIjjNSC_7greaterIjEEEEEE10hipError_tPvRmT0_T1_T2_T3_T4_T5_mmT6_P12ihipStream_tbEUlT_E0_NS1_11comp_targetILNS1_3genE10ELNS1_11target_archE1200ELNS1_3gpuE4ELNS1_3repE0EEENS1_30default_config_static_selectorELNS0_4arch9wavefront6targetE0EEEvS10_.numbered_sgpr, 0
	.set _ZN7rocprim17ROCPRIM_400000_NS6detail17trampoline_kernelINS0_14default_configENS1_21merge_config_selectorINS0_5tupleIJjjEEENS0_10empty_typeEEEZNS1_10merge_implIS3_NS0_12zip_iteratorINS5_IJN6thrust23THRUST_200600_302600_NS6detail15normal_iteratorINSC_10device_ptrIKjEEEESI_EEEEESK_NSA_INS5_IJNSE_INSF_IjEEEESM_EEEEEPS7_SP_SP_NSC_11hip_rocprim7__merge17predicate_wrapperIjjNSC_7greaterIjEEEEEE10hipError_tPvRmT0_T1_T2_T3_T4_T5_mmT6_P12ihipStream_tbEUlT_E0_NS1_11comp_targetILNS1_3genE10ELNS1_11target_archE1200ELNS1_3gpuE4ELNS1_3repE0EEENS1_30default_config_static_selectorELNS0_4arch9wavefront6targetE0EEEvS10_.num_named_barrier, 0
	.set _ZN7rocprim17ROCPRIM_400000_NS6detail17trampoline_kernelINS0_14default_configENS1_21merge_config_selectorINS0_5tupleIJjjEEENS0_10empty_typeEEEZNS1_10merge_implIS3_NS0_12zip_iteratorINS5_IJN6thrust23THRUST_200600_302600_NS6detail15normal_iteratorINSC_10device_ptrIKjEEEESI_EEEEESK_NSA_INS5_IJNSE_INSF_IjEEEESM_EEEEEPS7_SP_SP_NSC_11hip_rocprim7__merge17predicate_wrapperIjjNSC_7greaterIjEEEEEE10hipError_tPvRmT0_T1_T2_T3_T4_T5_mmT6_P12ihipStream_tbEUlT_E0_NS1_11comp_targetILNS1_3genE10ELNS1_11target_archE1200ELNS1_3gpuE4ELNS1_3repE0EEENS1_30default_config_static_selectorELNS0_4arch9wavefront6targetE0EEEvS10_.private_seg_size, 0
	.set _ZN7rocprim17ROCPRIM_400000_NS6detail17trampoline_kernelINS0_14default_configENS1_21merge_config_selectorINS0_5tupleIJjjEEENS0_10empty_typeEEEZNS1_10merge_implIS3_NS0_12zip_iteratorINS5_IJN6thrust23THRUST_200600_302600_NS6detail15normal_iteratorINSC_10device_ptrIKjEEEESI_EEEEESK_NSA_INS5_IJNSE_INSF_IjEEEESM_EEEEEPS7_SP_SP_NSC_11hip_rocprim7__merge17predicate_wrapperIjjNSC_7greaterIjEEEEEE10hipError_tPvRmT0_T1_T2_T3_T4_T5_mmT6_P12ihipStream_tbEUlT_E0_NS1_11comp_targetILNS1_3genE10ELNS1_11target_archE1200ELNS1_3gpuE4ELNS1_3repE0EEENS1_30default_config_static_selectorELNS0_4arch9wavefront6targetE0EEEvS10_.uses_vcc, 0
	.set _ZN7rocprim17ROCPRIM_400000_NS6detail17trampoline_kernelINS0_14default_configENS1_21merge_config_selectorINS0_5tupleIJjjEEENS0_10empty_typeEEEZNS1_10merge_implIS3_NS0_12zip_iteratorINS5_IJN6thrust23THRUST_200600_302600_NS6detail15normal_iteratorINSC_10device_ptrIKjEEEESI_EEEEESK_NSA_INS5_IJNSE_INSF_IjEEEESM_EEEEEPS7_SP_SP_NSC_11hip_rocprim7__merge17predicate_wrapperIjjNSC_7greaterIjEEEEEE10hipError_tPvRmT0_T1_T2_T3_T4_T5_mmT6_P12ihipStream_tbEUlT_E0_NS1_11comp_targetILNS1_3genE10ELNS1_11target_archE1200ELNS1_3gpuE4ELNS1_3repE0EEENS1_30default_config_static_selectorELNS0_4arch9wavefront6targetE0EEEvS10_.uses_flat_scratch, 0
	.set _ZN7rocprim17ROCPRIM_400000_NS6detail17trampoline_kernelINS0_14default_configENS1_21merge_config_selectorINS0_5tupleIJjjEEENS0_10empty_typeEEEZNS1_10merge_implIS3_NS0_12zip_iteratorINS5_IJN6thrust23THRUST_200600_302600_NS6detail15normal_iteratorINSC_10device_ptrIKjEEEESI_EEEEESK_NSA_INS5_IJNSE_INSF_IjEEEESM_EEEEEPS7_SP_SP_NSC_11hip_rocprim7__merge17predicate_wrapperIjjNSC_7greaterIjEEEEEE10hipError_tPvRmT0_T1_T2_T3_T4_T5_mmT6_P12ihipStream_tbEUlT_E0_NS1_11comp_targetILNS1_3genE10ELNS1_11target_archE1200ELNS1_3gpuE4ELNS1_3repE0EEENS1_30default_config_static_selectorELNS0_4arch9wavefront6targetE0EEEvS10_.has_dyn_sized_stack, 0
	.set _ZN7rocprim17ROCPRIM_400000_NS6detail17trampoline_kernelINS0_14default_configENS1_21merge_config_selectorINS0_5tupleIJjjEEENS0_10empty_typeEEEZNS1_10merge_implIS3_NS0_12zip_iteratorINS5_IJN6thrust23THRUST_200600_302600_NS6detail15normal_iteratorINSC_10device_ptrIKjEEEESI_EEEEESK_NSA_INS5_IJNSE_INSF_IjEEEESM_EEEEEPS7_SP_SP_NSC_11hip_rocprim7__merge17predicate_wrapperIjjNSC_7greaterIjEEEEEE10hipError_tPvRmT0_T1_T2_T3_T4_T5_mmT6_P12ihipStream_tbEUlT_E0_NS1_11comp_targetILNS1_3genE10ELNS1_11target_archE1200ELNS1_3gpuE4ELNS1_3repE0EEENS1_30default_config_static_selectorELNS0_4arch9wavefront6targetE0EEEvS10_.has_recursion, 0
	.set _ZN7rocprim17ROCPRIM_400000_NS6detail17trampoline_kernelINS0_14default_configENS1_21merge_config_selectorINS0_5tupleIJjjEEENS0_10empty_typeEEEZNS1_10merge_implIS3_NS0_12zip_iteratorINS5_IJN6thrust23THRUST_200600_302600_NS6detail15normal_iteratorINSC_10device_ptrIKjEEEESI_EEEEESK_NSA_INS5_IJNSE_INSF_IjEEEESM_EEEEEPS7_SP_SP_NSC_11hip_rocprim7__merge17predicate_wrapperIjjNSC_7greaterIjEEEEEE10hipError_tPvRmT0_T1_T2_T3_T4_T5_mmT6_P12ihipStream_tbEUlT_E0_NS1_11comp_targetILNS1_3genE10ELNS1_11target_archE1200ELNS1_3gpuE4ELNS1_3repE0EEENS1_30default_config_static_selectorELNS0_4arch9wavefront6targetE0EEEvS10_.has_indirect_call, 0
	.section	.AMDGPU.csdata,"",@progbits
; Kernel info:
; codeLenInByte = 0
; TotalNumSgprs: 0
; NumVgprs: 0
; ScratchSize: 0
; MemoryBound: 0
; FloatMode: 240
; IeeeMode: 1
; LDSByteSize: 0 bytes/workgroup (compile time only)
; SGPRBlocks: 0
; VGPRBlocks: 0
; NumSGPRsForWavesPerEU: 1
; NumVGPRsForWavesPerEU: 1
; NamedBarCnt: 0
; Occupancy: 16
; WaveLimiterHint : 0
; COMPUTE_PGM_RSRC2:SCRATCH_EN: 0
; COMPUTE_PGM_RSRC2:USER_SGPR: 2
; COMPUTE_PGM_RSRC2:TRAP_HANDLER: 0
; COMPUTE_PGM_RSRC2:TGID_X_EN: 1
; COMPUTE_PGM_RSRC2:TGID_Y_EN: 0
; COMPUTE_PGM_RSRC2:TGID_Z_EN: 0
; COMPUTE_PGM_RSRC2:TIDIG_COMP_CNT: 0
	.section	.text._ZN7rocprim17ROCPRIM_400000_NS6detail17trampoline_kernelINS0_14default_configENS1_21merge_config_selectorINS0_5tupleIJjjEEENS0_10empty_typeEEEZNS1_10merge_implIS3_NS0_12zip_iteratorINS5_IJN6thrust23THRUST_200600_302600_NS6detail15normal_iteratorINSC_10device_ptrIKjEEEESI_EEEEESK_NSA_INS5_IJNSE_INSF_IjEEEESM_EEEEEPS7_SP_SP_NSC_11hip_rocprim7__merge17predicate_wrapperIjjNSC_7greaterIjEEEEEE10hipError_tPvRmT0_T1_T2_T3_T4_T5_mmT6_P12ihipStream_tbEUlT_E0_NS1_11comp_targetILNS1_3genE9ELNS1_11target_archE1100ELNS1_3gpuE3ELNS1_3repE0EEENS1_30default_config_static_selectorELNS0_4arch9wavefront6targetE0EEEvS10_,"axG",@progbits,_ZN7rocprim17ROCPRIM_400000_NS6detail17trampoline_kernelINS0_14default_configENS1_21merge_config_selectorINS0_5tupleIJjjEEENS0_10empty_typeEEEZNS1_10merge_implIS3_NS0_12zip_iteratorINS5_IJN6thrust23THRUST_200600_302600_NS6detail15normal_iteratorINSC_10device_ptrIKjEEEESI_EEEEESK_NSA_INS5_IJNSE_INSF_IjEEEESM_EEEEEPS7_SP_SP_NSC_11hip_rocprim7__merge17predicate_wrapperIjjNSC_7greaterIjEEEEEE10hipError_tPvRmT0_T1_T2_T3_T4_T5_mmT6_P12ihipStream_tbEUlT_E0_NS1_11comp_targetILNS1_3genE9ELNS1_11target_archE1100ELNS1_3gpuE3ELNS1_3repE0EEENS1_30default_config_static_selectorELNS0_4arch9wavefront6targetE0EEEvS10_,comdat
	.protected	_ZN7rocprim17ROCPRIM_400000_NS6detail17trampoline_kernelINS0_14default_configENS1_21merge_config_selectorINS0_5tupleIJjjEEENS0_10empty_typeEEEZNS1_10merge_implIS3_NS0_12zip_iteratorINS5_IJN6thrust23THRUST_200600_302600_NS6detail15normal_iteratorINSC_10device_ptrIKjEEEESI_EEEEESK_NSA_INS5_IJNSE_INSF_IjEEEESM_EEEEEPS7_SP_SP_NSC_11hip_rocprim7__merge17predicate_wrapperIjjNSC_7greaterIjEEEEEE10hipError_tPvRmT0_T1_T2_T3_T4_T5_mmT6_P12ihipStream_tbEUlT_E0_NS1_11comp_targetILNS1_3genE9ELNS1_11target_archE1100ELNS1_3gpuE3ELNS1_3repE0EEENS1_30default_config_static_selectorELNS0_4arch9wavefront6targetE0EEEvS10_ ; -- Begin function _ZN7rocprim17ROCPRIM_400000_NS6detail17trampoline_kernelINS0_14default_configENS1_21merge_config_selectorINS0_5tupleIJjjEEENS0_10empty_typeEEEZNS1_10merge_implIS3_NS0_12zip_iteratorINS5_IJN6thrust23THRUST_200600_302600_NS6detail15normal_iteratorINSC_10device_ptrIKjEEEESI_EEEEESK_NSA_INS5_IJNSE_INSF_IjEEEESM_EEEEEPS7_SP_SP_NSC_11hip_rocprim7__merge17predicate_wrapperIjjNSC_7greaterIjEEEEEE10hipError_tPvRmT0_T1_T2_T3_T4_T5_mmT6_P12ihipStream_tbEUlT_E0_NS1_11comp_targetILNS1_3genE9ELNS1_11target_archE1100ELNS1_3gpuE3ELNS1_3repE0EEENS1_30default_config_static_selectorELNS0_4arch9wavefront6targetE0EEEvS10_
	.globl	_ZN7rocprim17ROCPRIM_400000_NS6detail17trampoline_kernelINS0_14default_configENS1_21merge_config_selectorINS0_5tupleIJjjEEENS0_10empty_typeEEEZNS1_10merge_implIS3_NS0_12zip_iteratorINS5_IJN6thrust23THRUST_200600_302600_NS6detail15normal_iteratorINSC_10device_ptrIKjEEEESI_EEEEESK_NSA_INS5_IJNSE_INSF_IjEEEESM_EEEEEPS7_SP_SP_NSC_11hip_rocprim7__merge17predicate_wrapperIjjNSC_7greaterIjEEEEEE10hipError_tPvRmT0_T1_T2_T3_T4_T5_mmT6_P12ihipStream_tbEUlT_E0_NS1_11comp_targetILNS1_3genE9ELNS1_11target_archE1100ELNS1_3gpuE3ELNS1_3repE0EEENS1_30default_config_static_selectorELNS0_4arch9wavefront6targetE0EEEvS10_
	.p2align	8
	.type	_ZN7rocprim17ROCPRIM_400000_NS6detail17trampoline_kernelINS0_14default_configENS1_21merge_config_selectorINS0_5tupleIJjjEEENS0_10empty_typeEEEZNS1_10merge_implIS3_NS0_12zip_iteratorINS5_IJN6thrust23THRUST_200600_302600_NS6detail15normal_iteratorINSC_10device_ptrIKjEEEESI_EEEEESK_NSA_INS5_IJNSE_INSF_IjEEEESM_EEEEEPS7_SP_SP_NSC_11hip_rocprim7__merge17predicate_wrapperIjjNSC_7greaterIjEEEEEE10hipError_tPvRmT0_T1_T2_T3_T4_T5_mmT6_P12ihipStream_tbEUlT_E0_NS1_11comp_targetILNS1_3genE9ELNS1_11target_archE1100ELNS1_3gpuE3ELNS1_3repE0EEENS1_30default_config_static_selectorELNS0_4arch9wavefront6targetE0EEEvS10_,@function
_ZN7rocprim17ROCPRIM_400000_NS6detail17trampoline_kernelINS0_14default_configENS1_21merge_config_selectorINS0_5tupleIJjjEEENS0_10empty_typeEEEZNS1_10merge_implIS3_NS0_12zip_iteratorINS5_IJN6thrust23THRUST_200600_302600_NS6detail15normal_iteratorINSC_10device_ptrIKjEEEESI_EEEEESK_NSA_INS5_IJNSE_INSF_IjEEEESM_EEEEEPS7_SP_SP_NSC_11hip_rocprim7__merge17predicate_wrapperIjjNSC_7greaterIjEEEEEE10hipError_tPvRmT0_T1_T2_T3_T4_T5_mmT6_P12ihipStream_tbEUlT_E0_NS1_11comp_targetILNS1_3genE9ELNS1_11target_archE1100ELNS1_3gpuE3ELNS1_3repE0EEENS1_30default_config_static_selectorELNS0_4arch9wavefront6targetE0EEEvS10_: ; @_ZN7rocprim17ROCPRIM_400000_NS6detail17trampoline_kernelINS0_14default_configENS1_21merge_config_selectorINS0_5tupleIJjjEEENS0_10empty_typeEEEZNS1_10merge_implIS3_NS0_12zip_iteratorINS5_IJN6thrust23THRUST_200600_302600_NS6detail15normal_iteratorINSC_10device_ptrIKjEEEESI_EEEEESK_NSA_INS5_IJNSE_INSF_IjEEEESM_EEEEEPS7_SP_SP_NSC_11hip_rocprim7__merge17predicate_wrapperIjjNSC_7greaterIjEEEEEE10hipError_tPvRmT0_T1_T2_T3_T4_T5_mmT6_P12ihipStream_tbEUlT_E0_NS1_11comp_targetILNS1_3genE9ELNS1_11target_archE1100ELNS1_3gpuE3ELNS1_3repE0EEENS1_30default_config_static_selectorELNS0_4arch9wavefront6targetE0EEEvS10_
; %bb.0:
	.section	.rodata,"a",@progbits
	.p2align	6, 0x0
	.amdhsa_kernel _ZN7rocprim17ROCPRIM_400000_NS6detail17trampoline_kernelINS0_14default_configENS1_21merge_config_selectorINS0_5tupleIJjjEEENS0_10empty_typeEEEZNS1_10merge_implIS3_NS0_12zip_iteratorINS5_IJN6thrust23THRUST_200600_302600_NS6detail15normal_iteratorINSC_10device_ptrIKjEEEESI_EEEEESK_NSA_INS5_IJNSE_INSF_IjEEEESM_EEEEEPS7_SP_SP_NSC_11hip_rocprim7__merge17predicate_wrapperIjjNSC_7greaterIjEEEEEE10hipError_tPvRmT0_T1_T2_T3_T4_T5_mmT6_P12ihipStream_tbEUlT_E0_NS1_11comp_targetILNS1_3genE9ELNS1_11target_archE1100ELNS1_3gpuE3ELNS1_3repE0EEENS1_30default_config_static_selectorELNS0_4arch9wavefront6targetE0EEEvS10_
		.amdhsa_group_segment_fixed_size 0
		.amdhsa_private_segment_fixed_size 0
		.amdhsa_kernarg_size 112
		.amdhsa_user_sgpr_count 2
		.amdhsa_user_sgpr_dispatch_ptr 0
		.amdhsa_user_sgpr_queue_ptr 0
		.amdhsa_user_sgpr_kernarg_segment_ptr 1
		.amdhsa_user_sgpr_dispatch_id 0
		.amdhsa_user_sgpr_kernarg_preload_length 0
		.amdhsa_user_sgpr_kernarg_preload_offset 0
		.amdhsa_user_sgpr_private_segment_size 0
		.amdhsa_wavefront_size32 1
		.amdhsa_uses_dynamic_stack 0
		.amdhsa_enable_private_segment 0
		.amdhsa_system_sgpr_workgroup_id_x 1
		.amdhsa_system_sgpr_workgroup_id_y 0
		.amdhsa_system_sgpr_workgroup_id_z 0
		.amdhsa_system_sgpr_workgroup_info 0
		.amdhsa_system_vgpr_workitem_id 0
		.amdhsa_next_free_vgpr 1
		.amdhsa_next_free_sgpr 1
		.amdhsa_named_barrier_count 0
		.amdhsa_reserve_vcc 0
		.amdhsa_float_round_mode_32 0
		.amdhsa_float_round_mode_16_64 0
		.amdhsa_float_denorm_mode_32 3
		.amdhsa_float_denorm_mode_16_64 3
		.amdhsa_fp16_overflow 0
		.amdhsa_memory_ordered 1
		.amdhsa_forward_progress 1
		.amdhsa_inst_pref_size 0
		.amdhsa_round_robin_scheduling 0
		.amdhsa_exception_fp_ieee_invalid_op 0
		.amdhsa_exception_fp_denorm_src 0
		.amdhsa_exception_fp_ieee_div_zero 0
		.amdhsa_exception_fp_ieee_overflow 0
		.amdhsa_exception_fp_ieee_underflow 0
		.amdhsa_exception_fp_ieee_inexact 0
		.amdhsa_exception_int_div_zero 0
	.end_amdhsa_kernel
	.section	.text._ZN7rocprim17ROCPRIM_400000_NS6detail17trampoline_kernelINS0_14default_configENS1_21merge_config_selectorINS0_5tupleIJjjEEENS0_10empty_typeEEEZNS1_10merge_implIS3_NS0_12zip_iteratorINS5_IJN6thrust23THRUST_200600_302600_NS6detail15normal_iteratorINSC_10device_ptrIKjEEEESI_EEEEESK_NSA_INS5_IJNSE_INSF_IjEEEESM_EEEEEPS7_SP_SP_NSC_11hip_rocprim7__merge17predicate_wrapperIjjNSC_7greaterIjEEEEEE10hipError_tPvRmT0_T1_T2_T3_T4_T5_mmT6_P12ihipStream_tbEUlT_E0_NS1_11comp_targetILNS1_3genE9ELNS1_11target_archE1100ELNS1_3gpuE3ELNS1_3repE0EEENS1_30default_config_static_selectorELNS0_4arch9wavefront6targetE0EEEvS10_,"axG",@progbits,_ZN7rocprim17ROCPRIM_400000_NS6detail17trampoline_kernelINS0_14default_configENS1_21merge_config_selectorINS0_5tupleIJjjEEENS0_10empty_typeEEEZNS1_10merge_implIS3_NS0_12zip_iteratorINS5_IJN6thrust23THRUST_200600_302600_NS6detail15normal_iteratorINSC_10device_ptrIKjEEEESI_EEEEESK_NSA_INS5_IJNSE_INSF_IjEEEESM_EEEEEPS7_SP_SP_NSC_11hip_rocprim7__merge17predicate_wrapperIjjNSC_7greaterIjEEEEEE10hipError_tPvRmT0_T1_T2_T3_T4_T5_mmT6_P12ihipStream_tbEUlT_E0_NS1_11comp_targetILNS1_3genE9ELNS1_11target_archE1100ELNS1_3gpuE3ELNS1_3repE0EEENS1_30default_config_static_selectorELNS0_4arch9wavefront6targetE0EEEvS10_,comdat
.Lfunc_end387:
	.size	_ZN7rocprim17ROCPRIM_400000_NS6detail17trampoline_kernelINS0_14default_configENS1_21merge_config_selectorINS0_5tupleIJjjEEENS0_10empty_typeEEEZNS1_10merge_implIS3_NS0_12zip_iteratorINS5_IJN6thrust23THRUST_200600_302600_NS6detail15normal_iteratorINSC_10device_ptrIKjEEEESI_EEEEESK_NSA_INS5_IJNSE_INSF_IjEEEESM_EEEEEPS7_SP_SP_NSC_11hip_rocprim7__merge17predicate_wrapperIjjNSC_7greaterIjEEEEEE10hipError_tPvRmT0_T1_T2_T3_T4_T5_mmT6_P12ihipStream_tbEUlT_E0_NS1_11comp_targetILNS1_3genE9ELNS1_11target_archE1100ELNS1_3gpuE3ELNS1_3repE0EEENS1_30default_config_static_selectorELNS0_4arch9wavefront6targetE0EEEvS10_, .Lfunc_end387-_ZN7rocprim17ROCPRIM_400000_NS6detail17trampoline_kernelINS0_14default_configENS1_21merge_config_selectorINS0_5tupleIJjjEEENS0_10empty_typeEEEZNS1_10merge_implIS3_NS0_12zip_iteratorINS5_IJN6thrust23THRUST_200600_302600_NS6detail15normal_iteratorINSC_10device_ptrIKjEEEESI_EEEEESK_NSA_INS5_IJNSE_INSF_IjEEEESM_EEEEEPS7_SP_SP_NSC_11hip_rocprim7__merge17predicate_wrapperIjjNSC_7greaterIjEEEEEE10hipError_tPvRmT0_T1_T2_T3_T4_T5_mmT6_P12ihipStream_tbEUlT_E0_NS1_11comp_targetILNS1_3genE9ELNS1_11target_archE1100ELNS1_3gpuE3ELNS1_3repE0EEENS1_30default_config_static_selectorELNS0_4arch9wavefront6targetE0EEEvS10_
                                        ; -- End function
	.set _ZN7rocprim17ROCPRIM_400000_NS6detail17trampoline_kernelINS0_14default_configENS1_21merge_config_selectorINS0_5tupleIJjjEEENS0_10empty_typeEEEZNS1_10merge_implIS3_NS0_12zip_iteratorINS5_IJN6thrust23THRUST_200600_302600_NS6detail15normal_iteratorINSC_10device_ptrIKjEEEESI_EEEEESK_NSA_INS5_IJNSE_INSF_IjEEEESM_EEEEEPS7_SP_SP_NSC_11hip_rocprim7__merge17predicate_wrapperIjjNSC_7greaterIjEEEEEE10hipError_tPvRmT0_T1_T2_T3_T4_T5_mmT6_P12ihipStream_tbEUlT_E0_NS1_11comp_targetILNS1_3genE9ELNS1_11target_archE1100ELNS1_3gpuE3ELNS1_3repE0EEENS1_30default_config_static_selectorELNS0_4arch9wavefront6targetE0EEEvS10_.num_vgpr, 0
	.set _ZN7rocprim17ROCPRIM_400000_NS6detail17trampoline_kernelINS0_14default_configENS1_21merge_config_selectorINS0_5tupleIJjjEEENS0_10empty_typeEEEZNS1_10merge_implIS3_NS0_12zip_iteratorINS5_IJN6thrust23THRUST_200600_302600_NS6detail15normal_iteratorINSC_10device_ptrIKjEEEESI_EEEEESK_NSA_INS5_IJNSE_INSF_IjEEEESM_EEEEEPS7_SP_SP_NSC_11hip_rocprim7__merge17predicate_wrapperIjjNSC_7greaterIjEEEEEE10hipError_tPvRmT0_T1_T2_T3_T4_T5_mmT6_P12ihipStream_tbEUlT_E0_NS1_11comp_targetILNS1_3genE9ELNS1_11target_archE1100ELNS1_3gpuE3ELNS1_3repE0EEENS1_30default_config_static_selectorELNS0_4arch9wavefront6targetE0EEEvS10_.num_agpr, 0
	.set _ZN7rocprim17ROCPRIM_400000_NS6detail17trampoline_kernelINS0_14default_configENS1_21merge_config_selectorINS0_5tupleIJjjEEENS0_10empty_typeEEEZNS1_10merge_implIS3_NS0_12zip_iteratorINS5_IJN6thrust23THRUST_200600_302600_NS6detail15normal_iteratorINSC_10device_ptrIKjEEEESI_EEEEESK_NSA_INS5_IJNSE_INSF_IjEEEESM_EEEEEPS7_SP_SP_NSC_11hip_rocprim7__merge17predicate_wrapperIjjNSC_7greaterIjEEEEEE10hipError_tPvRmT0_T1_T2_T3_T4_T5_mmT6_P12ihipStream_tbEUlT_E0_NS1_11comp_targetILNS1_3genE9ELNS1_11target_archE1100ELNS1_3gpuE3ELNS1_3repE0EEENS1_30default_config_static_selectorELNS0_4arch9wavefront6targetE0EEEvS10_.numbered_sgpr, 0
	.set _ZN7rocprim17ROCPRIM_400000_NS6detail17trampoline_kernelINS0_14default_configENS1_21merge_config_selectorINS0_5tupleIJjjEEENS0_10empty_typeEEEZNS1_10merge_implIS3_NS0_12zip_iteratorINS5_IJN6thrust23THRUST_200600_302600_NS6detail15normal_iteratorINSC_10device_ptrIKjEEEESI_EEEEESK_NSA_INS5_IJNSE_INSF_IjEEEESM_EEEEEPS7_SP_SP_NSC_11hip_rocprim7__merge17predicate_wrapperIjjNSC_7greaterIjEEEEEE10hipError_tPvRmT0_T1_T2_T3_T4_T5_mmT6_P12ihipStream_tbEUlT_E0_NS1_11comp_targetILNS1_3genE9ELNS1_11target_archE1100ELNS1_3gpuE3ELNS1_3repE0EEENS1_30default_config_static_selectorELNS0_4arch9wavefront6targetE0EEEvS10_.num_named_barrier, 0
	.set _ZN7rocprim17ROCPRIM_400000_NS6detail17trampoline_kernelINS0_14default_configENS1_21merge_config_selectorINS0_5tupleIJjjEEENS0_10empty_typeEEEZNS1_10merge_implIS3_NS0_12zip_iteratorINS5_IJN6thrust23THRUST_200600_302600_NS6detail15normal_iteratorINSC_10device_ptrIKjEEEESI_EEEEESK_NSA_INS5_IJNSE_INSF_IjEEEESM_EEEEEPS7_SP_SP_NSC_11hip_rocprim7__merge17predicate_wrapperIjjNSC_7greaterIjEEEEEE10hipError_tPvRmT0_T1_T2_T3_T4_T5_mmT6_P12ihipStream_tbEUlT_E0_NS1_11comp_targetILNS1_3genE9ELNS1_11target_archE1100ELNS1_3gpuE3ELNS1_3repE0EEENS1_30default_config_static_selectorELNS0_4arch9wavefront6targetE0EEEvS10_.private_seg_size, 0
	.set _ZN7rocprim17ROCPRIM_400000_NS6detail17trampoline_kernelINS0_14default_configENS1_21merge_config_selectorINS0_5tupleIJjjEEENS0_10empty_typeEEEZNS1_10merge_implIS3_NS0_12zip_iteratorINS5_IJN6thrust23THRUST_200600_302600_NS6detail15normal_iteratorINSC_10device_ptrIKjEEEESI_EEEEESK_NSA_INS5_IJNSE_INSF_IjEEEESM_EEEEEPS7_SP_SP_NSC_11hip_rocprim7__merge17predicate_wrapperIjjNSC_7greaterIjEEEEEE10hipError_tPvRmT0_T1_T2_T3_T4_T5_mmT6_P12ihipStream_tbEUlT_E0_NS1_11comp_targetILNS1_3genE9ELNS1_11target_archE1100ELNS1_3gpuE3ELNS1_3repE0EEENS1_30default_config_static_selectorELNS0_4arch9wavefront6targetE0EEEvS10_.uses_vcc, 0
	.set _ZN7rocprim17ROCPRIM_400000_NS6detail17trampoline_kernelINS0_14default_configENS1_21merge_config_selectorINS0_5tupleIJjjEEENS0_10empty_typeEEEZNS1_10merge_implIS3_NS0_12zip_iteratorINS5_IJN6thrust23THRUST_200600_302600_NS6detail15normal_iteratorINSC_10device_ptrIKjEEEESI_EEEEESK_NSA_INS5_IJNSE_INSF_IjEEEESM_EEEEEPS7_SP_SP_NSC_11hip_rocprim7__merge17predicate_wrapperIjjNSC_7greaterIjEEEEEE10hipError_tPvRmT0_T1_T2_T3_T4_T5_mmT6_P12ihipStream_tbEUlT_E0_NS1_11comp_targetILNS1_3genE9ELNS1_11target_archE1100ELNS1_3gpuE3ELNS1_3repE0EEENS1_30default_config_static_selectorELNS0_4arch9wavefront6targetE0EEEvS10_.uses_flat_scratch, 0
	.set _ZN7rocprim17ROCPRIM_400000_NS6detail17trampoline_kernelINS0_14default_configENS1_21merge_config_selectorINS0_5tupleIJjjEEENS0_10empty_typeEEEZNS1_10merge_implIS3_NS0_12zip_iteratorINS5_IJN6thrust23THRUST_200600_302600_NS6detail15normal_iteratorINSC_10device_ptrIKjEEEESI_EEEEESK_NSA_INS5_IJNSE_INSF_IjEEEESM_EEEEEPS7_SP_SP_NSC_11hip_rocprim7__merge17predicate_wrapperIjjNSC_7greaterIjEEEEEE10hipError_tPvRmT0_T1_T2_T3_T4_T5_mmT6_P12ihipStream_tbEUlT_E0_NS1_11comp_targetILNS1_3genE9ELNS1_11target_archE1100ELNS1_3gpuE3ELNS1_3repE0EEENS1_30default_config_static_selectorELNS0_4arch9wavefront6targetE0EEEvS10_.has_dyn_sized_stack, 0
	.set _ZN7rocprim17ROCPRIM_400000_NS6detail17trampoline_kernelINS0_14default_configENS1_21merge_config_selectorINS0_5tupleIJjjEEENS0_10empty_typeEEEZNS1_10merge_implIS3_NS0_12zip_iteratorINS5_IJN6thrust23THRUST_200600_302600_NS6detail15normal_iteratorINSC_10device_ptrIKjEEEESI_EEEEESK_NSA_INS5_IJNSE_INSF_IjEEEESM_EEEEEPS7_SP_SP_NSC_11hip_rocprim7__merge17predicate_wrapperIjjNSC_7greaterIjEEEEEE10hipError_tPvRmT0_T1_T2_T3_T4_T5_mmT6_P12ihipStream_tbEUlT_E0_NS1_11comp_targetILNS1_3genE9ELNS1_11target_archE1100ELNS1_3gpuE3ELNS1_3repE0EEENS1_30default_config_static_selectorELNS0_4arch9wavefront6targetE0EEEvS10_.has_recursion, 0
	.set _ZN7rocprim17ROCPRIM_400000_NS6detail17trampoline_kernelINS0_14default_configENS1_21merge_config_selectorINS0_5tupleIJjjEEENS0_10empty_typeEEEZNS1_10merge_implIS3_NS0_12zip_iteratorINS5_IJN6thrust23THRUST_200600_302600_NS6detail15normal_iteratorINSC_10device_ptrIKjEEEESI_EEEEESK_NSA_INS5_IJNSE_INSF_IjEEEESM_EEEEEPS7_SP_SP_NSC_11hip_rocprim7__merge17predicate_wrapperIjjNSC_7greaterIjEEEEEE10hipError_tPvRmT0_T1_T2_T3_T4_T5_mmT6_P12ihipStream_tbEUlT_E0_NS1_11comp_targetILNS1_3genE9ELNS1_11target_archE1100ELNS1_3gpuE3ELNS1_3repE0EEENS1_30default_config_static_selectorELNS0_4arch9wavefront6targetE0EEEvS10_.has_indirect_call, 0
	.section	.AMDGPU.csdata,"",@progbits
; Kernel info:
; codeLenInByte = 0
; TotalNumSgprs: 0
; NumVgprs: 0
; ScratchSize: 0
; MemoryBound: 0
; FloatMode: 240
; IeeeMode: 1
; LDSByteSize: 0 bytes/workgroup (compile time only)
; SGPRBlocks: 0
; VGPRBlocks: 0
; NumSGPRsForWavesPerEU: 1
; NumVGPRsForWavesPerEU: 1
; NamedBarCnt: 0
; Occupancy: 16
; WaveLimiterHint : 0
; COMPUTE_PGM_RSRC2:SCRATCH_EN: 0
; COMPUTE_PGM_RSRC2:USER_SGPR: 2
; COMPUTE_PGM_RSRC2:TRAP_HANDLER: 0
; COMPUTE_PGM_RSRC2:TGID_X_EN: 1
; COMPUTE_PGM_RSRC2:TGID_Y_EN: 0
; COMPUTE_PGM_RSRC2:TGID_Z_EN: 0
; COMPUTE_PGM_RSRC2:TIDIG_COMP_CNT: 0
	.section	.text._ZN7rocprim17ROCPRIM_400000_NS6detail17trampoline_kernelINS0_14default_configENS1_21merge_config_selectorINS0_5tupleIJjjEEENS0_10empty_typeEEEZNS1_10merge_implIS3_NS0_12zip_iteratorINS5_IJN6thrust23THRUST_200600_302600_NS6detail15normal_iteratorINSC_10device_ptrIKjEEEESI_EEEEESK_NSA_INS5_IJNSE_INSF_IjEEEESM_EEEEEPS7_SP_SP_NSC_11hip_rocprim7__merge17predicate_wrapperIjjNSC_7greaterIjEEEEEE10hipError_tPvRmT0_T1_T2_T3_T4_T5_mmT6_P12ihipStream_tbEUlT_E0_NS1_11comp_targetILNS1_3genE8ELNS1_11target_archE1030ELNS1_3gpuE2ELNS1_3repE0EEENS1_30default_config_static_selectorELNS0_4arch9wavefront6targetE0EEEvS10_,"axG",@progbits,_ZN7rocprim17ROCPRIM_400000_NS6detail17trampoline_kernelINS0_14default_configENS1_21merge_config_selectorINS0_5tupleIJjjEEENS0_10empty_typeEEEZNS1_10merge_implIS3_NS0_12zip_iteratorINS5_IJN6thrust23THRUST_200600_302600_NS6detail15normal_iteratorINSC_10device_ptrIKjEEEESI_EEEEESK_NSA_INS5_IJNSE_INSF_IjEEEESM_EEEEEPS7_SP_SP_NSC_11hip_rocprim7__merge17predicate_wrapperIjjNSC_7greaterIjEEEEEE10hipError_tPvRmT0_T1_T2_T3_T4_T5_mmT6_P12ihipStream_tbEUlT_E0_NS1_11comp_targetILNS1_3genE8ELNS1_11target_archE1030ELNS1_3gpuE2ELNS1_3repE0EEENS1_30default_config_static_selectorELNS0_4arch9wavefront6targetE0EEEvS10_,comdat
	.protected	_ZN7rocprim17ROCPRIM_400000_NS6detail17trampoline_kernelINS0_14default_configENS1_21merge_config_selectorINS0_5tupleIJjjEEENS0_10empty_typeEEEZNS1_10merge_implIS3_NS0_12zip_iteratorINS5_IJN6thrust23THRUST_200600_302600_NS6detail15normal_iteratorINSC_10device_ptrIKjEEEESI_EEEEESK_NSA_INS5_IJNSE_INSF_IjEEEESM_EEEEEPS7_SP_SP_NSC_11hip_rocprim7__merge17predicate_wrapperIjjNSC_7greaterIjEEEEEE10hipError_tPvRmT0_T1_T2_T3_T4_T5_mmT6_P12ihipStream_tbEUlT_E0_NS1_11comp_targetILNS1_3genE8ELNS1_11target_archE1030ELNS1_3gpuE2ELNS1_3repE0EEENS1_30default_config_static_selectorELNS0_4arch9wavefront6targetE0EEEvS10_ ; -- Begin function _ZN7rocprim17ROCPRIM_400000_NS6detail17trampoline_kernelINS0_14default_configENS1_21merge_config_selectorINS0_5tupleIJjjEEENS0_10empty_typeEEEZNS1_10merge_implIS3_NS0_12zip_iteratorINS5_IJN6thrust23THRUST_200600_302600_NS6detail15normal_iteratorINSC_10device_ptrIKjEEEESI_EEEEESK_NSA_INS5_IJNSE_INSF_IjEEEESM_EEEEEPS7_SP_SP_NSC_11hip_rocprim7__merge17predicate_wrapperIjjNSC_7greaterIjEEEEEE10hipError_tPvRmT0_T1_T2_T3_T4_T5_mmT6_P12ihipStream_tbEUlT_E0_NS1_11comp_targetILNS1_3genE8ELNS1_11target_archE1030ELNS1_3gpuE2ELNS1_3repE0EEENS1_30default_config_static_selectorELNS0_4arch9wavefront6targetE0EEEvS10_
	.globl	_ZN7rocprim17ROCPRIM_400000_NS6detail17trampoline_kernelINS0_14default_configENS1_21merge_config_selectorINS0_5tupleIJjjEEENS0_10empty_typeEEEZNS1_10merge_implIS3_NS0_12zip_iteratorINS5_IJN6thrust23THRUST_200600_302600_NS6detail15normal_iteratorINSC_10device_ptrIKjEEEESI_EEEEESK_NSA_INS5_IJNSE_INSF_IjEEEESM_EEEEEPS7_SP_SP_NSC_11hip_rocprim7__merge17predicate_wrapperIjjNSC_7greaterIjEEEEEE10hipError_tPvRmT0_T1_T2_T3_T4_T5_mmT6_P12ihipStream_tbEUlT_E0_NS1_11comp_targetILNS1_3genE8ELNS1_11target_archE1030ELNS1_3gpuE2ELNS1_3repE0EEENS1_30default_config_static_selectorELNS0_4arch9wavefront6targetE0EEEvS10_
	.p2align	8
	.type	_ZN7rocprim17ROCPRIM_400000_NS6detail17trampoline_kernelINS0_14default_configENS1_21merge_config_selectorINS0_5tupleIJjjEEENS0_10empty_typeEEEZNS1_10merge_implIS3_NS0_12zip_iteratorINS5_IJN6thrust23THRUST_200600_302600_NS6detail15normal_iteratorINSC_10device_ptrIKjEEEESI_EEEEESK_NSA_INS5_IJNSE_INSF_IjEEEESM_EEEEEPS7_SP_SP_NSC_11hip_rocprim7__merge17predicate_wrapperIjjNSC_7greaterIjEEEEEE10hipError_tPvRmT0_T1_T2_T3_T4_T5_mmT6_P12ihipStream_tbEUlT_E0_NS1_11comp_targetILNS1_3genE8ELNS1_11target_archE1030ELNS1_3gpuE2ELNS1_3repE0EEENS1_30default_config_static_selectorELNS0_4arch9wavefront6targetE0EEEvS10_,@function
_ZN7rocprim17ROCPRIM_400000_NS6detail17trampoline_kernelINS0_14default_configENS1_21merge_config_selectorINS0_5tupleIJjjEEENS0_10empty_typeEEEZNS1_10merge_implIS3_NS0_12zip_iteratorINS5_IJN6thrust23THRUST_200600_302600_NS6detail15normal_iteratorINSC_10device_ptrIKjEEEESI_EEEEESK_NSA_INS5_IJNSE_INSF_IjEEEESM_EEEEEPS7_SP_SP_NSC_11hip_rocprim7__merge17predicate_wrapperIjjNSC_7greaterIjEEEEEE10hipError_tPvRmT0_T1_T2_T3_T4_T5_mmT6_P12ihipStream_tbEUlT_E0_NS1_11comp_targetILNS1_3genE8ELNS1_11target_archE1030ELNS1_3gpuE2ELNS1_3repE0EEENS1_30default_config_static_selectorELNS0_4arch9wavefront6targetE0EEEvS10_: ; @_ZN7rocprim17ROCPRIM_400000_NS6detail17trampoline_kernelINS0_14default_configENS1_21merge_config_selectorINS0_5tupleIJjjEEENS0_10empty_typeEEEZNS1_10merge_implIS3_NS0_12zip_iteratorINS5_IJN6thrust23THRUST_200600_302600_NS6detail15normal_iteratorINSC_10device_ptrIKjEEEESI_EEEEESK_NSA_INS5_IJNSE_INSF_IjEEEESM_EEEEEPS7_SP_SP_NSC_11hip_rocprim7__merge17predicate_wrapperIjjNSC_7greaterIjEEEEEE10hipError_tPvRmT0_T1_T2_T3_T4_T5_mmT6_P12ihipStream_tbEUlT_E0_NS1_11comp_targetILNS1_3genE8ELNS1_11target_archE1030ELNS1_3gpuE2ELNS1_3repE0EEENS1_30default_config_static_selectorELNS0_4arch9wavefront6targetE0EEEvS10_
; %bb.0:
	.section	.rodata,"a",@progbits
	.p2align	6, 0x0
	.amdhsa_kernel _ZN7rocprim17ROCPRIM_400000_NS6detail17trampoline_kernelINS0_14default_configENS1_21merge_config_selectorINS0_5tupleIJjjEEENS0_10empty_typeEEEZNS1_10merge_implIS3_NS0_12zip_iteratorINS5_IJN6thrust23THRUST_200600_302600_NS6detail15normal_iteratorINSC_10device_ptrIKjEEEESI_EEEEESK_NSA_INS5_IJNSE_INSF_IjEEEESM_EEEEEPS7_SP_SP_NSC_11hip_rocprim7__merge17predicate_wrapperIjjNSC_7greaterIjEEEEEE10hipError_tPvRmT0_T1_T2_T3_T4_T5_mmT6_P12ihipStream_tbEUlT_E0_NS1_11comp_targetILNS1_3genE8ELNS1_11target_archE1030ELNS1_3gpuE2ELNS1_3repE0EEENS1_30default_config_static_selectorELNS0_4arch9wavefront6targetE0EEEvS10_
		.amdhsa_group_segment_fixed_size 0
		.amdhsa_private_segment_fixed_size 0
		.amdhsa_kernarg_size 112
		.amdhsa_user_sgpr_count 2
		.amdhsa_user_sgpr_dispatch_ptr 0
		.amdhsa_user_sgpr_queue_ptr 0
		.amdhsa_user_sgpr_kernarg_segment_ptr 1
		.amdhsa_user_sgpr_dispatch_id 0
		.amdhsa_user_sgpr_kernarg_preload_length 0
		.amdhsa_user_sgpr_kernarg_preload_offset 0
		.amdhsa_user_sgpr_private_segment_size 0
		.amdhsa_wavefront_size32 1
		.amdhsa_uses_dynamic_stack 0
		.amdhsa_enable_private_segment 0
		.amdhsa_system_sgpr_workgroup_id_x 1
		.amdhsa_system_sgpr_workgroup_id_y 0
		.amdhsa_system_sgpr_workgroup_id_z 0
		.amdhsa_system_sgpr_workgroup_info 0
		.amdhsa_system_vgpr_workitem_id 0
		.amdhsa_next_free_vgpr 1
		.amdhsa_next_free_sgpr 1
		.amdhsa_named_barrier_count 0
		.amdhsa_reserve_vcc 0
		.amdhsa_float_round_mode_32 0
		.amdhsa_float_round_mode_16_64 0
		.amdhsa_float_denorm_mode_32 3
		.amdhsa_float_denorm_mode_16_64 3
		.amdhsa_fp16_overflow 0
		.amdhsa_memory_ordered 1
		.amdhsa_forward_progress 1
		.amdhsa_inst_pref_size 0
		.amdhsa_round_robin_scheduling 0
		.amdhsa_exception_fp_ieee_invalid_op 0
		.amdhsa_exception_fp_denorm_src 0
		.amdhsa_exception_fp_ieee_div_zero 0
		.amdhsa_exception_fp_ieee_overflow 0
		.amdhsa_exception_fp_ieee_underflow 0
		.amdhsa_exception_fp_ieee_inexact 0
		.amdhsa_exception_int_div_zero 0
	.end_amdhsa_kernel
	.section	.text._ZN7rocprim17ROCPRIM_400000_NS6detail17trampoline_kernelINS0_14default_configENS1_21merge_config_selectorINS0_5tupleIJjjEEENS0_10empty_typeEEEZNS1_10merge_implIS3_NS0_12zip_iteratorINS5_IJN6thrust23THRUST_200600_302600_NS6detail15normal_iteratorINSC_10device_ptrIKjEEEESI_EEEEESK_NSA_INS5_IJNSE_INSF_IjEEEESM_EEEEEPS7_SP_SP_NSC_11hip_rocprim7__merge17predicate_wrapperIjjNSC_7greaterIjEEEEEE10hipError_tPvRmT0_T1_T2_T3_T4_T5_mmT6_P12ihipStream_tbEUlT_E0_NS1_11comp_targetILNS1_3genE8ELNS1_11target_archE1030ELNS1_3gpuE2ELNS1_3repE0EEENS1_30default_config_static_selectorELNS0_4arch9wavefront6targetE0EEEvS10_,"axG",@progbits,_ZN7rocprim17ROCPRIM_400000_NS6detail17trampoline_kernelINS0_14default_configENS1_21merge_config_selectorINS0_5tupleIJjjEEENS0_10empty_typeEEEZNS1_10merge_implIS3_NS0_12zip_iteratorINS5_IJN6thrust23THRUST_200600_302600_NS6detail15normal_iteratorINSC_10device_ptrIKjEEEESI_EEEEESK_NSA_INS5_IJNSE_INSF_IjEEEESM_EEEEEPS7_SP_SP_NSC_11hip_rocprim7__merge17predicate_wrapperIjjNSC_7greaterIjEEEEEE10hipError_tPvRmT0_T1_T2_T3_T4_T5_mmT6_P12ihipStream_tbEUlT_E0_NS1_11comp_targetILNS1_3genE8ELNS1_11target_archE1030ELNS1_3gpuE2ELNS1_3repE0EEENS1_30default_config_static_selectorELNS0_4arch9wavefront6targetE0EEEvS10_,comdat
.Lfunc_end388:
	.size	_ZN7rocprim17ROCPRIM_400000_NS6detail17trampoline_kernelINS0_14default_configENS1_21merge_config_selectorINS0_5tupleIJjjEEENS0_10empty_typeEEEZNS1_10merge_implIS3_NS0_12zip_iteratorINS5_IJN6thrust23THRUST_200600_302600_NS6detail15normal_iteratorINSC_10device_ptrIKjEEEESI_EEEEESK_NSA_INS5_IJNSE_INSF_IjEEEESM_EEEEEPS7_SP_SP_NSC_11hip_rocprim7__merge17predicate_wrapperIjjNSC_7greaterIjEEEEEE10hipError_tPvRmT0_T1_T2_T3_T4_T5_mmT6_P12ihipStream_tbEUlT_E0_NS1_11comp_targetILNS1_3genE8ELNS1_11target_archE1030ELNS1_3gpuE2ELNS1_3repE0EEENS1_30default_config_static_selectorELNS0_4arch9wavefront6targetE0EEEvS10_, .Lfunc_end388-_ZN7rocprim17ROCPRIM_400000_NS6detail17trampoline_kernelINS0_14default_configENS1_21merge_config_selectorINS0_5tupleIJjjEEENS0_10empty_typeEEEZNS1_10merge_implIS3_NS0_12zip_iteratorINS5_IJN6thrust23THRUST_200600_302600_NS6detail15normal_iteratorINSC_10device_ptrIKjEEEESI_EEEEESK_NSA_INS5_IJNSE_INSF_IjEEEESM_EEEEEPS7_SP_SP_NSC_11hip_rocprim7__merge17predicate_wrapperIjjNSC_7greaterIjEEEEEE10hipError_tPvRmT0_T1_T2_T3_T4_T5_mmT6_P12ihipStream_tbEUlT_E0_NS1_11comp_targetILNS1_3genE8ELNS1_11target_archE1030ELNS1_3gpuE2ELNS1_3repE0EEENS1_30default_config_static_selectorELNS0_4arch9wavefront6targetE0EEEvS10_
                                        ; -- End function
	.set _ZN7rocprim17ROCPRIM_400000_NS6detail17trampoline_kernelINS0_14default_configENS1_21merge_config_selectorINS0_5tupleIJjjEEENS0_10empty_typeEEEZNS1_10merge_implIS3_NS0_12zip_iteratorINS5_IJN6thrust23THRUST_200600_302600_NS6detail15normal_iteratorINSC_10device_ptrIKjEEEESI_EEEEESK_NSA_INS5_IJNSE_INSF_IjEEEESM_EEEEEPS7_SP_SP_NSC_11hip_rocprim7__merge17predicate_wrapperIjjNSC_7greaterIjEEEEEE10hipError_tPvRmT0_T1_T2_T3_T4_T5_mmT6_P12ihipStream_tbEUlT_E0_NS1_11comp_targetILNS1_3genE8ELNS1_11target_archE1030ELNS1_3gpuE2ELNS1_3repE0EEENS1_30default_config_static_selectorELNS0_4arch9wavefront6targetE0EEEvS10_.num_vgpr, 0
	.set _ZN7rocprim17ROCPRIM_400000_NS6detail17trampoline_kernelINS0_14default_configENS1_21merge_config_selectorINS0_5tupleIJjjEEENS0_10empty_typeEEEZNS1_10merge_implIS3_NS0_12zip_iteratorINS5_IJN6thrust23THRUST_200600_302600_NS6detail15normal_iteratorINSC_10device_ptrIKjEEEESI_EEEEESK_NSA_INS5_IJNSE_INSF_IjEEEESM_EEEEEPS7_SP_SP_NSC_11hip_rocprim7__merge17predicate_wrapperIjjNSC_7greaterIjEEEEEE10hipError_tPvRmT0_T1_T2_T3_T4_T5_mmT6_P12ihipStream_tbEUlT_E0_NS1_11comp_targetILNS1_3genE8ELNS1_11target_archE1030ELNS1_3gpuE2ELNS1_3repE0EEENS1_30default_config_static_selectorELNS0_4arch9wavefront6targetE0EEEvS10_.num_agpr, 0
	.set _ZN7rocprim17ROCPRIM_400000_NS6detail17trampoline_kernelINS0_14default_configENS1_21merge_config_selectorINS0_5tupleIJjjEEENS0_10empty_typeEEEZNS1_10merge_implIS3_NS0_12zip_iteratorINS5_IJN6thrust23THRUST_200600_302600_NS6detail15normal_iteratorINSC_10device_ptrIKjEEEESI_EEEEESK_NSA_INS5_IJNSE_INSF_IjEEEESM_EEEEEPS7_SP_SP_NSC_11hip_rocprim7__merge17predicate_wrapperIjjNSC_7greaterIjEEEEEE10hipError_tPvRmT0_T1_T2_T3_T4_T5_mmT6_P12ihipStream_tbEUlT_E0_NS1_11comp_targetILNS1_3genE8ELNS1_11target_archE1030ELNS1_3gpuE2ELNS1_3repE0EEENS1_30default_config_static_selectorELNS0_4arch9wavefront6targetE0EEEvS10_.numbered_sgpr, 0
	.set _ZN7rocprim17ROCPRIM_400000_NS6detail17trampoline_kernelINS0_14default_configENS1_21merge_config_selectorINS0_5tupleIJjjEEENS0_10empty_typeEEEZNS1_10merge_implIS3_NS0_12zip_iteratorINS5_IJN6thrust23THRUST_200600_302600_NS6detail15normal_iteratorINSC_10device_ptrIKjEEEESI_EEEEESK_NSA_INS5_IJNSE_INSF_IjEEEESM_EEEEEPS7_SP_SP_NSC_11hip_rocprim7__merge17predicate_wrapperIjjNSC_7greaterIjEEEEEE10hipError_tPvRmT0_T1_T2_T3_T4_T5_mmT6_P12ihipStream_tbEUlT_E0_NS1_11comp_targetILNS1_3genE8ELNS1_11target_archE1030ELNS1_3gpuE2ELNS1_3repE0EEENS1_30default_config_static_selectorELNS0_4arch9wavefront6targetE0EEEvS10_.num_named_barrier, 0
	.set _ZN7rocprim17ROCPRIM_400000_NS6detail17trampoline_kernelINS0_14default_configENS1_21merge_config_selectorINS0_5tupleIJjjEEENS0_10empty_typeEEEZNS1_10merge_implIS3_NS0_12zip_iteratorINS5_IJN6thrust23THRUST_200600_302600_NS6detail15normal_iteratorINSC_10device_ptrIKjEEEESI_EEEEESK_NSA_INS5_IJNSE_INSF_IjEEEESM_EEEEEPS7_SP_SP_NSC_11hip_rocprim7__merge17predicate_wrapperIjjNSC_7greaterIjEEEEEE10hipError_tPvRmT0_T1_T2_T3_T4_T5_mmT6_P12ihipStream_tbEUlT_E0_NS1_11comp_targetILNS1_3genE8ELNS1_11target_archE1030ELNS1_3gpuE2ELNS1_3repE0EEENS1_30default_config_static_selectorELNS0_4arch9wavefront6targetE0EEEvS10_.private_seg_size, 0
	.set _ZN7rocprim17ROCPRIM_400000_NS6detail17trampoline_kernelINS0_14default_configENS1_21merge_config_selectorINS0_5tupleIJjjEEENS0_10empty_typeEEEZNS1_10merge_implIS3_NS0_12zip_iteratorINS5_IJN6thrust23THRUST_200600_302600_NS6detail15normal_iteratorINSC_10device_ptrIKjEEEESI_EEEEESK_NSA_INS5_IJNSE_INSF_IjEEEESM_EEEEEPS7_SP_SP_NSC_11hip_rocprim7__merge17predicate_wrapperIjjNSC_7greaterIjEEEEEE10hipError_tPvRmT0_T1_T2_T3_T4_T5_mmT6_P12ihipStream_tbEUlT_E0_NS1_11comp_targetILNS1_3genE8ELNS1_11target_archE1030ELNS1_3gpuE2ELNS1_3repE0EEENS1_30default_config_static_selectorELNS0_4arch9wavefront6targetE0EEEvS10_.uses_vcc, 0
	.set _ZN7rocprim17ROCPRIM_400000_NS6detail17trampoline_kernelINS0_14default_configENS1_21merge_config_selectorINS0_5tupleIJjjEEENS0_10empty_typeEEEZNS1_10merge_implIS3_NS0_12zip_iteratorINS5_IJN6thrust23THRUST_200600_302600_NS6detail15normal_iteratorINSC_10device_ptrIKjEEEESI_EEEEESK_NSA_INS5_IJNSE_INSF_IjEEEESM_EEEEEPS7_SP_SP_NSC_11hip_rocprim7__merge17predicate_wrapperIjjNSC_7greaterIjEEEEEE10hipError_tPvRmT0_T1_T2_T3_T4_T5_mmT6_P12ihipStream_tbEUlT_E0_NS1_11comp_targetILNS1_3genE8ELNS1_11target_archE1030ELNS1_3gpuE2ELNS1_3repE0EEENS1_30default_config_static_selectorELNS0_4arch9wavefront6targetE0EEEvS10_.uses_flat_scratch, 0
	.set _ZN7rocprim17ROCPRIM_400000_NS6detail17trampoline_kernelINS0_14default_configENS1_21merge_config_selectorINS0_5tupleIJjjEEENS0_10empty_typeEEEZNS1_10merge_implIS3_NS0_12zip_iteratorINS5_IJN6thrust23THRUST_200600_302600_NS6detail15normal_iteratorINSC_10device_ptrIKjEEEESI_EEEEESK_NSA_INS5_IJNSE_INSF_IjEEEESM_EEEEEPS7_SP_SP_NSC_11hip_rocprim7__merge17predicate_wrapperIjjNSC_7greaterIjEEEEEE10hipError_tPvRmT0_T1_T2_T3_T4_T5_mmT6_P12ihipStream_tbEUlT_E0_NS1_11comp_targetILNS1_3genE8ELNS1_11target_archE1030ELNS1_3gpuE2ELNS1_3repE0EEENS1_30default_config_static_selectorELNS0_4arch9wavefront6targetE0EEEvS10_.has_dyn_sized_stack, 0
	.set _ZN7rocprim17ROCPRIM_400000_NS6detail17trampoline_kernelINS0_14default_configENS1_21merge_config_selectorINS0_5tupleIJjjEEENS0_10empty_typeEEEZNS1_10merge_implIS3_NS0_12zip_iteratorINS5_IJN6thrust23THRUST_200600_302600_NS6detail15normal_iteratorINSC_10device_ptrIKjEEEESI_EEEEESK_NSA_INS5_IJNSE_INSF_IjEEEESM_EEEEEPS7_SP_SP_NSC_11hip_rocprim7__merge17predicate_wrapperIjjNSC_7greaterIjEEEEEE10hipError_tPvRmT0_T1_T2_T3_T4_T5_mmT6_P12ihipStream_tbEUlT_E0_NS1_11comp_targetILNS1_3genE8ELNS1_11target_archE1030ELNS1_3gpuE2ELNS1_3repE0EEENS1_30default_config_static_selectorELNS0_4arch9wavefront6targetE0EEEvS10_.has_recursion, 0
	.set _ZN7rocprim17ROCPRIM_400000_NS6detail17trampoline_kernelINS0_14default_configENS1_21merge_config_selectorINS0_5tupleIJjjEEENS0_10empty_typeEEEZNS1_10merge_implIS3_NS0_12zip_iteratorINS5_IJN6thrust23THRUST_200600_302600_NS6detail15normal_iteratorINSC_10device_ptrIKjEEEESI_EEEEESK_NSA_INS5_IJNSE_INSF_IjEEEESM_EEEEEPS7_SP_SP_NSC_11hip_rocprim7__merge17predicate_wrapperIjjNSC_7greaterIjEEEEEE10hipError_tPvRmT0_T1_T2_T3_T4_T5_mmT6_P12ihipStream_tbEUlT_E0_NS1_11comp_targetILNS1_3genE8ELNS1_11target_archE1030ELNS1_3gpuE2ELNS1_3repE0EEENS1_30default_config_static_selectorELNS0_4arch9wavefront6targetE0EEEvS10_.has_indirect_call, 0
	.section	.AMDGPU.csdata,"",@progbits
; Kernel info:
; codeLenInByte = 0
; TotalNumSgprs: 0
; NumVgprs: 0
; ScratchSize: 0
; MemoryBound: 0
; FloatMode: 240
; IeeeMode: 1
; LDSByteSize: 0 bytes/workgroup (compile time only)
; SGPRBlocks: 0
; VGPRBlocks: 0
; NumSGPRsForWavesPerEU: 1
; NumVGPRsForWavesPerEU: 1
; NamedBarCnt: 0
; Occupancy: 16
; WaveLimiterHint : 0
; COMPUTE_PGM_RSRC2:SCRATCH_EN: 0
; COMPUTE_PGM_RSRC2:USER_SGPR: 2
; COMPUTE_PGM_RSRC2:TRAP_HANDLER: 0
; COMPUTE_PGM_RSRC2:TGID_X_EN: 1
; COMPUTE_PGM_RSRC2:TGID_Y_EN: 0
; COMPUTE_PGM_RSRC2:TGID_Z_EN: 0
; COMPUTE_PGM_RSRC2:TIDIG_COMP_CNT: 0
	.section	.text._ZN7rocprim17ROCPRIM_400000_NS6detail17trampoline_kernelINS0_14default_configENS1_21merge_config_selectorINS0_5tupleIJttEEENS0_10empty_typeEEEZNS1_10merge_implIS3_NS0_12zip_iteratorINS5_IJN6thrust23THRUST_200600_302600_NS6detail15normal_iteratorINSC_10device_ptrIKtEEEESI_EEEEESK_NSA_INS5_IJNSE_INSF_ItEEEESM_EEEEEPS7_SP_SP_NSC_11hip_rocprim7__merge17predicate_wrapperIttNSC_7greaterItEEEEEE10hipError_tPvRmT0_T1_T2_T3_T4_T5_mmT6_P12ihipStream_tbEUlT_E_NS1_11comp_targetILNS1_3genE0ELNS1_11target_archE4294967295ELNS1_3gpuE0ELNS1_3repE0EEENS1_30default_config_static_selectorELNS0_4arch9wavefront6targetE0EEEvS10_,"axG",@progbits,_ZN7rocprim17ROCPRIM_400000_NS6detail17trampoline_kernelINS0_14default_configENS1_21merge_config_selectorINS0_5tupleIJttEEENS0_10empty_typeEEEZNS1_10merge_implIS3_NS0_12zip_iteratorINS5_IJN6thrust23THRUST_200600_302600_NS6detail15normal_iteratorINSC_10device_ptrIKtEEEESI_EEEEESK_NSA_INS5_IJNSE_INSF_ItEEEESM_EEEEEPS7_SP_SP_NSC_11hip_rocprim7__merge17predicate_wrapperIttNSC_7greaterItEEEEEE10hipError_tPvRmT0_T1_T2_T3_T4_T5_mmT6_P12ihipStream_tbEUlT_E_NS1_11comp_targetILNS1_3genE0ELNS1_11target_archE4294967295ELNS1_3gpuE0ELNS1_3repE0EEENS1_30default_config_static_selectorELNS0_4arch9wavefront6targetE0EEEvS10_,comdat
	.protected	_ZN7rocprim17ROCPRIM_400000_NS6detail17trampoline_kernelINS0_14default_configENS1_21merge_config_selectorINS0_5tupleIJttEEENS0_10empty_typeEEEZNS1_10merge_implIS3_NS0_12zip_iteratorINS5_IJN6thrust23THRUST_200600_302600_NS6detail15normal_iteratorINSC_10device_ptrIKtEEEESI_EEEEESK_NSA_INS5_IJNSE_INSF_ItEEEESM_EEEEEPS7_SP_SP_NSC_11hip_rocprim7__merge17predicate_wrapperIttNSC_7greaterItEEEEEE10hipError_tPvRmT0_T1_T2_T3_T4_T5_mmT6_P12ihipStream_tbEUlT_E_NS1_11comp_targetILNS1_3genE0ELNS1_11target_archE4294967295ELNS1_3gpuE0ELNS1_3repE0EEENS1_30default_config_static_selectorELNS0_4arch9wavefront6targetE0EEEvS10_ ; -- Begin function _ZN7rocprim17ROCPRIM_400000_NS6detail17trampoline_kernelINS0_14default_configENS1_21merge_config_selectorINS0_5tupleIJttEEENS0_10empty_typeEEEZNS1_10merge_implIS3_NS0_12zip_iteratorINS5_IJN6thrust23THRUST_200600_302600_NS6detail15normal_iteratorINSC_10device_ptrIKtEEEESI_EEEEESK_NSA_INS5_IJNSE_INSF_ItEEEESM_EEEEEPS7_SP_SP_NSC_11hip_rocprim7__merge17predicate_wrapperIttNSC_7greaterItEEEEEE10hipError_tPvRmT0_T1_T2_T3_T4_T5_mmT6_P12ihipStream_tbEUlT_E_NS1_11comp_targetILNS1_3genE0ELNS1_11target_archE4294967295ELNS1_3gpuE0ELNS1_3repE0EEENS1_30default_config_static_selectorELNS0_4arch9wavefront6targetE0EEEvS10_
	.globl	_ZN7rocprim17ROCPRIM_400000_NS6detail17trampoline_kernelINS0_14default_configENS1_21merge_config_selectorINS0_5tupleIJttEEENS0_10empty_typeEEEZNS1_10merge_implIS3_NS0_12zip_iteratorINS5_IJN6thrust23THRUST_200600_302600_NS6detail15normal_iteratorINSC_10device_ptrIKtEEEESI_EEEEESK_NSA_INS5_IJNSE_INSF_ItEEEESM_EEEEEPS7_SP_SP_NSC_11hip_rocprim7__merge17predicate_wrapperIttNSC_7greaterItEEEEEE10hipError_tPvRmT0_T1_T2_T3_T4_T5_mmT6_P12ihipStream_tbEUlT_E_NS1_11comp_targetILNS1_3genE0ELNS1_11target_archE4294967295ELNS1_3gpuE0ELNS1_3repE0EEENS1_30default_config_static_selectorELNS0_4arch9wavefront6targetE0EEEvS10_
	.p2align	8
	.type	_ZN7rocprim17ROCPRIM_400000_NS6detail17trampoline_kernelINS0_14default_configENS1_21merge_config_selectorINS0_5tupleIJttEEENS0_10empty_typeEEEZNS1_10merge_implIS3_NS0_12zip_iteratorINS5_IJN6thrust23THRUST_200600_302600_NS6detail15normal_iteratorINSC_10device_ptrIKtEEEESI_EEEEESK_NSA_INS5_IJNSE_INSF_ItEEEESM_EEEEEPS7_SP_SP_NSC_11hip_rocprim7__merge17predicate_wrapperIttNSC_7greaterItEEEEEE10hipError_tPvRmT0_T1_T2_T3_T4_T5_mmT6_P12ihipStream_tbEUlT_E_NS1_11comp_targetILNS1_3genE0ELNS1_11target_archE4294967295ELNS1_3gpuE0ELNS1_3repE0EEENS1_30default_config_static_selectorELNS0_4arch9wavefront6targetE0EEEvS10_,@function
_ZN7rocprim17ROCPRIM_400000_NS6detail17trampoline_kernelINS0_14default_configENS1_21merge_config_selectorINS0_5tupleIJttEEENS0_10empty_typeEEEZNS1_10merge_implIS3_NS0_12zip_iteratorINS5_IJN6thrust23THRUST_200600_302600_NS6detail15normal_iteratorINSC_10device_ptrIKtEEEESI_EEEEESK_NSA_INS5_IJNSE_INSF_ItEEEESM_EEEEEPS7_SP_SP_NSC_11hip_rocprim7__merge17predicate_wrapperIttNSC_7greaterItEEEEEE10hipError_tPvRmT0_T1_T2_T3_T4_T5_mmT6_P12ihipStream_tbEUlT_E_NS1_11comp_targetILNS1_3genE0ELNS1_11target_archE4294967295ELNS1_3gpuE0ELNS1_3repE0EEENS1_30default_config_static_selectorELNS0_4arch9wavefront6targetE0EEEvS10_: ; @_ZN7rocprim17ROCPRIM_400000_NS6detail17trampoline_kernelINS0_14default_configENS1_21merge_config_selectorINS0_5tupleIJttEEENS0_10empty_typeEEEZNS1_10merge_implIS3_NS0_12zip_iteratorINS5_IJN6thrust23THRUST_200600_302600_NS6detail15normal_iteratorINSC_10device_ptrIKtEEEESI_EEEEESK_NSA_INS5_IJNSE_INSF_ItEEEESM_EEEEEPS7_SP_SP_NSC_11hip_rocprim7__merge17predicate_wrapperIttNSC_7greaterItEEEEEE10hipError_tPvRmT0_T1_T2_T3_T4_T5_mmT6_P12ihipStream_tbEUlT_E_NS1_11comp_targetILNS1_3genE0ELNS1_11target_archE4294967295ELNS1_3gpuE0ELNS1_3repE0EEENS1_30default_config_static_selectorELNS0_4arch9wavefront6targetE0EEEvS10_
; %bb.0:
	s_clause 0x2
	s_load_b32 s4, s[0:1], 0x38
	s_load_b32 s2, s[0:1], 0x4c
	s_load_b128 s[8:11], s[0:1], 0x28
	s_getreg_b32 s7, hwreg(HW_REG_IB_STS2, 6, 4)
	s_wait_kmcnt 0x0
	s_cvt_f32_u32 s3, s4
	s_and_b32 s6, s2, 0xffff
	s_and_b32 s2, ttmp6, 15
	s_delay_alu instid0(SALU_CYCLE_1) | instskip(SKIP_1) | instid1(SALU_CYCLE_1)
	v_rcp_iflag_f32_e32 v1, s3
	s_bfe_u32 s3, ttmp6, 0x4000c
	s_add_co_i32 s3, s3, 1
	s_delay_alu instid0(SALU_CYCLE_1) | instskip(NEXT) | instid1(SALU_CYCLE_1)
	s_mul_i32 s3, ttmp9, s3
	s_add_co_i32 s2, s2, s3
	v_nop
	s_delay_alu instid0(TRANS32_DEP_1)
	v_readfirstlane_b32 s5, v1
	s_cmp_eq_u32 s7, 0
	s_cselect_b32 s7, ttmp9, s2
	s_sub_co_i32 s12, 0, s4
	s_mul_f32 s5, s5, 0x4f7ffffe
	s_add_nc_u64 s[2:3], s[10:11], s[8:9]
	v_mad_u32 v6, s7, s6, v0
	s_add_co_i32 s13, s4, s2
	s_cvt_u32_f32 s5, s5
	s_add_co_i32 s13, s13, -1
	s_delay_alu instid0(SALU_CYCLE_2) | instskip(NEXT) | instid1(SALU_CYCLE_1)
	s_mul_i32 s12, s12, s5
	s_mul_hi_u32 s12, s5, s12
	s_delay_alu instid0(SALU_CYCLE_1) | instskip(NEXT) | instid1(SALU_CYCLE_1)
	s_add_co_i32 s5, s5, s12
	s_mul_hi_u32 s5, s13, s5
	s_delay_alu instid0(SALU_CYCLE_1) | instskip(SKIP_2) | instid1(SALU_CYCLE_1)
	s_mul_i32 s12, s5, s4
	s_add_co_i32 s7, s5, 1
	s_sub_co_i32 s6, s13, s12
	s_sub_co_i32 s12, s6, s4
	s_cmp_ge_u32 s6, s4
	s_cselect_b32 s5, s7, s5
	s_cselect_b32 s6, s12, s6
	s_add_co_i32 s7, s5, 1
	s_cmp_ge_u32 s6, s4
	s_cselect_b32 s5, s7, s5
	s_delay_alu instid0(SALU_CYCLE_1)
	v_cmp_ge_u32_e32 vcc_lo, s5, v6
	s_and_saveexec_b32 s5, vcc_lo
	s_cbranch_execz .LBB389_6
; %bb.1:
	v_mul_lo_u32 v0, v6, s4
	v_mov_b32_e32 v1, 0
	s_load_b128 s[4:7], s[0:1], 0x0
	s_delay_alu instid0(VALU_DEP_1) | instskip(SKIP_1) | instid1(VALU_DEP_1)
	v_min_u64 v[4:5], v[0:1], s[2:3]
	s_mov_b32 s2, exec_lo
	v_max_u64 v[0:1], v[4:5], s[10:11]
	v_min_u64 v[2:3], v[4:5], s[8:9]
	s_delay_alu instid0(VALU_DEP_2) | instskip(NEXT) | instid1(VALU_DEP_1)
	v_sub_nc_u64_e64 v[0:1], v[0:1], s[10:11]
	v_cmpx_lt_u64_e64 v[0:1], v[2:3]
	s_cbranch_execz .LBB389_5
; %bb.2:
	s_wait_xcnt 0x0
	s_load_b64 s[0:1], s[0:1], 0x18
	s_wait_kmcnt 0x0
	v_lshl_add_u64 v[4:5], v[4:5], 1, s[0:1]
	s_mov_b32 s0, 0
.LBB389_3:                              ; =>This Inner Loop Header: Depth=1
	v_add_nc_u64_e32 v[8:9], v[2:3], v[0:1]
	s_delay_alu instid0(VALU_DEP_1) | instskip(SKIP_2) | instid1(VALU_DEP_2)
	v_lshrrev_b64 v[10:11], 1, v[8:9]
	v_and_b32_e32 v8, -2, v8
	v_xor_b32_e32 v13, -1, v9
	v_xor_b32_e32 v12, -2, v8
	v_add_nc_u64_e32 v[8:9], s[6:7], v[8:9]
	s_delay_alu instid0(VALU_DEP_2)
	v_add_nc_u64_e32 v[12:13], v[4:5], v[12:13]
	global_load_u16 v7, v[8:9], off
	global_load_u16 v14, v[12:13], off
	s_wait_xcnt 0x1
	v_add_nc_u64_e32 v[8:9], 1, v[10:11]
	s_wait_loadcnt 0x0
	v_cmp_gt_u16_e32 vcc_lo, v14, v7
	v_dual_cndmask_b32 v3, v3, v11 :: v_dual_cndmask_b32 v2, v2, v10
	s_delay_alu instid0(VALU_DEP_3) | instskip(NEXT) | instid1(VALU_DEP_1)
	v_dual_cndmask_b32 v1, v9, v1 :: v_dual_cndmask_b32 v0, v8, v0
	v_cmp_ge_u64_e32 vcc_lo, v[0:1], v[2:3]
	s_or_b32 s0, vcc_lo, s0
	s_delay_alu instid0(SALU_CYCLE_1)
	s_and_not1_b32 exec_lo, exec_lo, s0
	s_cbranch_execnz .LBB389_3
; %bb.4:
	s_or_b32 exec_lo, exec_lo, s0
.LBB389_5:
	s_delay_alu instid0(SALU_CYCLE_1)
	s_or_b32 exec_lo, exec_lo, s2
	s_wait_kmcnt 0x0
	global_store_b32 v6, v0, s[4:5] scale_offset
.LBB389_6:
	s_endpgm
	.section	.rodata,"a",@progbits
	.p2align	6, 0x0
	.amdhsa_kernel _ZN7rocprim17ROCPRIM_400000_NS6detail17trampoline_kernelINS0_14default_configENS1_21merge_config_selectorINS0_5tupleIJttEEENS0_10empty_typeEEEZNS1_10merge_implIS3_NS0_12zip_iteratorINS5_IJN6thrust23THRUST_200600_302600_NS6detail15normal_iteratorINSC_10device_ptrIKtEEEESI_EEEEESK_NSA_INS5_IJNSE_INSF_ItEEEESM_EEEEEPS7_SP_SP_NSC_11hip_rocprim7__merge17predicate_wrapperIttNSC_7greaterItEEEEEE10hipError_tPvRmT0_T1_T2_T3_T4_T5_mmT6_P12ihipStream_tbEUlT_E_NS1_11comp_targetILNS1_3genE0ELNS1_11target_archE4294967295ELNS1_3gpuE0ELNS1_3repE0EEENS1_30default_config_static_selectorELNS0_4arch9wavefront6targetE0EEEvS10_
		.amdhsa_group_segment_fixed_size 0
		.amdhsa_private_segment_fixed_size 0
		.amdhsa_kernarg_size 320
		.amdhsa_user_sgpr_count 2
		.amdhsa_user_sgpr_dispatch_ptr 0
		.amdhsa_user_sgpr_queue_ptr 0
		.amdhsa_user_sgpr_kernarg_segment_ptr 1
		.amdhsa_user_sgpr_dispatch_id 0
		.amdhsa_user_sgpr_kernarg_preload_length 0
		.amdhsa_user_sgpr_kernarg_preload_offset 0
		.amdhsa_user_sgpr_private_segment_size 0
		.amdhsa_wavefront_size32 1
		.amdhsa_uses_dynamic_stack 0
		.amdhsa_enable_private_segment 0
		.amdhsa_system_sgpr_workgroup_id_x 1
		.amdhsa_system_sgpr_workgroup_id_y 0
		.amdhsa_system_sgpr_workgroup_id_z 0
		.amdhsa_system_sgpr_workgroup_info 0
		.amdhsa_system_vgpr_workitem_id 0
		.amdhsa_next_free_vgpr 15
		.amdhsa_next_free_sgpr 14
		.amdhsa_named_barrier_count 0
		.amdhsa_reserve_vcc 1
		.amdhsa_float_round_mode_32 0
		.amdhsa_float_round_mode_16_64 0
		.amdhsa_float_denorm_mode_32 3
		.amdhsa_float_denorm_mode_16_64 3
		.amdhsa_fp16_overflow 0
		.amdhsa_memory_ordered 1
		.amdhsa_forward_progress 1
		.amdhsa_inst_pref_size 4
		.amdhsa_round_robin_scheduling 0
		.amdhsa_exception_fp_ieee_invalid_op 0
		.amdhsa_exception_fp_denorm_src 0
		.amdhsa_exception_fp_ieee_div_zero 0
		.amdhsa_exception_fp_ieee_overflow 0
		.amdhsa_exception_fp_ieee_underflow 0
		.amdhsa_exception_fp_ieee_inexact 0
		.amdhsa_exception_int_div_zero 0
	.end_amdhsa_kernel
	.section	.text._ZN7rocprim17ROCPRIM_400000_NS6detail17trampoline_kernelINS0_14default_configENS1_21merge_config_selectorINS0_5tupleIJttEEENS0_10empty_typeEEEZNS1_10merge_implIS3_NS0_12zip_iteratorINS5_IJN6thrust23THRUST_200600_302600_NS6detail15normal_iteratorINSC_10device_ptrIKtEEEESI_EEEEESK_NSA_INS5_IJNSE_INSF_ItEEEESM_EEEEEPS7_SP_SP_NSC_11hip_rocprim7__merge17predicate_wrapperIttNSC_7greaterItEEEEEE10hipError_tPvRmT0_T1_T2_T3_T4_T5_mmT6_P12ihipStream_tbEUlT_E_NS1_11comp_targetILNS1_3genE0ELNS1_11target_archE4294967295ELNS1_3gpuE0ELNS1_3repE0EEENS1_30default_config_static_selectorELNS0_4arch9wavefront6targetE0EEEvS10_,"axG",@progbits,_ZN7rocprim17ROCPRIM_400000_NS6detail17trampoline_kernelINS0_14default_configENS1_21merge_config_selectorINS0_5tupleIJttEEENS0_10empty_typeEEEZNS1_10merge_implIS3_NS0_12zip_iteratorINS5_IJN6thrust23THRUST_200600_302600_NS6detail15normal_iteratorINSC_10device_ptrIKtEEEESI_EEEEESK_NSA_INS5_IJNSE_INSF_ItEEEESM_EEEEEPS7_SP_SP_NSC_11hip_rocprim7__merge17predicate_wrapperIttNSC_7greaterItEEEEEE10hipError_tPvRmT0_T1_T2_T3_T4_T5_mmT6_P12ihipStream_tbEUlT_E_NS1_11comp_targetILNS1_3genE0ELNS1_11target_archE4294967295ELNS1_3gpuE0ELNS1_3repE0EEENS1_30default_config_static_selectorELNS0_4arch9wavefront6targetE0EEEvS10_,comdat
.Lfunc_end389:
	.size	_ZN7rocprim17ROCPRIM_400000_NS6detail17trampoline_kernelINS0_14default_configENS1_21merge_config_selectorINS0_5tupleIJttEEENS0_10empty_typeEEEZNS1_10merge_implIS3_NS0_12zip_iteratorINS5_IJN6thrust23THRUST_200600_302600_NS6detail15normal_iteratorINSC_10device_ptrIKtEEEESI_EEEEESK_NSA_INS5_IJNSE_INSF_ItEEEESM_EEEEEPS7_SP_SP_NSC_11hip_rocprim7__merge17predicate_wrapperIttNSC_7greaterItEEEEEE10hipError_tPvRmT0_T1_T2_T3_T4_T5_mmT6_P12ihipStream_tbEUlT_E_NS1_11comp_targetILNS1_3genE0ELNS1_11target_archE4294967295ELNS1_3gpuE0ELNS1_3repE0EEENS1_30default_config_static_selectorELNS0_4arch9wavefront6targetE0EEEvS10_, .Lfunc_end389-_ZN7rocprim17ROCPRIM_400000_NS6detail17trampoline_kernelINS0_14default_configENS1_21merge_config_selectorINS0_5tupleIJttEEENS0_10empty_typeEEEZNS1_10merge_implIS3_NS0_12zip_iteratorINS5_IJN6thrust23THRUST_200600_302600_NS6detail15normal_iteratorINSC_10device_ptrIKtEEEESI_EEEEESK_NSA_INS5_IJNSE_INSF_ItEEEESM_EEEEEPS7_SP_SP_NSC_11hip_rocprim7__merge17predicate_wrapperIttNSC_7greaterItEEEEEE10hipError_tPvRmT0_T1_T2_T3_T4_T5_mmT6_P12ihipStream_tbEUlT_E_NS1_11comp_targetILNS1_3genE0ELNS1_11target_archE4294967295ELNS1_3gpuE0ELNS1_3repE0EEENS1_30default_config_static_selectorELNS0_4arch9wavefront6targetE0EEEvS10_
                                        ; -- End function
	.set _ZN7rocprim17ROCPRIM_400000_NS6detail17trampoline_kernelINS0_14default_configENS1_21merge_config_selectorINS0_5tupleIJttEEENS0_10empty_typeEEEZNS1_10merge_implIS3_NS0_12zip_iteratorINS5_IJN6thrust23THRUST_200600_302600_NS6detail15normal_iteratorINSC_10device_ptrIKtEEEESI_EEEEESK_NSA_INS5_IJNSE_INSF_ItEEEESM_EEEEEPS7_SP_SP_NSC_11hip_rocprim7__merge17predicate_wrapperIttNSC_7greaterItEEEEEE10hipError_tPvRmT0_T1_T2_T3_T4_T5_mmT6_P12ihipStream_tbEUlT_E_NS1_11comp_targetILNS1_3genE0ELNS1_11target_archE4294967295ELNS1_3gpuE0ELNS1_3repE0EEENS1_30default_config_static_selectorELNS0_4arch9wavefront6targetE0EEEvS10_.num_vgpr, 15
	.set _ZN7rocprim17ROCPRIM_400000_NS6detail17trampoline_kernelINS0_14default_configENS1_21merge_config_selectorINS0_5tupleIJttEEENS0_10empty_typeEEEZNS1_10merge_implIS3_NS0_12zip_iteratorINS5_IJN6thrust23THRUST_200600_302600_NS6detail15normal_iteratorINSC_10device_ptrIKtEEEESI_EEEEESK_NSA_INS5_IJNSE_INSF_ItEEEESM_EEEEEPS7_SP_SP_NSC_11hip_rocprim7__merge17predicate_wrapperIttNSC_7greaterItEEEEEE10hipError_tPvRmT0_T1_T2_T3_T4_T5_mmT6_P12ihipStream_tbEUlT_E_NS1_11comp_targetILNS1_3genE0ELNS1_11target_archE4294967295ELNS1_3gpuE0ELNS1_3repE0EEENS1_30default_config_static_selectorELNS0_4arch9wavefront6targetE0EEEvS10_.num_agpr, 0
	.set _ZN7rocprim17ROCPRIM_400000_NS6detail17trampoline_kernelINS0_14default_configENS1_21merge_config_selectorINS0_5tupleIJttEEENS0_10empty_typeEEEZNS1_10merge_implIS3_NS0_12zip_iteratorINS5_IJN6thrust23THRUST_200600_302600_NS6detail15normal_iteratorINSC_10device_ptrIKtEEEESI_EEEEESK_NSA_INS5_IJNSE_INSF_ItEEEESM_EEEEEPS7_SP_SP_NSC_11hip_rocprim7__merge17predicate_wrapperIttNSC_7greaterItEEEEEE10hipError_tPvRmT0_T1_T2_T3_T4_T5_mmT6_P12ihipStream_tbEUlT_E_NS1_11comp_targetILNS1_3genE0ELNS1_11target_archE4294967295ELNS1_3gpuE0ELNS1_3repE0EEENS1_30default_config_static_selectorELNS0_4arch9wavefront6targetE0EEEvS10_.numbered_sgpr, 14
	.set _ZN7rocprim17ROCPRIM_400000_NS6detail17trampoline_kernelINS0_14default_configENS1_21merge_config_selectorINS0_5tupleIJttEEENS0_10empty_typeEEEZNS1_10merge_implIS3_NS0_12zip_iteratorINS5_IJN6thrust23THRUST_200600_302600_NS6detail15normal_iteratorINSC_10device_ptrIKtEEEESI_EEEEESK_NSA_INS5_IJNSE_INSF_ItEEEESM_EEEEEPS7_SP_SP_NSC_11hip_rocprim7__merge17predicate_wrapperIttNSC_7greaterItEEEEEE10hipError_tPvRmT0_T1_T2_T3_T4_T5_mmT6_P12ihipStream_tbEUlT_E_NS1_11comp_targetILNS1_3genE0ELNS1_11target_archE4294967295ELNS1_3gpuE0ELNS1_3repE0EEENS1_30default_config_static_selectorELNS0_4arch9wavefront6targetE0EEEvS10_.num_named_barrier, 0
	.set _ZN7rocprim17ROCPRIM_400000_NS6detail17trampoline_kernelINS0_14default_configENS1_21merge_config_selectorINS0_5tupleIJttEEENS0_10empty_typeEEEZNS1_10merge_implIS3_NS0_12zip_iteratorINS5_IJN6thrust23THRUST_200600_302600_NS6detail15normal_iteratorINSC_10device_ptrIKtEEEESI_EEEEESK_NSA_INS5_IJNSE_INSF_ItEEEESM_EEEEEPS7_SP_SP_NSC_11hip_rocprim7__merge17predicate_wrapperIttNSC_7greaterItEEEEEE10hipError_tPvRmT0_T1_T2_T3_T4_T5_mmT6_P12ihipStream_tbEUlT_E_NS1_11comp_targetILNS1_3genE0ELNS1_11target_archE4294967295ELNS1_3gpuE0ELNS1_3repE0EEENS1_30default_config_static_selectorELNS0_4arch9wavefront6targetE0EEEvS10_.private_seg_size, 0
	.set _ZN7rocprim17ROCPRIM_400000_NS6detail17trampoline_kernelINS0_14default_configENS1_21merge_config_selectorINS0_5tupleIJttEEENS0_10empty_typeEEEZNS1_10merge_implIS3_NS0_12zip_iteratorINS5_IJN6thrust23THRUST_200600_302600_NS6detail15normal_iteratorINSC_10device_ptrIKtEEEESI_EEEEESK_NSA_INS5_IJNSE_INSF_ItEEEESM_EEEEEPS7_SP_SP_NSC_11hip_rocprim7__merge17predicate_wrapperIttNSC_7greaterItEEEEEE10hipError_tPvRmT0_T1_T2_T3_T4_T5_mmT6_P12ihipStream_tbEUlT_E_NS1_11comp_targetILNS1_3genE0ELNS1_11target_archE4294967295ELNS1_3gpuE0ELNS1_3repE0EEENS1_30default_config_static_selectorELNS0_4arch9wavefront6targetE0EEEvS10_.uses_vcc, 1
	.set _ZN7rocprim17ROCPRIM_400000_NS6detail17trampoline_kernelINS0_14default_configENS1_21merge_config_selectorINS0_5tupleIJttEEENS0_10empty_typeEEEZNS1_10merge_implIS3_NS0_12zip_iteratorINS5_IJN6thrust23THRUST_200600_302600_NS6detail15normal_iteratorINSC_10device_ptrIKtEEEESI_EEEEESK_NSA_INS5_IJNSE_INSF_ItEEEESM_EEEEEPS7_SP_SP_NSC_11hip_rocprim7__merge17predicate_wrapperIttNSC_7greaterItEEEEEE10hipError_tPvRmT0_T1_T2_T3_T4_T5_mmT6_P12ihipStream_tbEUlT_E_NS1_11comp_targetILNS1_3genE0ELNS1_11target_archE4294967295ELNS1_3gpuE0ELNS1_3repE0EEENS1_30default_config_static_selectorELNS0_4arch9wavefront6targetE0EEEvS10_.uses_flat_scratch, 0
	.set _ZN7rocprim17ROCPRIM_400000_NS6detail17trampoline_kernelINS0_14default_configENS1_21merge_config_selectorINS0_5tupleIJttEEENS0_10empty_typeEEEZNS1_10merge_implIS3_NS0_12zip_iteratorINS5_IJN6thrust23THRUST_200600_302600_NS6detail15normal_iteratorINSC_10device_ptrIKtEEEESI_EEEEESK_NSA_INS5_IJNSE_INSF_ItEEEESM_EEEEEPS7_SP_SP_NSC_11hip_rocprim7__merge17predicate_wrapperIttNSC_7greaterItEEEEEE10hipError_tPvRmT0_T1_T2_T3_T4_T5_mmT6_P12ihipStream_tbEUlT_E_NS1_11comp_targetILNS1_3genE0ELNS1_11target_archE4294967295ELNS1_3gpuE0ELNS1_3repE0EEENS1_30default_config_static_selectorELNS0_4arch9wavefront6targetE0EEEvS10_.has_dyn_sized_stack, 0
	.set _ZN7rocprim17ROCPRIM_400000_NS6detail17trampoline_kernelINS0_14default_configENS1_21merge_config_selectorINS0_5tupleIJttEEENS0_10empty_typeEEEZNS1_10merge_implIS3_NS0_12zip_iteratorINS5_IJN6thrust23THRUST_200600_302600_NS6detail15normal_iteratorINSC_10device_ptrIKtEEEESI_EEEEESK_NSA_INS5_IJNSE_INSF_ItEEEESM_EEEEEPS7_SP_SP_NSC_11hip_rocprim7__merge17predicate_wrapperIttNSC_7greaterItEEEEEE10hipError_tPvRmT0_T1_T2_T3_T4_T5_mmT6_P12ihipStream_tbEUlT_E_NS1_11comp_targetILNS1_3genE0ELNS1_11target_archE4294967295ELNS1_3gpuE0ELNS1_3repE0EEENS1_30default_config_static_selectorELNS0_4arch9wavefront6targetE0EEEvS10_.has_recursion, 0
	.set _ZN7rocprim17ROCPRIM_400000_NS6detail17trampoline_kernelINS0_14default_configENS1_21merge_config_selectorINS0_5tupleIJttEEENS0_10empty_typeEEEZNS1_10merge_implIS3_NS0_12zip_iteratorINS5_IJN6thrust23THRUST_200600_302600_NS6detail15normal_iteratorINSC_10device_ptrIKtEEEESI_EEEEESK_NSA_INS5_IJNSE_INSF_ItEEEESM_EEEEEPS7_SP_SP_NSC_11hip_rocprim7__merge17predicate_wrapperIttNSC_7greaterItEEEEEE10hipError_tPvRmT0_T1_T2_T3_T4_T5_mmT6_P12ihipStream_tbEUlT_E_NS1_11comp_targetILNS1_3genE0ELNS1_11target_archE4294967295ELNS1_3gpuE0ELNS1_3repE0EEENS1_30default_config_static_selectorELNS0_4arch9wavefront6targetE0EEEvS10_.has_indirect_call, 0
	.section	.AMDGPU.csdata,"",@progbits
; Kernel info:
; codeLenInByte = 480
; TotalNumSgprs: 16
; NumVgprs: 15
; ScratchSize: 0
; MemoryBound: 0
; FloatMode: 240
; IeeeMode: 1
; LDSByteSize: 0 bytes/workgroup (compile time only)
; SGPRBlocks: 0
; VGPRBlocks: 0
; NumSGPRsForWavesPerEU: 16
; NumVGPRsForWavesPerEU: 15
; NamedBarCnt: 0
; Occupancy: 16
; WaveLimiterHint : 0
; COMPUTE_PGM_RSRC2:SCRATCH_EN: 0
; COMPUTE_PGM_RSRC2:USER_SGPR: 2
; COMPUTE_PGM_RSRC2:TRAP_HANDLER: 0
; COMPUTE_PGM_RSRC2:TGID_X_EN: 1
; COMPUTE_PGM_RSRC2:TGID_Y_EN: 0
; COMPUTE_PGM_RSRC2:TGID_Z_EN: 0
; COMPUTE_PGM_RSRC2:TIDIG_COMP_CNT: 0
	.section	.text._ZN7rocprim17ROCPRIM_400000_NS6detail17trampoline_kernelINS0_14default_configENS1_21merge_config_selectorINS0_5tupleIJttEEENS0_10empty_typeEEEZNS1_10merge_implIS3_NS0_12zip_iteratorINS5_IJN6thrust23THRUST_200600_302600_NS6detail15normal_iteratorINSC_10device_ptrIKtEEEESI_EEEEESK_NSA_INS5_IJNSE_INSF_ItEEEESM_EEEEEPS7_SP_SP_NSC_11hip_rocprim7__merge17predicate_wrapperIttNSC_7greaterItEEEEEE10hipError_tPvRmT0_T1_T2_T3_T4_T5_mmT6_P12ihipStream_tbEUlT_E_NS1_11comp_targetILNS1_3genE5ELNS1_11target_archE942ELNS1_3gpuE9ELNS1_3repE0EEENS1_30default_config_static_selectorELNS0_4arch9wavefront6targetE0EEEvS10_,"axG",@progbits,_ZN7rocprim17ROCPRIM_400000_NS6detail17trampoline_kernelINS0_14default_configENS1_21merge_config_selectorINS0_5tupleIJttEEENS0_10empty_typeEEEZNS1_10merge_implIS3_NS0_12zip_iteratorINS5_IJN6thrust23THRUST_200600_302600_NS6detail15normal_iteratorINSC_10device_ptrIKtEEEESI_EEEEESK_NSA_INS5_IJNSE_INSF_ItEEEESM_EEEEEPS7_SP_SP_NSC_11hip_rocprim7__merge17predicate_wrapperIttNSC_7greaterItEEEEEE10hipError_tPvRmT0_T1_T2_T3_T4_T5_mmT6_P12ihipStream_tbEUlT_E_NS1_11comp_targetILNS1_3genE5ELNS1_11target_archE942ELNS1_3gpuE9ELNS1_3repE0EEENS1_30default_config_static_selectorELNS0_4arch9wavefront6targetE0EEEvS10_,comdat
	.protected	_ZN7rocprim17ROCPRIM_400000_NS6detail17trampoline_kernelINS0_14default_configENS1_21merge_config_selectorINS0_5tupleIJttEEENS0_10empty_typeEEEZNS1_10merge_implIS3_NS0_12zip_iteratorINS5_IJN6thrust23THRUST_200600_302600_NS6detail15normal_iteratorINSC_10device_ptrIKtEEEESI_EEEEESK_NSA_INS5_IJNSE_INSF_ItEEEESM_EEEEEPS7_SP_SP_NSC_11hip_rocprim7__merge17predicate_wrapperIttNSC_7greaterItEEEEEE10hipError_tPvRmT0_T1_T2_T3_T4_T5_mmT6_P12ihipStream_tbEUlT_E_NS1_11comp_targetILNS1_3genE5ELNS1_11target_archE942ELNS1_3gpuE9ELNS1_3repE0EEENS1_30default_config_static_selectorELNS0_4arch9wavefront6targetE0EEEvS10_ ; -- Begin function _ZN7rocprim17ROCPRIM_400000_NS6detail17trampoline_kernelINS0_14default_configENS1_21merge_config_selectorINS0_5tupleIJttEEENS0_10empty_typeEEEZNS1_10merge_implIS3_NS0_12zip_iteratorINS5_IJN6thrust23THRUST_200600_302600_NS6detail15normal_iteratorINSC_10device_ptrIKtEEEESI_EEEEESK_NSA_INS5_IJNSE_INSF_ItEEEESM_EEEEEPS7_SP_SP_NSC_11hip_rocprim7__merge17predicate_wrapperIttNSC_7greaterItEEEEEE10hipError_tPvRmT0_T1_T2_T3_T4_T5_mmT6_P12ihipStream_tbEUlT_E_NS1_11comp_targetILNS1_3genE5ELNS1_11target_archE942ELNS1_3gpuE9ELNS1_3repE0EEENS1_30default_config_static_selectorELNS0_4arch9wavefront6targetE0EEEvS10_
	.globl	_ZN7rocprim17ROCPRIM_400000_NS6detail17trampoline_kernelINS0_14default_configENS1_21merge_config_selectorINS0_5tupleIJttEEENS0_10empty_typeEEEZNS1_10merge_implIS3_NS0_12zip_iteratorINS5_IJN6thrust23THRUST_200600_302600_NS6detail15normal_iteratorINSC_10device_ptrIKtEEEESI_EEEEESK_NSA_INS5_IJNSE_INSF_ItEEEESM_EEEEEPS7_SP_SP_NSC_11hip_rocprim7__merge17predicate_wrapperIttNSC_7greaterItEEEEEE10hipError_tPvRmT0_T1_T2_T3_T4_T5_mmT6_P12ihipStream_tbEUlT_E_NS1_11comp_targetILNS1_3genE5ELNS1_11target_archE942ELNS1_3gpuE9ELNS1_3repE0EEENS1_30default_config_static_selectorELNS0_4arch9wavefront6targetE0EEEvS10_
	.p2align	8
	.type	_ZN7rocprim17ROCPRIM_400000_NS6detail17trampoline_kernelINS0_14default_configENS1_21merge_config_selectorINS0_5tupleIJttEEENS0_10empty_typeEEEZNS1_10merge_implIS3_NS0_12zip_iteratorINS5_IJN6thrust23THRUST_200600_302600_NS6detail15normal_iteratorINSC_10device_ptrIKtEEEESI_EEEEESK_NSA_INS5_IJNSE_INSF_ItEEEESM_EEEEEPS7_SP_SP_NSC_11hip_rocprim7__merge17predicate_wrapperIttNSC_7greaterItEEEEEE10hipError_tPvRmT0_T1_T2_T3_T4_T5_mmT6_P12ihipStream_tbEUlT_E_NS1_11comp_targetILNS1_3genE5ELNS1_11target_archE942ELNS1_3gpuE9ELNS1_3repE0EEENS1_30default_config_static_selectorELNS0_4arch9wavefront6targetE0EEEvS10_,@function
_ZN7rocprim17ROCPRIM_400000_NS6detail17trampoline_kernelINS0_14default_configENS1_21merge_config_selectorINS0_5tupleIJttEEENS0_10empty_typeEEEZNS1_10merge_implIS3_NS0_12zip_iteratorINS5_IJN6thrust23THRUST_200600_302600_NS6detail15normal_iteratorINSC_10device_ptrIKtEEEESI_EEEEESK_NSA_INS5_IJNSE_INSF_ItEEEESM_EEEEEPS7_SP_SP_NSC_11hip_rocprim7__merge17predicate_wrapperIttNSC_7greaterItEEEEEE10hipError_tPvRmT0_T1_T2_T3_T4_T5_mmT6_P12ihipStream_tbEUlT_E_NS1_11comp_targetILNS1_3genE5ELNS1_11target_archE942ELNS1_3gpuE9ELNS1_3repE0EEENS1_30default_config_static_selectorELNS0_4arch9wavefront6targetE0EEEvS10_: ; @_ZN7rocprim17ROCPRIM_400000_NS6detail17trampoline_kernelINS0_14default_configENS1_21merge_config_selectorINS0_5tupleIJttEEENS0_10empty_typeEEEZNS1_10merge_implIS3_NS0_12zip_iteratorINS5_IJN6thrust23THRUST_200600_302600_NS6detail15normal_iteratorINSC_10device_ptrIKtEEEESI_EEEEESK_NSA_INS5_IJNSE_INSF_ItEEEESM_EEEEEPS7_SP_SP_NSC_11hip_rocprim7__merge17predicate_wrapperIttNSC_7greaterItEEEEEE10hipError_tPvRmT0_T1_T2_T3_T4_T5_mmT6_P12ihipStream_tbEUlT_E_NS1_11comp_targetILNS1_3genE5ELNS1_11target_archE942ELNS1_3gpuE9ELNS1_3repE0EEENS1_30default_config_static_selectorELNS0_4arch9wavefront6targetE0EEEvS10_
; %bb.0:
	.section	.rodata,"a",@progbits
	.p2align	6, 0x0
	.amdhsa_kernel _ZN7rocprim17ROCPRIM_400000_NS6detail17trampoline_kernelINS0_14default_configENS1_21merge_config_selectorINS0_5tupleIJttEEENS0_10empty_typeEEEZNS1_10merge_implIS3_NS0_12zip_iteratorINS5_IJN6thrust23THRUST_200600_302600_NS6detail15normal_iteratorINSC_10device_ptrIKtEEEESI_EEEEESK_NSA_INS5_IJNSE_INSF_ItEEEESM_EEEEEPS7_SP_SP_NSC_11hip_rocprim7__merge17predicate_wrapperIttNSC_7greaterItEEEEEE10hipError_tPvRmT0_T1_T2_T3_T4_T5_mmT6_P12ihipStream_tbEUlT_E_NS1_11comp_targetILNS1_3genE5ELNS1_11target_archE942ELNS1_3gpuE9ELNS1_3repE0EEENS1_30default_config_static_selectorELNS0_4arch9wavefront6targetE0EEEvS10_
		.amdhsa_group_segment_fixed_size 0
		.amdhsa_private_segment_fixed_size 0
		.amdhsa_kernarg_size 64
		.amdhsa_user_sgpr_count 2
		.amdhsa_user_sgpr_dispatch_ptr 0
		.amdhsa_user_sgpr_queue_ptr 0
		.amdhsa_user_sgpr_kernarg_segment_ptr 1
		.amdhsa_user_sgpr_dispatch_id 0
		.amdhsa_user_sgpr_kernarg_preload_length 0
		.amdhsa_user_sgpr_kernarg_preload_offset 0
		.amdhsa_user_sgpr_private_segment_size 0
		.amdhsa_wavefront_size32 1
		.amdhsa_uses_dynamic_stack 0
		.amdhsa_enable_private_segment 0
		.amdhsa_system_sgpr_workgroup_id_x 1
		.amdhsa_system_sgpr_workgroup_id_y 0
		.amdhsa_system_sgpr_workgroup_id_z 0
		.amdhsa_system_sgpr_workgroup_info 0
		.amdhsa_system_vgpr_workitem_id 0
		.amdhsa_next_free_vgpr 1
		.amdhsa_next_free_sgpr 1
		.amdhsa_named_barrier_count 0
		.amdhsa_reserve_vcc 0
		.amdhsa_float_round_mode_32 0
		.amdhsa_float_round_mode_16_64 0
		.amdhsa_float_denorm_mode_32 3
		.amdhsa_float_denorm_mode_16_64 3
		.amdhsa_fp16_overflow 0
		.amdhsa_memory_ordered 1
		.amdhsa_forward_progress 1
		.amdhsa_inst_pref_size 0
		.amdhsa_round_robin_scheduling 0
		.amdhsa_exception_fp_ieee_invalid_op 0
		.amdhsa_exception_fp_denorm_src 0
		.amdhsa_exception_fp_ieee_div_zero 0
		.amdhsa_exception_fp_ieee_overflow 0
		.amdhsa_exception_fp_ieee_underflow 0
		.amdhsa_exception_fp_ieee_inexact 0
		.amdhsa_exception_int_div_zero 0
	.end_amdhsa_kernel
	.section	.text._ZN7rocprim17ROCPRIM_400000_NS6detail17trampoline_kernelINS0_14default_configENS1_21merge_config_selectorINS0_5tupleIJttEEENS0_10empty_typeEEEZNS1_10merge_implIS3_NS0_12zip_iteratorINS5_IJN6thrust23THRUST_200600_302600_NS6detail15normal_iteratorINSC_10device_ptrIKtEEEESI_EEEEESK_NSA_INS5_IJNSE_INSF_ItEEEESM_EEEEEPS7_SP_SP_NSC_11hip_rocprim7__merge17predicate_wrapperIttNSC_7greaterItEEEEEE10hipError_tPvRmT0_T1_T2_T3_T4_T5_mmT6_P12ihipStream_tbEUlT_E_NS1_11comp_targetILNS1_3genE5ELNS1_11target_archE942ELNS1_3gpuE9ELNS1_3repE0EEENS1_30default_config_static_selectorELNS0_4arch9wavefront6targetE0EEEvS10_,"axG",@progbits,_ZN7rocprim17ROCPRIM_400000_NS6detail17trampoline_kernelINS0_14default_configENS1_21merge_config_selectorINS0_5tupleIJttEEENS0_10empty_typeEEEZNS1_10merge_implIS3_NS0_12zip_iteratorINS5_IJN6thrust23THRUST_200600_302600_NS6detail15normal_iteratorINSC_10device_ptrIKtEEEESI_EEEEESK_NSA_INS5_IJNSE_INSF_ItEEEESM_EEEEEPS7_SP_SP_NSC_11hip_rocprim7__merge17predicate_wrapperIttNSC_7greaterItEEEEEE10hipError_tPvRmT0_T1_T2_T3_T4_T5_mmT6_P12ihipStream_tbEUlT_E_NS1_11comp_targetILNS1_3genE5ELNS1_11target_archE942ELNS1_3gpuE9ELNS1_3repE0EEENS1_30default_config_static_selectorELNS0_4arch9wavefront6targetE0EEEvS10_,comdat
.Lfunc_end390:
	.size	_ZN7rocprim17ROCPRIM_400000_NS6detail17trampoline_kernelINS0_14default_configENS1_21merge_config_selectorINS0_5tupleIJttEEENS0_10empty_typeEEEZNS1_10merge_implIS3_NS0_12zip_iteratorINS5_IJN6thrust23THRUST_200600_302600_NS6detail15normal_iteratorINSC_10device_ptrIKtEEEESI_EEEEESK_NSA_INS5_IJNSE_INSF_ItEEEESM_EEEEEPS7_SP_SP_NSC_11hip_rocprim7__merge17predicate_wrapperIttNSC_7greaterItEEEEEE10hipError_tPvRmT0_T1_T2_T3_T4_T5_mmT6_P12ihipStream_tbEUlT_E_NS1_11comp_targetILNS1_3genE5ELNS1_11target_archE942ELNS1_3gpuE9ELNS1_3repE0EEENS1_30default_config_static_selectorELNS0_4arch9wavefront6targetE0EEEvS10_, .Lfunc_end390-_ZN7rocprim17ROCPRIM_400000_NS6detail17trampoline_kernelINS0_14default_configENS1_21merge_config_selectorINS0_5tupleIJttEEENS0_10empty_typeEEEZNS1_10merge_implIS3_NS0_12zip_iteratorINS5_IJN6thrust23THRUST_200600_302600_NS6detail15normal_iteratorINSC_10device_ptrIKtEEEESI_EEEEESK_NSA_INS5_IJNSE_INSF_ItEEEESM_EEEEEPS7_SP_SP_NSC_11hip_rocprim7__merge17predicate_wrapperIttNSC_7greaterItEEEEEE10hipError_tPvRmT0_T1_T2_T3_T4_T5_mmT6_P12ihipStream_tbEUlT_E_NS1_11comp_targetILNS1_3genE5ELNS1_11target_archE942ELNS1_3gpuE9ELNS1_3repE0EEENS1_30default_config_static_selectorELNS0_4arch9wavefront6targetE0EEEvS10_
                                        ; -- End function
	.set _ZN7rocprim17ROCPRIM_400000_NS6detail17trampoline_kernelINS0_14default_configENS1_21merge_config_selectorINS0_5tupleIJttEEENS0_10empty_typeEEEZNS1_10merge_implIS3_NS0_12zip_iteratorINS5_IJN6thrust23THRUST_200600_302600_NS6detail15normal_iteratorINSC_10device_ptrIKtEEEESI_EEEEESK_NSA_INS5_IJNSE_INSF_ItEEEESM_EEEEEPS7_SP_SP_NSC_11hip_rocprim7__merge17predicate_wrapperIttNSC_7greaterItEEEEEE10hipError_tPvRmT0_T1_T2_T3_T4_T5_mmT6_P12ihipStream_tbEUlT_E_NS1_11comp_targetILNS1_3genE5ELNS1_11target_archE942ELNS1_3gpuE9ELNS1_3repE0EEENS1_30default_config_static_selectorELNS0_4arch9wavefront6targetE0EEEvS10_.num_vgpr, 0
	.set _ZN7rocprim17ROCPRIM_400000_NS6detail17trampoline_kernelINS0_14default_configENS1_21merge_config_selectorINS0_5tupleIJttEEENS0_10empty_typeEEEZNS1_10merge_implIS3_NS0_12zip_iteratorINS5_IJN6thrust23THRUST_200600_302600_NS6detail15normal_iteratorINSC_10device_ptrIKtEEEESI_EEEEESK_NSA_INS5_IJNSE_INSF_ItEEEESM_EEEEEPS7_SP_SP_NSC_11hip_rocprim7__merge17predicate_wrapperIttNSC_7greaterItEEEEEE10hipError_tPvRmT0_T1_T2_T3_T4_T5_mmT6_P12ihipStream_tbEUlT_E_NS1_11comp_targetILNS1_3genE5ELNS1_11target_archE942ELNS1_3gpuE9ELNS1_3repE0EEENS1_30default_config_static_selectorELNS0_4arch9wavefront6targetE0EEEvS10_.num_agpr, 0
	.set _ZN7rocprim17ROCPRIM_400000_NS6detail17trampoline_kernelINS0_14default_configENS1_21merge_config_selectorINS0_5tupleIJttEEENS0_10empty_typeEEEZNS1_10merge_implIS3_NS0_12zip_iteratorINS5_IJN6thrust23THRUST_200600_302600_NS6detail15normal_iteratorINSC_10device_ptrIKtEEEESI_EEEEESK_NSA_INS5_IJNSE_INSF_ItEEEESM_EEEEEPS7_SP_SP_NSC_11hip_rocprim7__merge17predicate_wrapperIttNSC_7greaterItEEEEEE10hipError_tPvRmT0_T1_T2_T3_T4_T5_mmT6_P12ihipStream_tbEUlT_E_NS1_11comp_targetILNS1_3genE5ELNS1_11target_archE942ELNS1_3gpuE9ELNS1_3repE0EEENS1_30default_config_static_selectorELNS0_4arch9wavefront6targetE0EEEvS10_.numbered_sgpr, 0
	.set _ZN7rocprim17ROCPRIM_400000_NS6detail17trampoline_kernelINS0_14default_configENS1_21merge_config_selectorINS0_5tupleIJttEEENS0_10empty_typeEEEZNS1_10merge_implIS3_NS0_12zip_iteratorINS5_IJN6thrust23THRUST_200600_302600_NS6detail15normal_iteratorINSC_10device_ptrIKtEEEESI_EEEEESK_NSA_INS5_IJNSE_INSF_ItEEEESM_EEEEEPS7_SP_SP_NSC_11hip_rocprim7__merge17predicate_wrapperIttNSC_7greaterItEEEEEE10hipError_tPvRmT0_T1_T2_T3_T4_T5_mmT6_P12ihipStream_tbEUlT_E_NS1_11comp_targetILNS1_3genE5ELNS1_11target_archE942ELNS1_3gpuE9ELNS1_3repE0EEENS1_30default_config_static_selectorELNS0_4arch9wavefront6targetE0EEEvS10_.num_named_barrier, 0
	.set _ZN7rocprim17ROCPRIM_400000_NS6detail17trampoline_kernelINS0_14default_configENS1_21merge_config_selectorINS0_5tupleIJttEEENS0_10empty_typeEEEZNS1_10merge_implIS3_NS0_12zip_iteratorINS5_IJN6thrust23THRUST_200600_302600_NS6detail15normal_iteratorINSC_10device_ptrIKtEEEESI_EEEEESK_NSA_INS5_IJNSE_INSF_ItEEEESM_EEEEEPS7_SP_SP_NSC_11hip_rocprim7__merge17predicate_wrapperIttNSC_7greaterItEEEEEE10hipError_tPvRmT0_T1_T2_T3_T4_T5_mmT6_P12ihipStream_tbEUlT_E_NS1_11comp_targetILNS1_3genE5ELNS1_11target_archE942ELNS1_3gpuE9ELNS1_3repE0EEENS1_30default_config_static_selectorELNS0_4arch9wavefront6targetE0EEEvS10_.private_seg_size, 0
	.set _ZN7rocprim17ROCPRIM_400000_NS6detail17trampoline_kernelINS0_14default_configENS1_21merge_config_selectorINS0_5tupleIJttEEENS0_10empty_typeEEEZNS1_10merge_implIS3_NS0_12zip_iteratorINS5_IJN6thrust23THRUST_200600_302600_NS6detail15normal_iteratorINSC_10device_ptrIKtEEEESI_EEEEESK_NSA_INS5_IJNSE_INSF_ItEEEESM_EEEEEPS7_SP_SP_NSC_11hip_rocprim7__merge17predicate_wrapperIttNSC_7greaterItEEEEEE10hipError_tPvRmT0_T1_T2_T3_T4_T5_mmT6_P12ihipStream_tbEUlT_E_NS1_11comp_targetILNS1_3genE5ELNS1_11target_archE942ELNS1_3gpuE9ELNS1_3repE0EEENS1_30default_config_static_selectorELNS0_4arch9wavefront6targetE0EEEvS10_.uses_vcc, 0
	.set _ZN7rocprim17ROCPRIM_400000_NS6detail17trampoline_kernelINS0_14default_configENS1_21merge_config_selectorINS0_5tupleIJttEEENS0_10empty_typeEEEZNS1_10merge_implIS3_NS0_12zip_iteratorINS5_IJN6thrust23THRUST_200600_302600_NS6detail15normal_iteratorINSC_10device_ptrIKtEEEESI_EEEEESK_NSA_INS5_IJNSE_INSF_ItEEEESM_EEEEEPS7_SP_SP_NSC_11hip_rocprim7__merge17predicate_wrapperIttNSC_7greaterItEEEEEE10hipError_tPvRmT0_T1_T2_T3_T4_T5_mmT6_P12ihipStream_tbEUlT_E_NS1_11comp_targetILNS1_3genE5ELNS1_11target_archE942ELNS1_3gpuE9ELNS1_3repE0EEENS1_30default_config_static_selectorELNS0_4arch9wavefront6targetE0EEEvS10_.uses_flat_scratch, 0
	.set _ZN7rocprim17ROCPRIM_400000_NS6detail17trampoline_kernelINS0_14default_configENS1_21merge_config_selectorINS0_5tupleIJttEEENS0_10empty_typeEEEZNS1_10merge_implIS3_NS0_12zip_iteratorINS5_IJN6thrust23THRUST_200600_302600_NS6detail15normal_iteratorINSC_10device_ptrIKtEEEESI_EEEEESK_NSA_INS5_IJNSE_INSF_ItEEEESM_EEEEEPS7_SP_SP_NSC_11hip_rocprim7__merge17predicate_wrapperIttNSC_7greaterItEEEEEE10hipError_tPvRmT0_T1_T2_T3_T4_T5_mmT6_P12ihipStream_tbEUlT_E_NS1_11comp_targetILNS1_3genE5ELNS1_11target_archE942ELNS1_3gpuE9ELNS1_3repE0EEENS1_30default_config_static_selectorELNS0_4arch9wavefront6targetE0EEEvS10_.has_dyn_sized_stack, 0
	.set _ZN7rocprim17ROCPRIM_400000_NS6detail17trampoline_kernelINS0_14default_configENS1_21merge_config_selectorINS0_5tupleIJttEEENS0_10empty_typeEEEZNS1_10merge_implIS3_NS0_12zip_iteratorINS5_IJN6thrust23THRUST_200600_302600_NS6detail15normal_iteratorINSC_10device_ptrIKtEEEESI_EEEEESK_NSA_INS5_IJNSE_INSF_ItEEEESM_EEEEEPS7_SP_SP_NSC_11hip_rocprim7__merge17predicate_wrapperIttNSC_7greaterItEEEEEE10hipError_tPvRmT0_T1_T2_T3_T4_T5_mmT6_P12ihipStream_tbEUlT_E_NS1_11comp_targetILNS1_3genE5ELNS1_11target_archE942ELNS1_3gpuE9ELNS1_3repE0EEENS1_30default_config_static_selectorELNS0_4arch9wavefront6targetE0EEEvS10_.has_recursion, 0
	.set _ZN7rocprim17ROCPRIM_400000_NS6detail17trampoline_kernelINS0_14default_configENS1_21merge_config_selectorINS0_5tupleIJttEEENS0_10empty_typeEEEZNS1_10merge_implIS3_NS0_12zip_iteratorINS5_IJN6thrust23THRUST_200600_302600_NS6detail15normal_iteratorINSC_10device_ptrIKtEEEESI_EEEEESK_NSA_INS5_IJNSE_INSF_ItEEEESM_EEEEEPS7_SP_SP_NSC_11hip_rocprim7__merge17predicate_wrapperIttNSC_7greaterItEEEEEE10hipError_tPvRmT0_T1_T2_T3_T4_T5_mmT6_P12ihipStream_tbEUlT_E_NS1_11comp_targetILNS1_3genE5ELNS1_11target_archE942ELNS1_3gpuE9ELNS1_3repE0EEENS1_30default_config_static_selectorELNS0_4arch9wavefront6targetE0EEEvS10_.has_indirect_call, 0
	.section	.AMDGPU.csdata,"",@progbits
; Kernel info:
; codeLenInByte = 0
; TotalNumSgprs: 0
; NumVgprs: 0
; ScratchSize: 0
; MemoryBound: 0
; FloatMode: 240
; IeeeMode: 1
; LDSByteSize: 0 bytes/workgroup (compile time only)
; SGPRBlocks: 0
; VGPRBlocks: 0
; NumSGPRsForWavesPerEU: 1
; NumVGPRsForWavesPerEU: 1
; NamedBarCnt: 0
; Occupancy: 16
; WaveLimiterHint : 0
; COMPUTE_PGM_RSRC2:SCRATCH_EN: 0
; COMPUTE_PGM_RSRC2:USER_SGPR: 2
; COMPUTE_PGM_RSRC2:TRAP_HANDLER: 0
; COMPUTE_PGM_RSRC2:TGID_X_EN: 1
; COMPUTE_PGM_RSRC2:TGID_Y_EN: 0
; COMPUTE_PGM_RSRC2:TGID_Z_EN: 0
; COMPUTE_PGM_RSRC2:TIDIG_COMP_CNT: 0
	.section	.text._ZN7rocprim17ROCPRIM_400000_NS6detail17trampoline_kernelINS0_14default_configENS1_21merge_config_selectorINS0_5tupleIJttEEENS0_10empty_typeEEEZNS1_10merge_implIS3_NS0_12zip_iteratorINS5_IJN6thrust23THRUST_200600_302600_NS6detail15normal_iteratorINSC_10device_ptrIKtEEEESI_EEEEESK_NSA_INS5_IJNSE_INSF_ItEEEESM_EEEEEPS7_SP_SP_NSC_11hip_rocprim7__merge17predicate_wrapperIttNSC_7greaterItEEEEEE10hipError_tPvRmT0_T1_T2_T3_T4_T5_mmT6_P12ihipStream_tbEUlT_E_NS1_11comp_targetILNS1_3genE4ELNS1_11target_archE910ELNS1_3gpuE8ELNS1_3repE0EEENS1_30default_config_static_selectorELNS0_4arch9wavefront6targetE0EEEvS10_,"axG",@progbits,_ZN7rocprim17ROCPRIM_400000_NS6detail17trampoline_kernelINS0_14default_configENS1_21merge_config_selectorINS0_5tupleIJttEEENS0_10empty_typeEEEZNS1_10merge_implIS3_NS0_12zip_iteratorINS5_IJN6thrust23THRUST_200600_302600_NS6detail15normal_iteratorINSC_10device_ptrIKtEEEESI_EEEEESK_NSA_INS5_IJNSE_INSF_ItEEEESM_EEEEEPS7_SP_SP_NSC_11hip_rocprim7__merge17predicate_wrapperIttNSC_7greaterItEEEEEE10hipError_tPvRmT0_T1_T2_T3_T4_T5_mmT6_P12ihipStream_tbEUlT_E_NS1_11comp_targetILNS1_3genE4ELNS1_11target_archE910ELNS1_3gpuE8ELNS1_3repE0EEENS1_30default_config_static_selectorELNS0_4arch9wavefront6targetE0EEEvS10_,comdat
	.protected	_ZN7rocprim17ROCPRIM_400000_NS6detail17trampoline_kernelINS0_14default_configENS1_21merge_config_selectorINS0_5tupleIJttEEENS0_10empty_typeEEEZNS1_10merge_implIS3_NS0_12zip_iteratorINS5_IJN6thrust23THRUST_200600_302600_NS6detail15normal_iteratorINSC_10device_ptrIKtEEEESI_EEEEESK_NSA_INS5_IJNSE_INSF_ItEEEESM_EEEEEPS7_SP_SP_NSC_11hip_rocprim7__merge17predicate_wrapperIttNSC_7greaterItEEEEEE10hipError_tPvRmT0_T1_T2_T3_T4_T5_mmT6_P12ihipStream_tbEUlT_E_NS1_11comp_targetILNS1_3genE4ELNS1_11target_archE910ELNS1_3gpuE8ELNS1_3repE0EEENS1_30default_config_static_selectorELNS0_4arch9wavefront6targetE0EEEvS10_ ; -- Begin function _ZN7rocprim17ROCPRIM_400000_NS6detail17trampoline_kernelINS0_14default_configENS1_21merge_config_selectorINS0_5tupleIJttEEENS0_10empty_typeEEEZNS1_10merge_implIS3_NS0_12zip_iteratorINS5_IJN6thrust23THRUST_200600_302600_NS6detail15normal_iteratorINSC_10device_ptrIKtEEEESI_EEEEESK_NSA_INS5_IJNSE_INSF_ItEEEESM_EEEEEPS7_SP_SP_NSC_11hip_rocprim7__merge17predicate_wrapperIttNSC_7greaterItEEEEEE10hipError_tPvRmT0_T1_T2_T3_T4_T5_mmT6_P12ihipStream_tbEUlT_E_NS1_11comp_targetILNS1_3genE4ELNS1_11target_archE910ELNS1_3gpuE8ELNS1_3repE0EEENS1_30default_config_static_selectorELNS0_4arch9wavefront6targetE0EEEvS10_
	.globl	_ZN7rocprim17ROCPRIM_400000_NS6detail17trampoline_kernelINS0_14default_configENS1_21merge_config_selectorINS0_5tupleIJttEEENS0_10empty_typeEEEZNS1_10merge_implIS3_NS0_12zip_iteratorINS5_IJN6thrust23THRUST_200600_302600_NS6detail15normal_iteratorINSC_10device_ptrIKtEEEESI_EEEEESK_NSA_INS5_IJNSE_INSF_ItEEEESM_EEEEEPS7_SP_SP_NSC_11hip_rocprim7__merge17predicate_wrapperIttNSC_7greaterItEEEEEE10hipError_tPvRmT0_T1_T2_T3_T4_T5_mmT6_P12ihipStream_tbEUlT_E_NS1_11comp_targetILNS1_3genE4ELNS1_11target_archE910ELNS1_3gpuE8ELNS1_3repE0EEENS1_30default_config_static_selectorELNS0_4arch9wavefront6targetE0EEEvS10_
	.p2align	8
	.type	_ZN7rocprim17ROCPRIM_400000_NS6detail17trampoline_kernelINS0_14default_configENS1_21merge_config_selectorINS0_5tupleIJttEEENS0_10empty_typeEEEZNS1_10merge_implIS3_NS0_12zip_iteratorINS5_IJN6thrust23THRUST_200600_302600_NS6detail15normal_iteratorINSC_10device_ptrIKtEEEESI_EEEEESK_NSA_INS5_IJNSE_INSF_ItEEEESM_EEEEEPS7_SP_SP_NSC_11hip_rocprim7__merge17predicate_wrapperIttNSC_7greaterItEEEEEE10hipError_tPvRmT0_T1_T2_T3_T4_T5_mmT6_P12ihipStream_tbEUlT_E_NS1_11comp_targetILNS1_3genE4ELNS1_11target_archE910ELNS1_3gpuE8ELNS1_3repE0EEENS1_30default_config_static_selectorELNS0_4arch9wavefront6targetE0EEEvS10_,@function
_ZN7rocprim17ROCPRIM_400000_NS6detail17trampoline_kernelINS0_14default_configENS1_21merge_config_selectorINS0_5tupleIJttEEENS0_10empty_typeEEEZNS1_10merge_implIS3_NS0_12zip_iteratorINS5_IJN6thrust23THRUST_200600_302600_NS6detail15normal_iteratorINSC_10device_ptrIKtEEEESI_EEEEESK_NSA_INS5_IJNSE_INSF_ItEEEESM_EEEEEPS7_SP_SP_NSC_11hip_rocprim7__merge17predicate_wrapperIttNSC_7greaterItEEEEEE10hipError_tPvRmT0_T1_T2_T3_T4_T5_mmT6_P12ihipStream_tbEUlT_E_NS1_11comp_targetILNS1_3genE4ELNS1_11target_archE910ELNS1_3gpuE8ELNS1_3repE0EEENS1_30default_config_static_selectorELNS0_4arch9wavefront6targetE0EEEvS10_: ; @_ZN7rocprim17ROCPRIM_400000_NS6detail17trampoline_kernelINS0_14default_configENS1_21merge_config_selectorINS0_5tupleIJttEEENS0_10empty_typeEEEZNS1_10merge_implIS3_NS0_12zip_iteratorINS5_IJN6thrust23THRUST_200600_302600_NS6detail15normal_iteratorINSC_10device_ptrIKtEEEESI_EEEEESK_NSA_INS5_IJNSE_INSF_ItEEEESM_EEEEEPS7_SP_SP_NSC_11hip_rocprim7__merge17predicate_wrapperIttNSC_7greaterItEEEEEE10hipError_tPvRmT0_T1_T2_T3_T4_T5_mmT6_P12ihipStream_tbEUlT_E_NS1_11comp_targetILNS1_3genE4ELNS1_11target_archE910ELNS1_3gpuE8ELNS1_3repE0EEENS1_30default_config_static_selectorELNS0_4arch9wavefront6targetE0EEEvS10_
; %bb.0:
	.section	.rodata,"a",@progbits
	.p2align	6, 0x0
	.amdhsa_kernel _ZN7rocprim17ROCPRIM_400000_NS6detail17trampoline_kernelINS0_14default_configENS1_21merge_config_selectorINS0_5tupleIJttEEENS0_10empty_typeEEEZNS1_10merge_implIS3_NS0_12zip_iteratorINS5_IJN6thrust23THRUST_200600_302600_NS6detail15normal_iteratorINSC_10device_ptrIKtEEEESI_EEEEESK_NSA_INS5_IJNSE_INSF_ItEEEESM_EEEEEPS7_SP_SP_NSC_11hip_rocprim7__merge17predicate_wrapperIttNSC_7greaterItEEEEEE10hipError_tPvRmT0_T1_T2_T3_T4_T5_mmT6_P12ihipStream_tbEUlT_E_NS1_11comp_targetILNS1_3genE4ELNS1_11target_archE910ELNS1_3gpuE8ELNS1_3repE0EEENS1_30default_config_static_selectorELNS0_4arch9wavefront6targetE0EEEvS10_
		.amdhsa_group_segment_fixed_size 0
		.amdhsa_private_segment_fixed_size 0
		.amdhsa_kernarg_size 64
		.amdhsa_user_sgpr_count 2
		.amdhsa_user_sgpr_dispatch_ptr 0
		.amdhsa_user_sgpr_queue_ptr 0
		.amdhsa_user_sgpr_kernarg_segment_ptr 1
		.amdhsa_user_sgpr_dispatch_id 0
		.amdhsa_user_sgpr_kernarg_preload_length 0
		.amdhsa_user_sgpr_kernarg_preload_offset 0
		.amdhsa_user_sgpr_private_segment_size 0
		.amdhsa_wavefront_size32 1
		.amdhsa_uses_dynamic_stack 0
		.amdhsa_enable_private_segment 0
		.amdhsa_system_sgpr_workgroup_id_x 1
		.amdhsa_system_sgpr_workgroup_id_y 0
		.amdhsa_system_sgpr_workgroup_id_z 0
		.amdhsa_system_sgpr_workgroup_info 0
		.amdhsa_system_vgpr_workitem_id 0
		.amdhsa_next_free_vgpr 1
		.amdhsa_next_free_sgpr 1
		.amdhsa_named_barrier_count 0
		.amdhsa_reserve_vcc 0
		.amdhsa_float_round_mode_32 0
		.amdhsa_float_round_mode_16_64 0
		.amdhsa_float_denorm_mode_32 3
		.amdhsa_float_denorm_mode_16_64 3
		.amdhsa_fp16_overflow 0
		.amdhsa_memory_ordered 1
		.amdhsa_forward_progress 1
		.amdhsa_inst_pref_size 0
		.amdhsa_round_robin_scheduling 0
		.amdhsa_exception_fp_ieee_invalid_op 0
		.amdhsa_exception_fp_denorm_src 0
		.amdhsa_exception_fp_ieee_div_zero 0
		.amdhsa_exception_fp_ieee_overflow 0
		.amdhsa_exception_fp_ieee_underflow 0
		.amdhsa_exception_fp_ieee_inexact 0
		.amdhsa_exception_int_div_zero 0
	.end_amdhsa_kernel
	.section	.text._ZN7rocprim17ROCPRIM_400000_NS6detail17trampoline_kernelINS0_14default_configENS1_21merge_config_selectorINS0_5tupleIJttEEENS0_10empty_typeEEEZNS1_10merge_implIS3_NS0_12zip_iteratorINS5_IJN6thrust23THRUST_200600_302600_NS6detail15normal_iteratorINSC_10device_ptrIKtEEEESI_EEEEESK_NSA_INS5_IJNSE_INSF_ItEEEESM_EEEEEPS7_SP_SP_NSC_11hip_rocprim7__merge17predicate_wrapperIttNSC_7greaterItEEEEEE10hipError_tPvRmT0_T1_T2_T3_T4_T5_mmT6_P12ihipStream_tbEUlT_E_NS1_11comp_targetILNS1_3genE4ELNS1_11target_archE910ELNS1_3gpuE8ELNS1_3repE0EEENS1_30default_config_static_selectorELNS0_4arch9wavefront6targetE0EEEvS10_,"axG",@progbits,_ZN7rocprim17ROCPRIM_400000_NS6detail17trampoline_kernelINS0_14default_configENS1_21merge_config_selectorINS0_5tupleIJttEEENS0_10empty_typeEEEZNS1_10merge_implIS3_NS0_12zip_iteratorINS5_IJN6thrust23THRUST_200600_302600_NS6detail15normal_iteratorINSC_10device_ptrIKtEEEESI_EEEEESK_NSA_INS5_IJNSE_INSF_ItEEEESM_EEEEEPS7_SP_SP_NSC_11hip_rocprim7__merge17predicate_wrapperIttNSC_7greaterItEEEEEE10hipError_tPvRmT0_T1_T2_T3_T4_T5_mmT6_P12ihipStream_tbEUlT_E_NS1_11comp_targetILNS1_3genE4ELNS1_11target_archE910ELNS1_3gpuE8ELNS1_3repE0EEENS1_30default_config_static_selectorELNS0_4arch9wavefront6targetE0EEEvS10_,comdat
.Lfunc_end391:
	.size	_ZN7rocprim17ROCPRIM_400000_NS6detail17trampoline_kernelINS0_14default_configENS1_21merge_config_selectorINS0_5tupleIJttEEENS0_10empty_typeEEEZNS1_10merge_implIS3_NS0_12zip_iteratorINS5_IJN6thrust23THRUST_200600_302600_NS6detail15normal_iteratorINSC_10device_ptrIKtEEEESI_EEEEESK_NSA_INS5_IJNSE_INSF_ItEEEESM_EEEEEPS7_SP_SP_NSC_11hip_rocprim7__merge17predicate_wrapperIttNSC_7greaterItEEEEEE10hipError_tPvRmT0_T1_T2_T3_T4_T5_mmT6_P12ihipStream_tbEUlT_E_NS1_11comp_targetILNS1_3genE4ELNS1_11target_archE910ELNS1_3gpuE8ELNS1_3repE0EEENS1_30default_config_static_selectorELNS0_4arch9wavefront6targetE0EEEvS10_, .Lfunc_end391-_ZN7rocprim17ROCPRIM_400000_NS6detail17trampoline_kernelINS0_14default_configENS1_21merge_config_selectorINS0_5tupleIJttEEENS0_10empty_typeEEEZNS1_10merge_implIS3_NS0_12zip_iteratorINS5_IJN6thrust23THRUST_200600_302600_NS6detail15normal_iteratorINSC_10device_ptrIKtEEEESI_EEEEESK_NSA_INS5_IJNSE_INSF_ItEEEESM_EEEEEPS7_SP_SP_NSC_11hip_rocprim7__merge17predicate_wrapperIttNSC_7greaterItEEEEEE10hipError_tPvRmT0_T1_T2_T3_T4_T5_mmT6_P12ihipStream_tbEUlT_E_NS1_11comp_targetILNS1_3genE4ELNS1_11target_archE910ELNS1_3gpuE8ELNS1_3repE0EEENS1_30default_config_static_selectorELNS0_4arch9wavefront6targetE0EEEvS10_
                                        ; -- End function
	.set _ZN7rocprim17ROCPRIM_400000_NS6detail17trampoline_kernelINS0_14default_configENS1_21merge_config_selectorINS0_5tupleIJttEEENS0_10empty_typeEEEZNS1_10merge_implIS3_NS0_12zip_iteratorINS5_IJN6thrust23THRUST_200600_302600_NS6detail15normal_iteratorINSC_10device_ptrIKtEEEESI_EEEEESK_NSA_INS5_IJNSE_INSF_ItEEEESM_EEEEEPS7_SP_SP_NSC_11hip_rocprim7__merge17predicate_wrapperIttNSC_7greaterItEEEEEE10hipError_tPvRmT0_T1_T2_T3_T4_T5_mmT6_P12ihipStream_tbEUlT_E_NS1_11comp_targetILNS1_3genE4ELNS1_11target_archE910ELNS1_3gpuE8ELNS1_3repE0EEENS1_30default_config_static_selectorELNS0_4arch9wavefront6targetE0EEEvS10_.num_vgpr, 0
	.set _ZN7rocprim17ROCPRIM_400000_NS6detail17trampoline_kernelINS0_14default_configENS1_21merge_config_selectorINS0_5tupleIJttEEENS0_10empty_typeEEEZNS1_10merge_implIS3_NS0_12zip_iteratorINS5_IJN6thrust23THRUST_200600_302600_NS6detail15normal_iteratorINSC_10device_ptrIKtEEEESI_EEEEESK_NSA_INS5_IJNSE_INSF_ItEEEESM_EEEEEPS7_SP_SP_NSC_11hip_rocprim7__merge17predicate_wrapperIttNSC_7greaterItEEEEEE10hipError_tPvRmT0_T1_T2_T3_T4_T5_mmT6_P12ihipStream_tbEUlT_E_NS1_11comp_targetILNS1_3genE4ELNS1_11target_archE910ELNS1_3gpuE8ELNS1_3repE0EEENS1_30default_config_static_selectorELNS0_4arch9wavefront6targetE0EEEvS10_.num_agpr, 0
	.set _ZN7rocprim17ROCPRIM_400000_NS6detail17trampoline_kernelINS0_14default_configENS1_21merge_config_selectorINS0_5tupleIJttEEENS0_10empty_typeEEEZNS1_10merge_implIS3_NS0_12zip_iteratorINS5_IJN6thrust23THRUST_200600_302600_NS6detail15normal_iteratorINSC_10device_ptrIKtEEEESI_EEEEESK_NSA_INS5_IJNSE_INSF_ItEEEESM_EEEEEPS7_SP_SP_NSC_11hip_rocprim7__merge17predicate_wrapperIttNSC_7greaterItEEEEEE10hipError_tPvRmT0_T1_T2_T3_T4_T5_mmT6_P12ihipStream_tbEUlT_E_NS1_11comp_targetILNS1_3genE4ELNS1_11target_archE910ELNS1_3gpuE8ELNS1_3repE0EEENS1_30default_config_static_selectorELNS0_4arch9wavefront6targetE0EEEvS10_.numbered_sgpr, 0
	.set _ZN7rocprim17ROCPRIM_400000_NS6detail17trampoline_kernelINS0_14default_configENS1_21merge_config_selectorINS0_5tupleIJttEEENS0_10empty_typeEEEZNS1_10merge_implIS3_NS0_12zip_iteratorINS5_IJN6thrust23THRUST_200600_302600_NS6detail15normal_iteratorINSC_10device_ptrIKtEEEESI_EEEEESK_NSA_INS5_IJNSE_INSF_ItEEEESM_EEEEEPS7_SP_SP_NSC_11hip_rocprim7__merge17predicate_wrapperIttNSC_7greaterItEEEEEE10hipError_tPvRmT0_T1_T2_T3_T4_T5_mmT6_P12ihipStream_tbEUlT_E_NS1_11comp_targetILNS1_3genE4ELNS1_11target_archE910ELNS1_3gpuE8ELNS1_3repE0EEENS1_30default_config_static_selectorELNS0_4arch9wavefront6targetE0EEEvS10_.num_named_barrier, 0
	.set _ZN7rocprim17ROCPRIM_400000_NS6detail17trampoline_kernelINS0_14default_configENS1_21merge_config_selectorINS0_5tupleIJttEEENS0_10empty_typeEEEZNS1_10merge_implIS3_NS0_12zip_iteratorINS5_IJN6thrust23THRUST_200600_302600_NS6detail15normal_iteratorINSC_10device_ptrIKtEEEESI_EEEEESK_NSA_INS5_IJNSE_INSF_ItEEEESM_EEEEEPS7_SP_SP_NSC_11hip_rocprim7__merge17predicate_wrapperIttNSC_7greaterItEEEEEE10hipError_tPvRmT0_T1_T2_T3_T4_T5_mmT6_P12ihipStream_tbEUlT_E_NS1_11comp_targetILNS1_3genE4ELNS1_11target_archE910ELNS1_3gpuE8ELNS1_3repE0EEENS1_30default_config_static_selectorELNS0_4arch9wavefront6targetE0EEEvS10_.private_seg_size, 0
	.set _ZN7rocprim17ROCPRIM_400000_NS6detail17trampoline_kernelINS0_14default_configENS1_21merge_config_selectorINS0_5tupleIJttEEENS0_10empty_typeEEEZNS1_10merge_implIS3_NS0_12zip_iteratorINS5_IJN6thrust23THRUST_200600_302600_NS6detail15normal_iteratorINSC_10device_ptrIKtEEEESI_EEEEESK_NSA_INS5_IJNSE_INSF_ItEEEESM_EEEEEPS7_SP_SP_NSC_11hip_rocprim7__merge17predicate_wrapperIttNSC_7greaterItEEEEEE10hipError_tPvRmT0_T1_T2_T3_T4_T5_mmT6_P12ihipStream_tbEUlT_E_NS1_11comp_targetILNS1_3genE4ELNS1_11target_archE910ELNS1_3gpuE8ELNS1_3repE0EEENS1_30default_config_static_selectorELNS0_4arch9wavefront6targetE0EEEvS10_.uses_vcc, 0
	.set _ZN7rocprim17ROCPRIM_400000_NS6detail17trampoline_kernelINS0_14default_configENS1_21merge_config_selectorINS0_5tupleIJttEEENS0_10empty_typeEEEZNS1_10merge_implIS3_NS0_12zip_iteratorINS5_IJN6thrust23THRUST_200600_302600_NS6detail15normal_iteratorINSC_10device_ptrIKtEEEESI_EEEEESK_NSA_INS5_IJNSE_INSF_ItEEEESM_EEEEEPS7_SP_SP_NSC_11hip_rocprim7__merge17predicate_wrapperIttNSC_7greaterItEEEEEE10hipError_tPvRmT0_T1_T2_T3_T4_T5_mmT6_P12ihipStream_tbEUlT_E_NS1_11comp_targetILNS1_3genE4ELNS1_11target_archE910ELNS1_3gpuE8ELNS1_3repE0EEENS1_30default_config_static_selectorELNS0_4arch9wavefront6targetE0EEEvS10_.uses_flat_scratch, 0
	.set _ZN7rocprim17ROCPRIM_400000_NS6detail17trampoline_kernelINS0_14default_configENS1_21merge_config_selectorINS0_5tupleIJttEEENS0_10empty_typeEEEZNS1_10merge_implIS3_NS0_12zip_iteratorINS5_IJN6thrust23THRUST_200600_302600_NS6detail15normal_iteratorINSC_10device_ptrIKtEEEESI_EEEEESK_NSA_INS5_IJNSE_INSF_ItEEEESM_EEEEEPS7_SP_SP_NSC_11hip_rocprim7__merge17predicate_wrapperIttNSC_7greaterItEEEEEE10hipError_tPvRmT0_T1_T2_T3_T4_T5_mmT6_P12ihipStream_tbEUlT_E_NS1_11comp_targetILNS1_3genE4ELNS1_11target_archE910ELNS1_3gpuE8ELNS1_3repE0EEENS1_30default_config_static_selectorELNS0_4arch9wavefront6targetE0EEEvS10_.has_dyn_sized_stack, 0
	.set _ZN7rocprim17ROCPRIM_400000_NS6detail17trampoline_kernelINS0_14default_configENS1_21merge_config_selectorINS0_5tupleIJttEEENS0_10empty_typeEEEZNS1_10merge_implIS3_NS0_12zip_iteratorINS5_IJN6thrust23THRUST_200600_302600_NS6detail15normal_iteratorINSC_10device_ptrIKtEEEESI_EEEEESK_NSA_INS5_IJNSE_INSF_ItEEEESM_EEEEEPS7_SP_SP_NSC_11hip_rocprim7__merge17predicate_wrapperIttNSC_7greaterItEEEEEE10hipError_tPvRmT0_T1_T2_T3_T4_T5_mmT6_P12ihipStream_tbEUlT_E_NS1_11comp_targetILNS1_3genE4ELNS1_11target_archE910ELNS1_3gpuE8ELNS1_3repE0EEENS1_30default_config_static_selectorELNS0_4arch9wavefront6targetE0EEEvS10_.has_recursion, 0
	.set _ZN7rocprim17ROCPRIM_400000_NS6detail17trampoline_kernelINS0_14default_configENS1_21merge_config_selectorINS0_5tupleIJttEEENS0_10empty_typeEEEZNS1_10merge_implIS3_NS0_12zip_iteratorINS5_IJN6thrust23THRUST_200600_302600_NS6detail15normal_iteratorINSC_10device_ptrIKtEEEESI_EEEEESK_NSA_INS5_IJNSE_INSF_ItEEEESM_EEEEEPS7_SP_SP_NSC_11hip_rocprim7__merge17predicate_wrapperIttNSC_7greaterItEEEEEE10hipError_tPvRmT0_T1_T2_T3_T4_T5_mmT6_P12ihipStream_tbEUlT_E_NS1_11comp_targetILNS1_3genE4ELNS1_11target_archE910ELNS1_3gpuE8ELNS1_3repE0EEENS1_30default_config_static_selectorELNS0_4arch9wavefront6targetE0EEEvS10_.has_indirect_call, 0
	.section	.AMDGPU.csdata,"",@progbits
; Kernel info:
; codeLenInByte = 0
; TotalNumSgprs: 0
; NumVgprs: 0
; ScratchSize: 0
; MemoryBound: 0
; FloatMode: 240
; IeeeMode: 1
; LDSByteSize: 0 bytes/workgroup (compile time only)
; SGPRBlocks: 0
; VGPRBlocks: 0
; NumSGPRsForWavesPerEU: 1
; NumVGPRsForWavesPerEU: 1
; NamedBarCnt: 0
; Occupancy: 16
; WaveLimiterHint : 0
; COMPUTE_PGM_RSRC2:SCRATCH_EN: 0
; COMPUTE_PGM_RSRC2:USER_SGPR: 2
; COMPUTE_PGM_RSRC2:TRAP_HANDLER: 0
; COMPUTE_PGM_RSRC2:TGID_X_EN: 1
; COMPUTE_PGM_RSRC2:TGID_Y_EN: 0
; COMPUTE_PGM_RSRC2:TGID_Z_EN: 0
; COMPUTE_PGM_RSRC2:TIDIG_COMP_CNT: 0
	.section	.text._ZN7rocprim17ROCPRIM_400000_NS6detail17trampoline_kernelINS0_14default_configENS1_21merge_config_selectorINS0_5tupleIJttEEENS0_10empty_typeEEEZNS1_10merge_implIS3_NS0_12zip_iteratorINS5_IJN6thrust23THRUST_200600_302600_NS6detail15normal_iteratorINSC_10device_ptrIKtEEEESI_EEEEESK_NSA_INS5_IJNSE_INSF_ItEEEESM_EEEEEPS7_SP_SP_NSC_11hip_rocprim7__merge17predicate_wrapperIttNSC_7greaterItEEEEEE10hipError_tPvRmT0_T1_T2_T3_T4_T5_mmT6_P12ihipStream_tbEUlT_E_NS1_11comp_targetILNS1_3genE3ELNS1_11target_archE908ELNS1_3gpuE7ELNS1_3repE0EEENS1_30default_config_static_selectorELNS0_4arch9wavefront6targetE0EEEvS10_,"axG",@progbits,_ZN7rocprim17ROCPRIM_400000_NS6detail17trampoline_kernelINS0_14default_configENS1_21merge_config_selectorINS0_5tupleIJttEEENS0_10empty_typeEEEZNS1_10merge_implIS3_NS0_12zip_iteratorINS5_IJN6thrust23THRUST_200600_302600_NS6detail15normal_iteratorINSC_10device_ptrIKtEEEESI_EEEEESK_NSA_INS5_IJNSE_INSF_ItEEEESM_EEEEEPS7_SP_SP_NSC_11hip_rocprim7__merge17predicate_wrapperIttNSC_7greaterItEEEEEE10hipError_tPvRmT0_T1_T2_T3_T4_T5_mmT6_P12ihipStream_tbEUlT_E_NS1_11comp_targetILNS1_3genE3ELNS1_11target_archE908ELNS1_3gpuE7ELNS1_3repE0EEENS1_30default_config_static_selectorELNS0_4arch9wavefront6targetE0EEEvS10_,comdat
	.protected	_ZN7rocprim17ROCPRIM_400000_NS6detail17trampoline_kernelINS0_14default_configENS1_21merge_config_selectorINS0_5tupleIJttEEENS0_10empty_typeEEEZNS1_10merge_implIS3_NS0_12zip_iteratorINS5_IJN6thrust23THRUST_200600_302600_NS6detail15normal_iteratorINSC_10device_ptrIKtEEEESI_EEEEESK_NSA_INS5_IJNSE_INSF_ItEEEESM_EEEEEPS7_SP_SP_NSC_11hip_rocprim7__merge17predicate_wrapperIttNSC_7greaterItEEEEEE10hipError_tPvRmT0_T1_T2_T3_T4_T5_mmT6_P12ihipStream_tbEUlT_E_NS1_11comp_targetILNS1_3genE3ELNS1_11target_archE908ELNS1_3gpuE7ELNS1_3repE0EEENS1_30default_config_static_selectorELNS0_4arch9wavefront6targetE0EEEvS10_ ; -- Begin function _ZN7rocprim17ROCPRIM_400000_NS6detail17trampoline_kernelINS0_14default_configENS1_21merge_config_selectorINS0_5tupleIJttEEENS0_10empty_typeEEEZNS1_10merge_implIS3_NS0_12zip_iteratorINS5_IJN6thrust23THRUST_200600_302600_NS6detail15normal_iteratorINSC_10device_ptrIKtEEEESI_EEEEESK_NSA_INS5_IJNSE_INSF_ItEEEESM_EEEEEPS7_SP_SP_NSC_11hip_rocprim7__merge17predicate_wrapperIttNSC_7greaterItEEEEEE10hipError_tPvRmT0_T1_T2_T3_T4_T5_mmT6_P12ihipStream_tbEUlT_E_NS1_11comp_targetILNS1_3genE3ELNS1_11target_archE908ELNS1_3gpuE7ELNS1_3repE0EEENS1_30default_config_static_selectorELNS0_4arch9wavefront6targetE0EEEvS10_
	.globl	_ZN7rocprim17ROCPRIM_400000_NS6detail17trampoline_kernelINS0_14default_configENS1_21merge_config_selectorINS0_5tupleIJttEEENS0_10empty_typeEEEZNS1_10merge_implIS3_NS0_12zip_iteratorINS5_IJN6thrust23THRUST_200600_302600_NS6detail15normal_iteratorINSC_10device_ptrIKtEEEESI_EEEEESK_NSA_INS5_IJNSE_INSF_ItEEEESM_EEEEEPS7_SP_SP_NSC_11hip_rocprim7__merge17predicate_wrapperIttNSC_7greaterItEEEEEE10hipError_tPvRmT0_T1_T2_T3_T4_T5_mmT6_P12ihipStream_tbEUlT_E_NS1_11comp_targetILNS1_3genE3ELNS1_11target_archE908ELNS1_3gpuE7ELNS1_3repE0EEENS1_30default_config_static_selectorELNS0_4arch9wavefront6targetE0EEEvS10_
	.p2align	8
	.type	_ZN7rocprim17ROCPRIM_400000_NS6detail17trampoline_kernelINS0_14default_configENS1_21merge_config_selectorINS0_5tupleIJttEEENS0_10empty_typeEEEZNS1_10merge_implIS3_NS0_12zip_iteratorINS5_IJN6thrust23THRUST_200600_302600_NS6detail15normal_iteratorINSC_10device_ptrIKtEEEESI_EEEEESK_NSA_INS5_IJNSE_INSF_ItEEEESM_EEEEEPS7_SP_SP_NSC_11hip_rocprim7__merge17predicate_wrapperIttNSC_7greaterItEEEEEE10hipError_tPvRmT0_T1_T2_T3_T4_T5_mmT6_P12ihipStream_tbEUlT_E_NS1_11comp_targetILNS1_3genE3ELNS1_11target_archE908ELNS1_3gpuE7ELNS1_3repE0EEENS1_30default_config_static_selectorELNS0_4arch9wavefront6targetE0EEEvS10_,@function
_ZN7rocprim17ROCPRIM_400000_NS6detail17trampoline_kernelINS0_14default_configENS1_21merge_config_selectorINS0_5tupleIJttEEENS0_10empty_typeEEEZNS1_10merge_implIS3_NS0_12zip_iteratorINS5_IJN6thrust23THRUST_200600_302600_NS6detail15normal_iteratorINSC_10device_ptrIKtEEEESI_EEEEESK_NSA_INS5_IJNSE_INSF_ItEEEESM_EEEEEPS7_SP_SP_NSC_11hip_rocprim7__merge17predicate_wrapperIttNSC_7greaterItEEEEEE10hipError_tPvRmT0_T1_T2_T3_T4_T5_mmT6_P12ihipStream_tbEUlT_E_NS1_11comp_targetILNS1_3genE3ELNS1_11target_archE908ELNS1_3gpuE7ELNS1_3repE0EEENS1_30default_config_static_selectorELNS0_4arch9wavefront6targetE0EEEvS10_: ; @_ZN7rocprim17ROCPRIM_400000_NS6detail17trampoline_kernelINS0_14default_configENS1_21merge_config_selectorINS0_5tupleIJttEEENS0_10empty_typeEEEZNS1_10merge_implIS3_NS0_12zip_iteratorINS5_IJN6thrust23THRUST_200600_302600_NS6detail15normal_iteratorINSC_10device_ptrIKtEEEESI_EEEEESK_NSA_INS5_IJNSE_INSF_ItEEEESM_EEEEEPS7_SP_SP_NSC_11hip_rocprim7__merge17predicate_wrapperIttNSC_7greaterItEEEEEE10hipError_tPvRmT0_T1_T2_T3_T4_T5_mmT6_P12ihipStream_tbEUlT_E_NS1_11comp_targetILNS1_3genE3ELNS1_11target_archE908ELNS1_3gpuE7ELNS1_3repE0EEENS1_30default_config_static_selectorELNS0_4arch9wavefront6targetE0EEEvS10_
; %bb.0:
	.section	.rodata,"a",@progbits
	.p2align	6, 0x0
	.amdhsa_kernel _ZN7rocprim17ROCPRIM_400000_NS6detail17trampoline_kernelINS0_14default_configENS1_21merge_config_selectorINS0_5tupleIJttEEENS0_10empty_typeEEEZNS1_10merge_implIS3_NS0_12zip_iteratorINS5_IJN6thrust23THRUST_200600_302600_NS6detail15normal_iteratorINSC_10device_ptrIKtEEEESI_EEEEESK_NSA_INS5_IJNSE_INSF_ItEEEESM_EEEEEPS7_SP_SP_NSC_11hip_rocprim7__merge17predicate_wrapperIttNSC_7greaterItEEEEEE10hipError_tPvRmT0_T1_T2_T3_T4_T5_mmT6_P12ihipStream_tbEUlT_E_NS1_11comp_targetILNS1_3genE3ELNS1_11target_archE908ELNS1_3gpuE7ELNS1_3repE0EEENS1_30default_config_static_selectorELNS0_4arch9wavefront6targetE0EEEvS10_
		.amdhsa_group_segment_fixed_size 0
		.amdhsa_private_segment_fixed_size 0
		.amdhsa_kernarg_size 64
		.amdhsa_user_sgpr_count 2
		.amdhsa_user_sgpr_dispatch_ptr 0
		.amdhsa_user_sgpr_queue_ptr 0
		.amdhsa_user_sgpr_kernarg_segment_ptr 1
		.amdhsa_user_sgpr_dispatch_id 0
		.amdhsa_user_sgpr_kernarg_preload_length 0
		.amdhsa_user_sgpr_kernarg_preload_offset 0
		.amdhsa_user_sgpr_private_segment_size 0
		.amdhsa_wavefront_size32 1
		.amdhsa_uses_dynamic_stack 0
		.amdhsa_enable_private_segment 0
		.amdhsa_system_sgpr_workgroup_id_x 1
		.amdhsa_system_sgpr_workgroup_id_y 0
		.amdhsa_system_sgpr_workgroup_id_z 0
		.amdhsa_system_sgpr_workgroup_info 0
		.amdhsa_system_vgpr_workitem_id 0
		.amdhsa_next_free_vgpr 1
		.amdhsa_next_free_sgpr 1
		.amdhsa_named_barrier_count 0
		.amdhsa_reserve_vcc 0
		.amdhsa_float_round_mode_32 0
		.amdhsa_float_round_mode_16_64 0
		.amdhsa_float_denorm_mode_32 3
		.amdhsa_float_denorm_mode_16_64 3
		.amdhsa_fp16_overflow 0
		.amdhsa_memory_ordered 1
		.amdhsa_forward_progress 1
		.amdhsa_inst_pref_size 0
		.amdhsa_round_robin_scheduling 0
		.amdhsa_exception_fp_ieee_invalid_op 0
		.amdhsa_exception_fp_denorm_src 0
		.amdhsa_exception_fp_ieee_div_zero 0
		.amdhsa_exception_fp_ieee_overflow 0
		.amdhsa_exception_fp_ieee_underflow 0
		.amdhsa_exception_fp_ieee_inexact 0
		.amdhsa_exception_int_div_zero 0
	.end_amdhsa_kernel
	.section	.text._ZN7rocprim17ROCPRIM_400000_NS6detail17trampoline_kernelINS0_14default_configENS1_21merge_config_selectorINS0_5tupleIJttEEENS0_10empty_typeEEEZNS1_10merge_implIS3_NS0_12zip_iteratorINS5_IJN6thrust23THRUST_200600_302600_NS6detail15normal_iteratorINSC_10device_ptrIKtEEEESI_EEEEESK_NSA_INS5_IJNSE_INSF_ItEEEESM_EEEEEPS7_SP_SP_NSC_11hip_rocprim7__merge17predicate_wrapperIttNSC_7greaterItEEEEEE10hipError_tPvRmT0_T1_T2_T3_T4_T5_mmT6_P12ihipStream_tbEUlT_E_NS1_11comp_targetILNS1_3genE3ELNS1_11target_archE908ELNS1_3gpuE7ELNS1_3repE0EEENS1_30default_config_static_selectorELNS0_4arch9wavefront6targetE0EEEvS10_,"axG",@progbits,_ZN7rocprim17ROCPRIM_400000_NS6detail17trampoline_kernelINS0_14default_configENS1_21merge_config_selectorINS0_5tupleIJttEEENS0_10empty_typeEEEZNS1_10merge_implIS3_NS0_12zip_iteratorINS5_IJN6thrust23THRUST_200600_302600_NS6detail15normal_iteratorINSC_10device_ptrIKtEEEESI_EEEEESK_NSA_INS5_IJNSE_INSF_ItEEEESM_EEEEEPS7_SP_SP_NSC_11hip_rocprim7__merge17predicate_wrapperIttNSC_7greaterItEEEEEE10hipError_tPvRmT0_T1_T2_T3_T4_T5_mmT6_P12ihipStream_tbEUlT_E_NS1_11comp_targetILNS1_3genE3ELNS1_11target_archE908ELNS1_3gpuE7ELNS1_3repE0EEENS1_30default_config_static_selectorELNS0_4arch9wavefront6targetE0EEEvS10_,comdat
.Lfunc_end392:
	.size	_ZN7rocprim17ROCPRIM_400000_NS6detail17trampoline_kernelINS0_14default_configENS1_21merge_config_selectorINS0_5tupleIJttEEENS0_10empty_typeEEEZNS1_10merge_implIS3_NS0_12zip_iteratorINS5_IJN6thrust23THRUST_200600_302600_NS6detail15normal_iteratorINSC_10device_ptrIKtEEEESI_EEEEESK_NSA_INS5_IJNSE_INSF_ItEEEESM_EEEEEPS7_SP_SP_NSC_11hip_rocprim7__merge17predicate_wrapperIttNSC_7greaterItEEEEEE10hipError_tPvRmT0_T1_T2_T3_T4_T5_mmT6_P12ihipStream_tbEUlT_E_NS1_11comp_targetILNS1_3genE3ELNS1_11target_archE908ELNS1_3gpuE7ELNS1_3repE0EEENS1_30default_config_static_selectorELNS0_4arch9wavefront6targetE0EEEvS10_, .Lfunc_end392-_ZN7rocprim17ROCPRIM_400000_NS6detail17trampoline_kernelINS0_14default_configENS1_21merge_config_selectorINS0_5tupleIJttEEENS0_10empty_typeEEEZNS1_10merge_implIS3_NS0_12zip_iteratorINS5_IJN6thrust23THRUST_200600_302600_NS6detail15normal_iteratorINSC_10device_ptrIKtEEEESI_EEEEESK_NSA_INS5_IJNSE_INSF_ItEEEESM_EEEEEPS7_SP_SP_NSC_11hip_rocprim7__merge17predicate_wrapperIttNSC_7greaterItEEEEEE10hipError_tPvRmT0_T1_T2_T3_T4_T5_mmT6_P12ihipStream_tbEUlT_E_NS1_11comp_targetILNS1_3genE3ELNS1_11target_archE908ELNS1_3gpuE7ELNS1_3repE0EEENS1_30default_config_static_selectorELNS0_4arch9wavefront6targetE0EEEvS10_
                                        ; -- End function
	.set _ZN7rocprim17ROCPRIM_400000_NS6detail17trampoline_kernelINS0_14default_configENS1_21merge_config_selectorINS0_5tupleIJttEEENS0_10empty_typeEEEZNS1_10merge_implIS3_NS0_12zip_iteratorINS5_IJN6thrust23THRUST_200600_302600_NS6detail15normal_iteratorINSC_10device_ptrIKtEEEESI_EEEEESK_NSA_INS5_IJNSE_INSF_ItEEEESM_EEEEEPS7_SP_SP_NSC_11hip_rocprim7__merge17predicate_wrapperIttNSC_7greaterItEEEEEE10hipError_tPvRmT0_T1_T2_T3_T4_T5_mmT6_P12ihipStream_tbEUlT_E_NS1_11comp_targetILNS1_3genE3ELNS1_11target_archE908ELNS1_3gpuE7ELNS1_3repE0EEENS1_30default_config_static_selectorELNS0_4arch9wavefront6targetE0EEEvS10_.num_vgpr, 0
	.set _ZN7rocprim17ROCPRIM_400000_NS6detail17trampoline_kernelINS0_14default_configENS1_21merge_config_selectorINS0_5tupleIJttEEENS0_10empty_typeEEEZNS1_10merge_implIS3_NS0_12zip_iteratorINS5_IJN6thrust23THRUST_200600_302600_NS6detail15normal_iteratorINSC_10device_ptrIKtEEEESI_EEEEESK_NSA_INS5_IJNSE_INSF_ItEEEESM_EEEEEPS7_SP_SP_NSC_11hip_rocprim7__merge17predicate_wrapperIttNSC_7greaterItEEEEEE10hipError_tPvRmT0_T1_T2_T3_T4_T5_mmT6_P12ihipStream_tbEUlT_E_NS1_11comp_targetILNS1_3genE3ELNS1_11target_archE908ELNS1_3gpuE7ELNS1_3repE0EEENS1_30default_config_static_selectorELNS0_4arch9wavefront6targetE0EEEvS10_.num_agpr, 0
	.set _ZN7rocprim17ROCPRIM_400000_NS6detail17trampoline_kernelINS0_14default_configENS1_21merge_config_selectorINS0_5tupleIJttEEENS0_10empty_typeEEEZNS1_10merge_implIS3_NS0_12zip_iteratorINS5_IJN6thrust23THRUST_200600_302600_NS6detail15normal_iteratorINSC_10device_ptrIKtEEEESI_EEEEESK_NSA_INS5_IJNSE_INSF_ItEEEESM_EEEEEPS7_SP_SP_NSC_11hip_rocprim7__merge17predicate_wrapperIttNSC_7greaterItEEEEEE10hipError_tPvRmT0_T1_T2_T3_T4_T5_mmT6_P12ihipStream_tbEUlT_E_NS1_11comp_targetILNS1_3genE3ELNS1_11target_archE908ELNS1_3gpuE7ELNS1_3repE0EEENS1_30default_config_static_selectorELNS0_4arch9wavefront6targetE0EEEvS10_.numbered_sgpr, 0
	.set _ZN7rocprim17ROCPRIM_400000_NS6detail17trampoline_kernelINS0_14default_configENS1_21merge_config_selectorINS0_5tupleIJttEEENS0_10empty_typeEEEZNS1_10merge_implIS3_NS0_12zip_iteratorINS5_IJN6thrust23THRUST_200600_302600_NS6detail15normal_iteratorINSC_10device_ptrIKtEEEESI_EEEEESK_NSA_INS5_IJNSE_INSF_ItEEEESM_EEEEEPS7_SP_SP_NSC_11hip_rocprim7__merge17predicate_wrapperIttNSC_7greaterItEEEEEE10hipError_tPvRmT0_T1_T2_T3_T4_T5_mmT6_P12ihipStream_tbEUlT_E_NS1_11comp_targetILNS1_3genE3ELNS1_11target_archE908ELNS1_3gpuE7ELNS1_3repE0EEENS1_30default_config_static_selectorELNS0_4arch9wavefront6targetE0EEEvS10_.num_named_barrier, 0
	.set _ZN7rocprim17ROCPRIM_400000_NS6detail17trampoline_kernelINS0_14default_configENS1_21merge_config_selectorINS0_5tupleIJttEEENS0_10empty_typeEEEZNS1_10merge_implIS3_NS0_12zip_iteratorINS5_IJN6thrust23THRUST_200600_302600_NS6detail15normal_iteratorINSC_10device_ptrIKtEEEESI_EEEEESK_NSA_INS5_IJNSE_INSF_ItEEEESM_EEEEEPS7_SP_SP_NSC_11hip_rocprim7__merge17predicate_wrapperIttNSC_7greaterItEEEEEE10hipError_tPvRmT0_T1_T2_T3_T4_T5_mmT6_P12ihipStream_tbEUlT_E_NS1_11comp_targetILNS1_3genE3ELNS1_11target_archE908ELNS1_3gpuE7ELNS1_3repE0EEENS1_30default_config_static_selectorELNS0_4arch9wavefront6targetE0EEEvS10_.private_seg_size, 0
	.set _ZN7rocprim17ROCPRIM_400000_NS6detail17trampoline_kernelINS0_14default_configENS1_21merge_config_selectorINS0_5tupleIJttEEENS0_10empty_typeEEEZNS1_10merge_implIS3_NS0_12zip_iteratorINS5_IJN6thrust23THRUST_200600_302600_NS6detail15normal_iteratorINSC_10device_ptrIKtEEEESI_EEEEESK_NSA_INS5_IJNSE_INSF_ItEEEESM_EEEEEPS7_SP_SP_NSC_11hip_rocprim7__merge17predicate_wrapperIttNSC_7greaterItEEEEEE10hipError_tPvRmT0_T1_T2_T3_T4_T5_mmT6_P12ihipStream_tbEUlT_E_NS1_11comp_targetILNS1_3genE3ELNS1_11target_archE908ELNS1_3gpuE7ELNS1_3repE0EEENS1_30default_config_static_selectorELNS0_4arch9wavefront6targetE0EEEvS10_.uses_vcc, 0
	.set _ZN7rocprim17ROCPRIM_400000_NS6detail17trampoline_kernelINS0_14default_configENS1_21merge_config_selectorINS0_5tupleIJttEEENS0_10empty_typeEEEZNS1_10merge_implIS3_NS0_12zip_iteratorINS5_IJN6thrust23THRUST_200600_302600_NS6detail15normal_iteratorINSC_10device_ptrIKtEEEESI_EEEEESK_NSA_INS5_IJNSE_INSF_ItEEEESM_EEEEEPS7_SP_SP_NSC_11hip_rocprim7__merge17predicate_wrapperIttNSC_7greaterItEEEEEE10hipError_tPvRmT0_T1_T2_T3_T4_T5_mmT6_P12ihipStream_tbEUlT_E_NS1_11comp_targetILNS1_3genE3ELNS1_11target_archE908ELNS1_3gpuE7ELNS1_3repE0EEENS1_30default_config_static_selectorELNS0_4arch9wavefront6targetE0EEEvS10_.uses_flat_scratch, 0
	.set _ZN7rocprim17ROCPRIM_400000_NS6detail17trampoline_kernelINS0_14default_configENS1_21merge_config_selectorINS0_5tupleIJttEEENS0_10empty_typeEEEZNS1_10merge_implIS3_NS0_12zip_iteratorINS5_IJN6thrust23THRUST_200600_302600_NS6detail15normal_iteratorINSC_10device_ptrIKtEEEESI_EEEEESK_NSA_INS5_IJNSE_INSF_ItEEEESM_EEEEEPS7_SP_SP_NSC_11hip_rocprim7__merge17predicate_wrapperIttNSC_7greaterItEEEEEE10hipError_tPvRmT0_T1_T2_T3_T4_T5_mmT6_P12ihipStream_tbEUlT_E_NS1_11comp_targetILNS1_3genE3ELNS1_11target_archE908ELNS1_3gpuE7ELNS1_3repE0EEENS1_30default_config_static_selectorELNS0_4arch9wavefront6targetE0EEEvS10_.has_dyn_sized_stack, 0
	.set _ZN7rocprim17ROCPRIM_400000_NS6detail17trampoline_kernelINS0_14default_configENS1_21merge_config_selectorINS0_5tupleIJttEEENS0_10empty_typeEEEZNS1_10merge_implIS3_NS0_12zip_iteratorINS5_IJN6thrust23THRUST_200600_302600_NS6detail15normal_iteratorINSC_10device_ptrIKtEEEESI_EEEEESK_NSA_INS5_IJNSE_INSF_ItEEEESM_EEEEEPS7_SP_SP_NSC_11hip_rocprim7__merge17predicate_wrapperIttNSC_7greaterItEEEEEE10hipError_tPvRmT0_T1_T2_T3_T4_T5_mmT6_P12ihipStream_tbEUlT_E_NS1_11comp_targetILNS1_3genE3ELNS1_11target_archE908ELNS1_3gpuE7ELNS1_3repE0EEENS1_30default_config_static_selectorELNS0_4arch9wavefront6targetE0EEEvS10_.has_recursion, 0
	.set _ZN7rocprim17ROCPRIM_400000_NS6detail17trampoline_kernelINS0_14default_configENS1_21merge_config_selectorINS0_5tupleIJttEEENS0_10empty_typeEEEZNS1_10merge_implIS3_NS0_12zip_iteratorINS5_IJN6thrust23THRUST_200600_302600_NS6detail15normal_iteratorINSC_10device_ptrIKtEEEESI_EEEEESK_NSA_INS5_IJNSE_INSF_ItEEEESM_EEEEEPS7_SP_SP_NSC_11hip_rocprim7__merge17predicate_wrapperIttNSC_7greaterItEEEEEE10hipError_tPvRmT0_T1_T2_T3_T4_T5_mmT6_P12ihipStream_tbEUlT_E_NS1_11comp_targetILNS1_3genE3ELNS1_11target_archE908ELNS1_3gpuE7ELNS1_3repE0EEENS1_30default_config_static_selectorELNS0_4arch9wavefront6targetE0EEEvS10_.has_indirect_call, 0
	.section	.AMDGPU.csdata,"",@progbits
; Kernel info:
; codeLenInByte = 0
; TotalNumSgprs: 0
; NumVgprs: 0
; ScratchSize: 0
; MemoryBound: 0
; FloatMode: 240
; IeeeMode: 1
; LDSByteSize: 0 bytes/workgroup (compile time only)
; SGPRBlocks: 0
; VGPRBlocks: 0
; NumSGPRsForWavesPerEU: 1
; NumVGPRsForWavesPerEU: 1
; NamedBarCnt: 0
; Occupancy: 16
; WaveLimiterHint : 0
; COMPUTE_PGM_RSRC2:SCRATCH_EN: 0
; COMPUTE_PGM_RSRC2:USER_SGPR: 2
; COMPUTE_PGM_RSRC2:TRAP_HANDLER: 0
; COMPUTE_PGM_RSRC2:TGID_X_EN: 1
; COMPUTE_PGM_RSRC2:TGID_Y_EN: 0
; COMPUTE_PGM_RSRC2:TGID_Z_EN: 0
; COMPUTE_PGM_RSRC2:TIDIG_COMP_CNT: 0
	.section	.text._ZN7rocprim17ROCPRIM_400000_NS6detail17trampoline_kernelINS0_14default_configENS1_21merge_config_selectorINS0_5tupleIJttEEENS0_10empty_typeEEEZNS1_10merge_implIS3_NS0_12zip_iteratorINS5_IJN6thrust23THRUST_200600_302600_NS6detail15normal_iteratorINSC_10device_ptrIKtEEEESI_EEEEESK_NSA_INS5_IJNSE_INSF_ItEEEESM_EEEEEPS7_SP_SP_NSC_11hip_rocprim7__merge17predicate_wrapperIttNSC_7greaterItEEEEEE10hipError_tPvRmT0_T1_T2_T3_T4_T5_mmT6_P12ihipStream_tbEUlT_E_NS1_11comp_targetILNS1_3genE2ELNS1_11target_archE906ELNS1_3gpuE6ELNS1_3repE0EEENS1_30default_config_static_selectorELNS0_4arch9wavefront6targetE0EEEvS10_,"axG",@progbits,_ZN7rocprim17ROCPRIM_400000_NS6detail17trampoline_kernelINS0_14default_configENS1_21merge_config_selectorINS0_5tupleIJttEEENS0_10empty_typeEEEZNS1_10merge_implIS3_NS0_12zip_iteratorINS5_IJN6thrust23THRUST_200600_302600_NS6detail15normal_iteratorINSC_10device_ptrIKtEEEESI_EEEEESK_NSA_INS5_IJNSE_INSF_ItEEEESM_EEEEEPS7_SP_SP_NSC_11hip_rocprim7__merge17predicate_wrapperIttNSC_7greaterItEEEEEE10hipError_tPvRmT0_T1_T2_T3_T4_T5_mmT6_P12ihipStream_tbEUlT_E_NS1_11comp_targetILNS1_3genE2ELNS1_11target_archE906ELNS1_3gpuE6ELNS1_3repE0EEENS1_30default_config_static_selectorELNS0_4arch9wavefront6targetE0EEEvS10_,comdat
	.protected	_ZN7rocprim17ROCPRIM_400000_NS6detail17trampoline_kernelINS0_14default_configENS1_21merge_config_selectorINS0_5tupleIJttEEENS0_10empty_typeEEEZNS1_10merge_implIS3_NS0_12zip_iteratorINS5_IJN6thrust23THRUST_200600_302600_NS6detail15normal_iteratorINSC_10device_ptrIKtEEEESI_EEEEESK_NSA_INS5_IJNSE_INSF_ItEEEESM_EEEEEPS7_SP_SP_NSC_11hip_rocprim7__merge17predicate_wrapperIttNSC_7greaterItEEEEEE10hipError_tPvRmT0_T1_T2_T3_T4_T5_mmT6_P12ihipStream_tbEUlT_E_NS1_11comp_targetILNS1_3genE2ELNS1_11target_archE906ELNS1_3gpuE6ELNS1_3repE0EEENS1_30default_config_static_selectorELNS0_4arch9wavefront6targetE0EEEvS10_ ; -- Begin function _ZN7rocprim17ROCPRIM_400000_NS6detail17trampoline_kernelINS0_14default_configENS1_21merge_config_selectorINS0_5tupleIJttEEENS0_10empty_typeEEEZNS1_10merge_implIS3_NS0_12zip_iteratorINS5_IJN6thrust23THRUST_200600_302600_NS6detail15normal_iteratorINSC_10device_ptrIKtEEEESI_EEEEESK_NSA_INS5_IJNSE_INSF_ItEEEESM_EEEEEPS7_SP_SP_NSC_11hip_rocprim7__merge17predicate_wrapperIttNSC_7greaterItEEEEEE10hipError_tPvRmT0_T1_T2_T3_T4_T5_mmT6_P12ihipStream_tbEUlT_E_NS1_11comp_targetILNS1_3genE2ELNS1_11target_archE906ELNS1_3gpuE6ELNS1_3repE0EEENS1_30default_config_static_selectorELNS0_4arch9wavefront6targetE0EEEvS10_
	.globl	_ZN7rocprim17ROCPRIM_400000_NS6detail17trampoline_kernelINS0_14default_configENS1_21merge_config_selectorINS0_5tupleIJttEEENS0_10empty_typeEEEZNS1_10merge_implIS3_NS0_12zip_iteratorINS5_IJN6thrust23THRUST_200600_302600_NS6detail15normal_iteratorINSC_10device_ptrIKtEEEESI_EEEEESK_NSA_INS5_IJNSE_INSF_ItEEEESM_EEEEEPS7_SP_SP_NSC_11hip_rocprim7__merge17predicate_wrapperIttNSC_7greaterItEEEEEE10hipError_tPvRmT0_T1_T2_T3_T4_T5_mmT6_P12ihipStream_tbEUlT_E_NS1_11comp_targetILNS1_3genE2ELNS1_11target_archE906ELNS1_3gpuE6ELNS1_3repE0EEENS1_30default_config_static_selectorELNS0_4arch9wavefront6targetE0EEEvS10_
	.p2align	8
	.type	_ZN7rocprim17ROCPRIM_400000_NS6detail17trampoline_kernelINS0_14default_configENS1_21merge_config_selectorINS0_5tupleIJttEEENS0_10empty_typeEEEZNS1_10merge_implIS3_NS0_12zip_iteratorINS5_IJN6thrust23THRUST_200600_302600_NS6detail15normal_iteratorINSC_10device_ptrIKtEEEESI_EEEEESK_NSA_INS5_IJNSE_INSF_ItEEEESM_EEEEEPS7_SP_SP_NSC_11hip_rocprim7__merge17predicate_wrapperIttNSC_7greaterItEEEEEE10hipError_tPvRmT0_T1_T2_T3_T4_T5_mmT6_P12ihipStream_tbEUlT_E_NS1_11comp_targetILNS1_3genE2ELNS1_11target_archE906ELNS1_3gpuE6ELNS1_3repE0EEENS1_30default_config_static_selectorELNS0_4arch9wavefront6targetE0EEEvS10_,@function
_ZN7rocprim17ROCPRIM_400000_NS6detail17trampoline_kernelINS0_14default_configENS1_21merge_config_selectorINS0_5tupleIJttEEENS0_10empty_typeEEEZNS1_10merge_implIS3_NS0_12zip_iteratorINS5_IJN6thrust23THRUST_200600_302600_NS6detail15normal_iteratorINSC_10device_ptrIKtEEEESI_EEEEESK_NSA_INS5_IJNSE_INSF_ItEEEESM_EEEEEPS7_SP_SP_NSC_11hip_rocprim7__merge17predicate_wrapperIttNSC_7greaterItEEEEEE10hipError_tPvRmT0_T1_T2_T3_T4_T5_mmT6_P12ihipStream_tbEUlT_E_NS1_11comp_targetILNS1_3genE2ELNS1_11target_archE906ELNS1_3gpuE6ELNS1_3repE0EEENS1_30default_config_static_selectorELNS0_4arch9wavefront6targetE0EEEvS10_: ; @_ZN7rocprim17ROCPRIM_400000_NS6detail17trampoline_kernelINS0_14default_configENS1_21merge_config_selectorINS0_5tupleIJttEEENS0_10empty_typeEEEZNS1_10merge_implIS3_NS0_12zip_iteratorINS5_IJN6thrust23THRUST_200600_302600_NS6detail15normal_iteratorINSC_10device_ptrIKtEEEESI_EEEEESK_NSA_INS5_IJNSE_INSF_ItEEEESM_EEEEEPS7_SP_SP_NSC_11hip_rocprim7__merge17predicate_wrapperIttNSC_7greaterItEEEEEE10hipError_tPvRmT0_T1_T2_T3_T4_T5_mmT6_P12ihipStream_tbEUlT_E_NS1_11comp_targetILNS1_3genE2ELNS1_11target_archE906ELNS1_3gpuE6ELNS1_3repE0EEENS1_30default_config_static_selectorELNS0_4arch9wavefront6targetE0EEEvS10_
; %bb.0:
	.section	.rodata,"a",@progbits
	.p2align	6, 0x0
	.amdhsa_kernel _ZN7rocprim17ROCPRIM_400000_NS6detail17trampoline_kernelINS0_14default_configENS1_21merge_config_selectorINS0_5tupleIJttEEENS0_10empty_typeEEEZNS1_10merge_implIS3_NS0_12zip_iteratorINS5_IJN6thrust23THRUST_200600_302600_NS6detail15normal_iteratorINSC_10device_ptrIKtEEEESI_EEEEESK_NSA_INS5_IJNSE_INSF_ItEEEESM_EEEEEPS7_SP_SP_NSC_11hip_rocprim7__merge17predicate_wrapperIttNSC_7greaterItEEEEEE10hipError_tPvRmT0_T1_T2_T3_T4_T5_mmT6_P12ihipStream_tbEUlT_E_NS1_11comp_targetILNS1_3genE2ELNS1_11target_archE906ELNS1_3gpuE6ELNS1_3repE0EEENS1_30default_config_static_selectorELNS0_4arch9wavefront6targetE0EEEvS10_
		.amdhsa_group_segment_fixed_size 0
		.amdhsa_private_segment_fixed_size 0
		.amdhsa_kernarg_size 64
		.amdhsa_user_sgpr_count 2
		.amdhsa_user_sgpr_dispatch_ptr 0
		.amdhsa_user_sgpr_queue_ptr 0
		.amdhsa_user_sgpr_kernarg_segment_ptr 1
		.amdhsa_user_sgpr_dispatch_id 0
		.amdhsa_user_sgpr_kernarg_preload_length 0
		.amdhsa_user_sgpr_kernarg_preload_offset 0
		.amdhsa_user_sgpr_private_segment_size 0
		.amdhsa_wavefront_size32 1
		.amdhsa_uses_dynamic_stack 0
		.amdhsa_enable_private_segment 0
		.amdhsa_system_sgpr_workgroup_id_x 1
		.amdhsa_system_sgpr_workgroup_id_y 0
		.amdhsa_system_sgpr_workgroup_id_z 0
		.amdhsa_system_sgpr_workgroup_info 0
		.amdhsa_system_vgpr_workitem_id 0
		.amdhsa_next_free_vgpr 1
		.amdhsa_next_free_sgpr 1
		.amdhsa_named_barrier_count 0
		.amdhsa_reserve_vcc 0
		.amdhsa_float_round_mode_32 0
		.amdhsa_float_round_mode_16_64 0
		.amdhsa_float_denorm_mode_32 3
		.amdhsa_float_denorm_mode_16_64 3
		.amdhsa_fp16_overflow 0
		.amdhsa_memory_ordered 1
		.amdhsa_forward_progress 1
		.amdhsa_inst_pref_size 0
		.amdhsa_round_robin_scheduling 0
		.amdhsa_exception_fp_ieee_invalid_op 0
		.amdhsa_exception_fp_denorm_src 0
		.amdhsa_exception_fp_ieee_div_zero 0
		.amdhsa_exception_fp_ieee_overflow 0
		.amdhsa_exception_fp_ieee_underflow 0
		.amdhsa_exception_fp_ieee_inexact 0
		.amdhsa_exception_int_div_zero 0
	.end_amdhsa_kernel
	.section	.text._ZN7rocprim17ROCPRIM_400000_NS6detail17trampoline_kernelINS0_14default_configENS1_21merge_config_selectorINS0_5tupleIJttEEENS0_10empty_typeEEEZNS1_10merge_implIS3_NS0_12zip_iteratorINS5_IJN6thrust23THRUST_200600_302600_NS6detail15normal_iteratorINSC_10device_ptrIKtEEEESI_EEEEESK_NSA_INS5_IJNSE_INSF_ItEEEESM_EEEEEPS7_SP_SP_NSC_11hip_rocprim7__merge17predicate_wrapperIttNSC_7greaterItEEEEEE10hipError_tPvRmT0_T1_T2_T3_T4_T5_mmT6_P12ihipStream_tbEUlT_E_NS1_11comp_targetILNS1_3genE2ELNS1_11target_archE906ELNS1_3gpuE6ELNS1_3repE0EEENS1_30default_config_static_selectorELNS0_4arch9wavefront6targetE0EEEvS10_,"axG",@progbits,_ZN7rocprim17ROCPRIM_400000_NS6detail17trampoline_kernelINS0_14default_configENS1_21merge_config_selectorINS0_5tupleIJttEEENS0_10empty_typeEEEZNS1_10merge_implIS3_NS0_12zip_iteratorINS5_IJN6thrust23THRUST_200600_302600_NS6detail15normal_iteratorINSC_10device_ptrIKtEEEESI_EEEEESK_NSA_INS5_IJNSE_INSF_ItEEEESM_EEEEEPS7_SP_SP_NSC_11hip_rocprim7__merge17predicate_wrapperIttNSC_7greaterItEEEEEE10hipError_tPvRmT0_T1_T2_T3_T4_T5_mmT6_P12ihipStream_tbEUlT_E_NS1_11comp_targetILNS1_3genE2ELNS1_11target_archE906ELNS1_3gpuE6ELNS1_3repE0EEENS1_30default_config_static_selectorELNS0_4arch9wavefront6targetE0EEEvS10_,comdat
.Lfunc_end393:
	.size	_ZN7rocprim17ROCPRIM_400000_NS6detail17trampoline_kernelINS0_14default_configENS1_21merge_config_selectorINS0_5tupleIJttEEENS0_10empty_typeEEEZNS1_10merge_implIS3_NS0_12zip_iteratorINS5_IJN6thrust23THRUST_200600_302600_NS6detail15normal_iteratorINSC_10device_ptrIKtEEEESI_EEEEESK_NSA_INS5_IJNSE_INSF_ItEEEESM_EEEEEPS7_SP_SP_NSC_11hip_rocprim7__merge17predicate_wrapperIttNSC_7greaterItEEEEEE10hipError_tPvRmT0_T1_T2_T3_T4_T5_mmT6_P12ihipStream_tbEUlT_E_NS1_11comp_targetILNS1_3genE2ELNS1_11target_archE906ELNS1_3gpuE6ELNS1_3repE0EEENS1_30default_config_static_selectorELNS0_4arch9wavefront6targetE0EEEvS10_, .Lfunc_end393-_ZN7rocprim17ROCPRIM_400000_NS6detail17trampoline_kernelINS0_14default_configENS1_21merge_config_selectorINS0_5tupleIJttEEENS0_10empty_typeEEEZNS1_10merge_implIS3_NS0_12zip_iteratorINS5_IJN6thrust23THRUST_200600_302600_NS6detail15normal_iteratorINSC_10device_ptrIKtEEEESI_EEEEESK_NSA_INS5_IJNSE_INSF_ItEEEESM_EEEEEPS7_SP_SP_NSC_11hip_rocprim7__merge17predicate_wrapperIttNSC_7greaterItEEEEEE10hipError_tPvRmT0_T1_T2_T3_T4_T5_mmT6_P12ihipStream_tbEUlT_E_NS1_11comp_targetILNS1_3genE2ELNS1_11target_archE906ELNS1_3gpuE6ELNS1_3repE0EEENS1_30default_config_static_selectorELNS0_4arch9wavefront6targetE0EEEvS10_
                                        ; -- End function
	.set _ZN7rocprim17ROCPRIM_400000_NS6detail17trampoline_kernelINS0_14default_configENS1_21merge_config_selectorINS0_5tupleIJttEEENS0_10empty_typeEEEZNS1_10merge_implIS3_NS0_12zip_iteratorINS5_IJN6thrust23THRUST_200600_302600_NS6detail15normal_iteratorINSC_10device_ptrIKtEEEESI_EEEEESK_NSA_INS5_IJNSE_INSF_ItEEEESM_EEEEEPS7_SP_SP_NSC_11hip_rocprim7__merge17predicate_wrapperIttNSC_7greaterItEEEEEE10hipError_tPvRmT0_T1_T2_T3_T4_T5_mmT6_P12ihipStream_tbEUlT_E_NS1_11comp_targetILNS1_3genE2ELNS1_11target_archE906ELNS1_3gpuE6ELNS1_3repE0EEENS1_30default_config_static_selectorELNS0_4arch9wavefront6targetE0EEEvS10_.num_vgpr, 0
	.set _ZN7rocprim17ROCPRIM_400000_NS6detail17trampoline_kernelINS0_14default_configENS1_21merge_config_selectorINS0_5tupleIJttEEENS0_10empty_typeEEEZNS1_10merge_implIS3_NS0_12zip_iteratorINS5_IJN6thrust23THRUST_200600_302600_NS6detail15normal_iteratorINSC_10device_ptrIKtEEEESI_EEEEESK_NSA_INS5_IJNSE_INSF_ItEEEESM_EEEEEPS7_SP_SP_NSC_11hip_rocprim7__merge17predicate_wrapperIttNSC_7greaterItEEEEEE10hipError_tPvRmT0_T1_T2_T3_T4_T5_mmT6_P12ihipStream_tbEUlT_E_NS1_11comp_targetILNS1_3genE2ELNS1_11target_archE906ELNS1_3gpuE6ELNS1_3repE0EEENS1_30default_config_static_selectorELNS0_4arch9wavefront6targetE0EEEvS10_.num_agpr, 0
	.set _ZN7rocprim17ROCPRIM_400000_NS6detail17trampoline_kernelINS0_14default_configENS1_21merge_config_selectorINS0_5tupleIJttEEENS0_10empty_typeEEEZNS1_10merge_implIS3_NS0_12zip_iteratorINS5_IJN6thrust23THRUST_200600_302600_NS6detail15normal_iteratorINSC_10device_ptrIKtEEEESI_EEEEESK_NSA_INS5_IJNSE_INSF_ItEEEESM_EEEEEPS7_SP_SP_NSC_11hip_rocprim7__merge17predicate_wrapperIttNSC_7greaterItEEEEEE10hipError_tPvRmT0_T1_T2_T3_T4_T5_mmT6_P12ihipStream_tbEUlT_E_NS1_11comp_targetILNS1_3genE2ELNS1_11target_archE906ELNS1_3gpuE6ELNS1_3repE0EEENS1_30default_config_static_selectorELNS0_4arch9wavefront6targetE0EEEvS10_.numbered_sgpr, 0
	.set _ZN7rocprim17ROCPRIM_400000_NS6detail17trampoline_kernelINS0_14default_configENS1_21merge_config_selectorINS0_5tupleIJttEEENS0_10empty_typeEEEZNS1_10merge_implIS3_NS0_12zip_iteratorINS5_IJN6thrust23THRUST_200600_302600_NS6detail15normal_iteratorINSC_10device_ptrIKtEEEESI_EEEEESK_NSA_INS5_IJNSE_INSF_ItEEEESM_EEEEEPS7_SP_SP_NSC_11hip_rocprim7__merge17predicate_wrapperIttNSC_7greaterItEEEEEE10hipError_tPvRmT0_T1_T2_T3_T4_T5_mmT6_P12ihipStream_tbEUlT_E_NS1_11comp_targetILNS1_3genE2ELNS1_11target_archE906ELNS1_3gpuE6ELNS1_3repE0EEENS1_30default_config_static_selectorELNS0_4arch9wavefront6targetE0EEEvS10_.num_named_barrier, 0
	.set _ZN7rocprim17ROCPRIM_400000_NS6detail17trampoline_kernelINS0_14default_configENS1_21merge_config_selectorINS0_5tupleIJttEEENS0_10empty_typeEEEZNS1_10merge_implIS3_NS0_12zip_iteratorINS5_IJN6thrust23THRUST_200600_302600_NS6detail15normal_iteratorINSC_10device_ptrIKtEEEESI_EEEEESK_NSA_INS5_IJNSE_INSF_ItEEEESM_EEEEEPS7_SP_SP_NSC_11hip_rocprim7__merge17predicate_wrapperIttNSC_7greaterItEEEEEE10hipError_tPvRmT0_T1_T2_T3_T4_T5_mmT6_P12ihipStream_tbEUlT_E_NS1_11comp_targetILNS1_3genE2ELNS1_11target_archE906ELNS1_3gpuE6ELNS1_3repE0EEENS1_30default_config_static_selectorELNS0_4arch9wavefront6targetE0EEEvS10_.private_seg_size, 0
	.set _ZN7rocprim17ROCPRIM_400000_NS6detail17trampoline_kernelINS0_14default_configENS1_21merge_config_selectorINS0_5tupleIJttEEENS0_10empty_typeEEEZNS1_10merge_implIS3_NS0_12zip_iteratorINS5_IJN6thrust23THRUST_200600_302600_NS6detail15normal_iteratorINSC_10device_ptrIKtEEEESI_EEEEESK_NSA_INS5_IJNSE_INSF_ItEEEESM_EEEEEPS7_SP_SP_NSC_11hip_rocprim7__merge17predicate_wrapperIttNSC_7greaterItEEEEEE10hipError_tPvRmT0_T1_T2_T3_T4_T5_mmT6_P12ihipStream_tbEUlT_E_NS1_11comp_targetILNS1_3genE2ELNS1_11target_archE906ELNS1_3gpuE6ELNS1_3repE0EEENS1_30default_config_static_selectorELNS0_4arch9wavefront6targetE0EEEvS10_.uses_vcc, 0
	.set _ZN7rocprim17ROCPRIM_400000_NS6detail17trampoline_kernelINS0_14default_configENS1_21merge_config_selectorINS0_5tupleIJttEEENS0_10empty_typeEEEZNS1_10merge_implIS3_NS0_12zip_iteratorINS5_IJN6thrust23THRUST_200600_302600_NS6detail15normal_iteratorINSC_10device_ptrIKtEEEESI_EEEEESK_NSA_INS5_IJNSE_INSF_ItEEEESM_EEEEEPS7_SP_SP_NSC_11hip_rocprim7__merge17predicate_wrapperIttNSC_7greaterItEEEEEE10hipError_tPvRmT0_T1_T2_T3_T4_T5_mmT6_P12ihipStream_tbEUlT_E_NS1_11comp_targetILNS1_3genE2ELNS1_11target_archE906ELNS1_3gpuE6ELNS1_3repE0EEENS1_30default_config_static_selectorELNS0_4arch9wavefront6targetE0EEEvS10_.uses_flat_scratch, 0
	.set _ZN7rocprim17ROCPRIM_400000_NS6detail17trampoline_kernelINS0_14default_configENS1_21merge_config_selectorINS0_5tupleIJttEEENS0_10empty_typeEEEZNS1_10merge_implIS3_NS0_12zip_iteratorINS5_IJN6thrust23THRUST_200600_302600_NS6detail15normal_iteratorINSC_10device_ptrIKtEEEESI_EEEEESK_NSA_INS5_IJNSE_INSF_ItEEEESM_EEEEEPS7_SP_SP_NSC_11hip_rocprim7__merge17predicate_wrapperIttNSC_7greaterItEEEEEE10hipError_tPvRmT0_T1_T2_T3_T4_T5_mmT6_P12ihipStream_tbEUlT_E_NS1_11comp_targetILNS1_3genE2ELNS1_11target_archE906ELNS1_3gpuE6ELNS1_3repE0EEENS1_30default_config_static_selectorELNS0_4arch9wavefront6targetE0EEEvS10_.has_dyn_sized_stack, 0
	.set _ZN7rocprim17ROCPRIM_400000_NS6detail17trampoline_kernelINS0_14default_configENS1_21merge_config_selectorINS0_5tupleIJttEEENS0_10empty_typeEEEZNS1_10merge_implIS3_NS0_12zip_iteratorINS5_IJN6thrust23THRUST_200600_302600_NS6detail15normal_iteratorINSC_10device_ptrIKtEEEESI_EEEEESK_NSA_INS5_IJNSE_INSF_ItEEEESM_EEEEEPS7_SP_SP_NSC_11hip_rocprim7__merge17predicate_wrapperIttNSC_7greaterItEEEEEE10hipError_tPvRmT0_T1_T2_T3_T4_T5_mmT6_P12ihipStream_tbEUlT_E_NS1_11comp_targetILNS1_3genE2ELNS1_11target_archE906ELNS1_3gpuE6ELNS1_3repE0EEENS1_30default_config_static_selectorELNS0_4arch9wavefront6targetE0EEEvS10_.has_recursion, 0
	.set _ZN7rocprim17ROCPRIM_400000_NS6detail17trampoline_kernelINS0_14default_configENS1_21merge_config_selectorINS0_5tupleIJttEEENS0_10empty_typeEEEZNS1_10merge_implIS3_NS0_12zip_iteratorINS5_IJN6thrust23THRUST_200600_302600_NS6detail15normal_iteratorINSC_10device_ptrIKtEEEESI_EEEEESK_NSA_INS5_IJNSE_INSF_ItEEEESM_EEEEEPS7_SP_SP_NSC_11hip_rocprim7__merge17predicate_wrapperIttNSC_7greaterItEEEEEE10hipError_tPvRmT0_T1_T2_T3_T4_T5_mmT6_P12ihipStream_tbEUlT_E_NS1_11comp_targetILNS1_3genE2ELNS1_11target_archE906ELNS1_3gpuE6ELNS1_3repE0EEENS1_30default_config_static_selectorELNS0_4arch9wavefront6targetE0EEEvS10_.has_indirect_call, 0
	.section	.AMDGPU.csdata,"",@progbits
; Kernel info:
; codeLenInByte = 0
; TotalNumSgprs: 0
; NumVgprs: 0
; ScratchSize: 0
; MemoryBound: 0
; FloatMode: 240
; IeeeMode: 1
; LDSByteSize: 0 bytes/workgroup (compile time only)
; SGPRBlocks: 0
; VGPRBlocks: 0
; NumSGPRsForWavesPerEU: 1
; NumVGPRsForWavesPerEU: 1
; NamedBarCnt: 0
; Occupancy: 16
; WaveLimiterHint : 0
; COMPUTE_PGM_RSRC2:SCRATCH_EN: 0
; COMPUTE_PGM_RSRC2:USER_SGPR: 2
; COMPUTE_PGM_RSRC2:TRAP_HANDLER: 0
; COMPUTE_PGM_RSRC2:TGID_X_EN: 1
; COMPUTE_PGM_RSRC2:TGID_Y_EN: 0
; COMPUTE_PGM_RSRC2:TGID_Z_EN: 0
; COMPUTE_PGM_RSRC2:TIDIG_COMP_CNT: 0
	.section	.text._ZN7rocprim17ROCPRIM_400000_NS6detail17trampoline_kernelINS0_14default_configENS1_21merge_config_selectorINS0_5tupleIJttEEENS0_10empty_typeEEEZNS1_10merge_implIS3_NS0_12zip_iteratorINS5_IJN6thrust23THRUST_200600_302600_NS6detail15normal_iteratorINSC_10device_ptrIKtEEEESI_EEEEESK_NSA_INS5_IJNSE_INSF_ItEEEESM_EEEEEPS7_SP_SP_NSC_11hip_rocprim7__merge17predicate_wrapperIttNSC_7greaterItEEEEEE10hipError_tPvRmT0_T1_T2_T3_T4_T5_mmT6_P12ihipStream_tbEUlT_E_NS1_11comp_targetILNS1_3genE10ELNS1_11target_archE1201ELNS1_3gpuE5ELNS1_3repE0EEENS1_30default_config_static_selectorELNS0_4arch9wavefront6targetE0EEEvS10_,"axG",@progbits,_ZN7rocprim17ROCPRIM_400000_NS6detail17trampoline_kernelINS0_14default_configENS1_21merge_config_selectorINS0_5tupleIJttEEENS0_10empty_typeEEEZNS1_10merge_implIS3_NS0_12zip_iteratorINS5_IJN6thrust23THRUST_200600_302600_NS6detail15normal_iteratorINSC_10device_ptrIKtEEEESI_EEEEESK_NSA_INS5_IJNSE_INSF_ItEEEESM_EEEEEPS7_SP_SP_NSC_11hip_rocprim7__merge17predicate_wrapperIttNSC_7greaterItEEEEEE10hipError_tPvRmT0_T1_T2_T3_T4_T5_mmT6_P12ihipStream_tbEUlT_E_NS1_11comp_targetILNS1_3genE10ELNS1_11target_archE1201ELNS1_3gpuE5ELNS1_3repE0EEENS1_30default_config_static_selectorELNS0_4arch9wavefront6targetE0EEEvS10_,comdat
	.protected	_ZN7rocprim17ROCPRIM_400000_NS6detail17trampoline_kernelINS0_14default_configENS1_21merge_config_selectorINS0_5tupleIJttEEENS0_10empty_typeEEEZNS1_10merge_implIS3_NS0_12zip_iteratorINS5_IJN6thrust23THRUST_200600_302600_NS6detail15normal_iteratorINSC_10device_ptrIKtEEEESI_EEEEESK_NSA_INS5_IJNSE_INSF_ItEEEESM_EEEEEPS7_SP_SP_NSC_11hip_rocprim7__merge17predicate_wrapperIttNSC_7greaterItEEEEEE10hipError_tPvRmT0_T1_T2_T3_T4_T5_mmT6_P12ihipStream_tbEUlT_E_NS1_11comp_targetILNS1_3genE10ELNS1_11target_archE1201ELNS1_3gpuE5ELNS1_3repE0EEENS1_30default_config_static_selectorELNS0_4arch9wavefront6targetE0EEEvS10_ ; -- Begin function _ZN7rocprim17ROCPRIM_400000_NS6detail17trampoline_kernelINS0_14default_configENS1_21merge_config_selectorINS0_5tupleIJttEEENS0_10empty_typeEEEZNS1_10merge_implIS3_NS0_12zip_iteratorINS5_IJN6thrust23THRUST_200600_302600_NS6detail15normal_iteratorINSC_10device_ptrIKtEEEESI_EEEEESK_NSA_INS5_IJNSE_INSF_ItEEEESM_EEEEEPS7_SP_SP_NSC_11hip_rocprim7__merge17predicate_wrapperIttNSC_7greaterItEEEEEE10hipError_tPvRmT0_T1_T2_T3_T4_T5_mmT6_P12ihipStream_tbEUlT_E_NS1_11comp_targetILNS1_3genE10ELNS1_11target_archE1201ELNS1_3gpuE5ELNS1_3repE0EEENS1_30default_config_static_selectorELNS0_4arch9wavefront6targetE0EEEvS10_
	.globl	_ZN7rocprim17ROCPRIM_400000_NS6detail17trampoline_kernelINS0_14default_configENS1_21merge_config_selectorINS0_5tupleIJttEEENS0_10empty_typeEEEZNS1_10merge_implIS3_NS0_12zip_iteratorINS5_IJN6thrust23THRUST_200600_302600_NS6detail15normal_iteratorINSC_10device_ptrIKtEEEESI_EEEEESK_NSA_INS5_IJNSE_INSF_ItEEEESM_EEEEEPS7_SP_SP_NSC_11hip_rocprim7__merge17predicate_wrapperIttNSC_7greaterItEEEEEE10hipError_tPvRmT0_T1_T2_T3_T4_T5_mmT6_P12ihipStream_tbEUlT_E_NS1_11comp_targetILNS1_3genE10ELNS1_11target_archE1201ELNS1_3gpuE5ELNS1_3repE0EEENS1_30default_config_static_selectorELNS0_4arch9wavefront6targetE0EEEvS10_
	.p2align	8
	.type	_ZN7rocprim17ROCPRIM_400000_NS6detail17trampoline_kernelINS0_14default_configENS1_21merge_config_selectorINS0_5tupleIJttEEENS0_10empty_typeEEEZNS1_10merge_implIS3_NS0_12zip_iteratorINS5_IJN6thrust23THRUST_200600_302600_NS6detail15normal_iteratorINSC_10device_ptrIKtEEEESI_EEEEESK_NSA_INS5_IJNSE_INSF_ItEEEESM_EEEEEPS7_SP_SP_NSC_11hip_rocprim7__merge17predicate_wrapperIttNSC_7greaterItEEEEEE10hipError_tPvRmT0_T1_T2_T3_T4_T5_mmT6_P12ihipStream_tbEUlT_E_NS1_11comp_targetILNS1_3genE10ELNS1_11target_archE1201ELNS1_3gpuE5ELNS1_3repE0EEENS1_30default_config_static_selectorELNS0_4arch9wavefront6targetE0EEEvS10_,@function
_ZN7rocprim17ROCPRIM_400000_NS6detail17trampoline_kernelINS0_14default_configENS1_21merge_config_selectorINS0_5tupleIJttEEENS0_10empty_typeEEEZNS1_10merge_implIS3_NS0_12zip_iteratorINS5_IJN6thrust23THRUST_200600_302600_NS6detail15normal_iteratorINSC_10device_ptrIKtEEEESI_EEEEESK_NSA_INS5_IJNSE_INSF_ItEEEESM_EEEEEPS7_SP_SP_NSC_11hip_rocprim7__merge17predicate_wrapperIttNSC_7greaterItEEEEEE10hipError_tPvRmT0_T1_T2_T3_T4_T5_mmT6_P12ihipStream_tbEUlT_E_NS1_11comp_targetILNS1_3genE10ELNS1_11target_archE1201ELNS1_3gpuE5ELNS1_3repE0EEENS1_30default_config_static_selectorELNS0_4arch9wavefront6targetE0EEEvS10_: ; @_ZN7rocprim17ROCPRIM_400000_NS6detail17trampoline_kernelINS0_14default_configENS1_21merge_config_selectorINS0_5tupleIJttEEENS0_10empty_typeEEEZNS1_10merge_implIS3_NS0_12zip_iteratorINS5_IJN6thrust23THRUST_200600_302600_NS6detail15normal_iteratorINSC_10device_ptrIKtEEEESI_EEEEESK_NSA_INS5_IJNSE_INSF_ItEEEESM_EEEEEPS7_SP_SP_NSC_11hip_rocprim7__merge17predicate_wrapperIttNSC_7greaterItEEEEEE10hipError_tPvRmT0_T1_T2_T3_T4_T5_mmT6_P12ihipStream_tbEUlT_E_NS1_11comp_targetILNS1_3genE10ELNS1_11target_archE1201ELNS1_3gpuE5ELNS1_3repE0EEENS1_30default_config_static_selectorELNS0_4arch9wavefront6targetE0EEEvS10_
; %bb.0:
	.section	.rodata,"a",@progbits
	.p2align	6, 0x0
	.amdhsa_kernel _ZN7rocprim17ROCPRIM_400000_NS6detail17trampoline_kernelINS0_14default_configENS1_21merge_config_selectorINS0_5tupleIJttEEENS0_10empty_typeEEEZNS1_10merge_implIS3_NS0_12zip_iteratorINS5_IJN6thrust23THRUST_200600_302600_NS6detail15normal_iteratorINSC_10device_ptrIKtEEEESI_EEEEESK_NSA_INS5_IJNSE_INSF_ItEEEESM_EEEEEPS7_SP_SP_NSC_11hip_rocprim7__merge17predicate_wrapperIttNSC_7greaterItEEEEEE10hipError_tPvRmT0_T1_T2_T3_T4_T5_mmT6_P12ihipStream_tbEUlT_E_NS1_11comp_targetILNS1_3genE10ELNS1_11target_archE1201ELNS1_3gpuE5ELNS1_3repE0EEENS1_30default_config_static_selectorELNS0_4arch9wavefront6targetE0EEEvS10_
		.amdhsa_group_segment_fixed_size 0
		.amdhsa_private_segment_fixed_size 0
		.amdhsa_kernarg_size 64
		.amdhsa_user_sgpr_count 2
		.amdhsa_user_sgpr_dispatch_ptr 0
		.amdhsa_user_sgpr_queue_ptr 0
		.amdhsa_user_sgpr_kernarg_segment_ptr 1
		.amdhsa_user_sgpr_dispatch_id 0
		.amdhsa_user_sgpr_kernarg_preload_length 0
		.amdhsa_user_sgpr_kernarg_preload_offset 0
		.amdhsa_user_sgpr_private_segment_size 0
		.amdhsa_wavefront_size32 1
		.amdhsa_uses_dynamic_stack 0
		.amdhsa_enable_private_segment 0
		.amdhsa_system_sgpr_workgroup_id_x 1
		.amdhsa_system_sgpr_workgroup_id_y 0
		.amdhsa_system_sgpr_workgroup_id_z 0
		.amdhsa_system_sgpr_workgroup_info 0
		.amdhsa_system_vgpr_workitem_id 0
		.amdhsa_next_free_vgpr 1
		.amdhsa_next_free_sgpr 1
		.amdhsa_named_barrier_count 0
		.amdhsa_reserve_vcc 0
		.amdhsa_float_round_mode_32 0
		.amdhsa_float_round_mode_16_64 0
		.amdhsa_float_denorm_mode_32 3
		.amdhsa_float_denorm_mode_16_64 3
		.amdhsa_fp16_overflow 0
		.amdhsa_memory_ordered 1
		.amdhsa_forward_progress 1
		.amdhsa_inst_pref_size 0
		.amdhsa_round_robin_scheduling 0
		.amdhsa_exception_fp_ieee_invalid_op 0
		.amdhsa_exception_fp_denorm_src 0
		.amdhsa_exception_fp_ieee_div_zero 0
		.amdhsa_exception_fp_ieee_overflow 0
		.amdhsa_exception_fp_ieee_underflow 0
		.amdhsa_exception_fp_ieee_inexact 0
		.amdhsa_exception_int_div_zero 0
	.end_amdhsa_kernel
	.section	.text._ZN7rocprim17ROCPRIM_400000_NS6detail17trampoline_kernelINS0_14default_configENS1_21merge_config_selectorINS0_5tupleIJttEEENS0_10empty_typeEEEZNS1_10merge_implIS3_NS0_12zip_iteratorINS5_IJN6thrust23THRUST_200600_302600_NS6detail15normal_iteratorINSC_10device_ptrIKtEEEESI_EEEEESK_NSA_INS5_IJNSE_INSF_ItEEEESM_EEEEEPS7_SP_SP_NSC_11hip_rocprim7__merge17predicate_wrapperIttNSC_7greaterItEEEEEE10hipError_tPvRmT0_T1_T2_T3_T4_T5_mmT6_P12ihipStream_tbEUlT_E_NS1_11comp_targetILNS1_3genE10ELNS1_11target_archE1201ELNS1_3gpuE5ELNS1_3repE0EEENS1_30default_config_static_selectorELNS0_4arch9wavefront6targetE0EEEvS10_,"axG",@progbits,_ZN7rocprim17ROCPRIM_400000_NS6detail17trampoline_kernelINS0_14default_configENS1_21merge_config_selectorINS0_5tupleIJttEEENS0_10empty_typeEEEZNS1_10merge_implIS3_NS0_12zip_iteratorINS5_IJN6thrust23THRUST_200600_302600_NS6detail15normal_iteratorINSC_10device_ptrIKtEEEESI_EEEEESK_NSA_INS5_IJNSE_INSF_ItEEEESM_EEEEEPS7_SP_SP_NSC_11hip_rocprim7__merge17predicate_wrapperIttNSC_7greaterItEEEEEE10hipError_tPvRmT0_T1_T2_T3_T4_T5_mmT6_P12ihipStream_tbEUlT_E_NS1_11comp_targetILNS1_3genE10ELNS1_11target_archE1201ELNS1_3gpuE5ELNS1_3repE0EEENS1_30default_config_static_selectorELNS0_4arch9wavefront6targetE0EEEvS10_,comdat
.Lfunc_end394:
	.size	_ZN7rocprim17ROCPRIM_400000_NS6detail17trampoline_kernelINS0_14default_configENS1_21merge_config_selectorINS0_5tupleIJttEEENS0_10empty_typeEEEZNS1_10merge_implIS3_NS0_12zip_iteratorINS5_IJN6thrust23THRUST_200600_302600_NS6detail15normal_iteratorINSC_10device_ptrIKtEEEESI_EEEEESK_NSA_INS5_IJNSE_INSF_ItEEEESM_EEEEEPS7_SP_SP_NSC_11hip_rocprim7__merge17predicate_wrapperIttNSC_7greaterItEEEEEE10hipError_tPvRmT0_T1_T2_T3_T4_T5_mmT6_P12ihipStream_tbEUlT_E_NS1_11comp_targetILNS1_3genE10ELNS1_11target_archE1201ELNS1_3gpuE5ELNS1_3repE0EEENS1_30default_config_static_selectorELNS0_4arch9wavefront6targetE0EEEvS10_, .Lfunc_end394-_ZN7rocprim17ROCPRIM_400000_NS6detail17trampoline_kernelINS0_14default_configENS1_21merge_config_selectorINS0_5tupleIJttEEENS0_10empty_typeEEEZNS1_10merge_implIS3_NS0_12zip_iteratorINS5_IJN6thrust23THRUST_200600_302600_NS6detail15normal_iteratorINSC_10device_ptrIKtEEEESI_EEEEESK_NSA_INS5_IJNSE_INSF_ItEEEESM_EEEEEPS7_SP_SP_NSC_11hip_rocprim7__merge17predicate_wrapperIttNSC_7greaterItEEEEEE10hipError_tPvRmT0_T1_T2_T3_T4_T5_mmT6_P12ihipStream_tbEUlT_E_NS1_11comp_targetILNS1_3genE10ELNS1_11target_archE1201ELNS1_3gpuE5ELNS1_3repE0EEENS1_30default_config_static_selectorELNS0_4arch9wavefront6targetE0EEEvS10_
                                        ; -- End function
	.set _ZN7rocprim17ROCPRIM_400000_NS6detail17trampoline_kernelINS0_14default_configENS1_21merge_config_selectorINS0_5tupleIJttEEENS0_10empty_typeEEEZNS1_10merge_implIS3_NS0_12zip_iteratorINS5_IJN6thrust23THRUST_200600_302600_NS6detail15normal_iteratorINSC_10device_ptrIKtEEEESI_EEEEESK_NSA_INS5_IJNSE_INSF_ItEEEESM_EEEEEPS7_SP_SP_NSC_11hip_rocprim7__merge17predicate_wrapperIttNSC_7greaterItEEEEEE10hipError_tPvRmT0_T1_T2_T3_T4_T5_mmT6_P12ihipStream_tbEUlT_E_NS1_11comp_targetILNS1_3genE10ELNS1_11target_archE1201ELNS1_3gpuE5ELNS1_3repE0EEENS1_30default_config_static_selectorELNS0_4arch9wavefront6targetE0EEEvS10_.num_vgpr, 0
	.set _ZN7rocprim17ROCPRIM_400000_NS6detail17trampoline_kernelINS0_14default_configENS1_21merge_config_selectorINS0_5tupleIJttEEENS0_10empty_typeEEEZNS1_10merge_implIS3_NS0_12zip_iteratorINS5_IJN6thrust23THRUST_200600_302600_NS6detail15normal_iteratorINSC_10device_ptrIKtEEEESI_EEEEESK_NSA_INS5_IJNSE_INSF_ItEEEESM_EEEEEPS7_SP_SP_NSC_11hip_rocprim7__merge17predicate_wrapperIttNSC_7greaterItEEEEEE10hipError_tPvRmT0_T1_T2_T3_T4_T5_mmT6_P12ihipStream_tbEUlT_E_NS1_11comp_targetILNS1_3genE10ELNS1_11target_archE1201ELNS1_3gpuE5ELNS1_3repE0EEENS1_30default_config_static_selectorELNS0_4arch9wavefront6targetE0EEEvS10_.num_agpr, 0
	.set _ZN7rocprim17ROCPRIM_400000_NS6detail17trampoline_kernelINS0_14default_configENS1_21merge_config_selectorINS0_5tupleIJttEEENS0_10empty_typeEEEZNS1_10merge_implIS3_NS0_12zip_iteratorINS5_IJN6thrust23THRUST_200600_302600_NS6detail15normal_iteratorINSC_10device_ptrIKtEEEESI_EEEEESK_NSA_INS5_IJNSE_INSF_ItEEEESM_EEEEEPS7_SP_SP_NSC_11hip_rocprim7__merge17predicate_wrapperIttNSC_7greaterItEEEEEE10hipError_tPvRmT0_T1_T2_T3_T4_T5_mmT6_P12ihipStream_tbEUlT_E_NS1_11comp_targetILNS1_3genE10ELNS1_11target_archE1201ELNS1_3gpuE5ELNS1_3repE0EEENS1_30default_config_static_selectorELNS0_4arch9wavefront6targetE0EEEvS10_.numbered_sgpr, 0
	.set _ZN7rocprim17ROCPRIM_400000_NS6detail17trampoline_kernelINS0_14default_configENS1_21merge_config_selectorINS0_5tupleIJttEEENS0_10empty_typeEEEZNS1_10merge_implIS3_NS0_12zip_iteratorINS5_IJN6thrust23THRUST_200600_302600_NS6detail15normal_iteratorINSC_10device_ptrIKtEEEESI_EEEEESK_NSA_INS5_IJNSE_INSF_ItEEEESM_EEEEEPS7_SP_SP_NSC_11hip_rocprim7__merge17predicate_wrapperIttNSC_7greaterItEEEEEE10hipError_tPvRmT0_T1_T2_T3_T4_T5_mmT6_P12ihipStream_tbEUlT_E_NS1_11comp_targetILNS1_3genE10ELNS1_11target_archE1201ELNS1_3gpuE5ELNS1_3repE0EEENS1_30default_config_static_selectorELNS0_4arch9wavefront6targetE0EEEvS10_.num_named_barrier, 0
	.set _ZN7rocprim17ROCPRIM_400000_NS6detail17trampoline_kernelINS0_14default_configENS1_21merge_config_selectorINS0_5tupleIJttEEENS0_10empty_typeEEEZNS1_10merge_implIS3_NS0_12zip_iteratorINS5_IJN6thrust23THRUST_200600_302600_NS6detail15normal_iteratorINSC_10device_ptrIKtEEEESI_EEEEESK_NSA_INS5_IJNSE_INSF_ItEEEESM_EEEEEPS7_SP_SP_NSC_11hip_rocprim7__merge17predicate_wrapperIttNSC_7greaterItEEEEEE10hipError_tPvRmT0_T1_T2_T3_T4_T5_mmT6_P12ihipStream_tbEUlT_E_NS1_11comp_targetILNS1_3genE10ELNS1_11target_archE1201ELNS1_3gpuE5ELNS1_3repE0EEENS1_30default_config_static_selectorELNS0_4arch9wavefront6targetE0EEEvS10_.private_seg_size, 0
	.set _ZN7rocprim17ROCPRIM_400000_NS6detail17trampoline_kernelINS0_14default_configENS1_21merge_config_selectorINS0_5tupleIJttEEENS0_10empty_typeEEEZNS1_10merge_implIS3_NS0_12zip_iteratorINS5_IJN6thrust23THRUST_200600_302600_NS6detail15normal_iteratorINSC_10device_ptrIKtEEEESI_EEEEESK_NSA_INS5_IJNSE_INSF_ItEEEESM_EEEEEPS7_SP_SP_NSC_11hip_rocprim7__merge17predicate_wrapperIttNSC_7greaterItEEEEEE10hipError_tPvRmT0_T1_T2_T3_T4_T5_mmT6_P12ihipStream_tbEUlT_E_NS1_11comp_targetILNS1_3genE10ELNS1_11target_archE1201ELNS1_3gpuE5ELNS1_3repE0EEENS1_30default_config_static_selectorELNS0_4arch9wavefront6targetE0EEEvS10_.uses_vcc, 0
	.set _ZN7rocprim17ROCPRIM_400000_NS6detail17trampoline_kernelINS0_14default_configENS1_21merge_config_selectorINS0_5tupleIJttEEENS0_10empty_typeEEEZNS1_10merge_implIS3_NS0_12zip_iteratorINS5_IJN6thrust23THRUST_200600_302600_NS6detail15normal_iteratorINSC_10device_ptrIKtEEEESI_EEEEESK_NSA_INS5_IJNSE_INSF_ItEEEESM_EEEEEPS7_SP_SP_NSC_11hip_rocprim7__merge17predicate_wrapperIttNSC_7greaterItEEEEEE10hipError_tPvRmT0_T1_T2_T3_T4_T5_mmT6_P12ihipStream_tbEUlT_E_NS1_11comp_targetILNS1_3genE10ELNS1_11target_archE1201ELNS1_3gpuE5ELNS1_3repE0EEENS1_30default_config_static_selectorELNS0_4arch9wavefront6targetE0EEEvS10_.uses_flat_scratch, 0
	.set _ZN7rocprim17ROCPRIM_400000_NS6detail17trampoline_kernelINS0_14default_configENS1_21merge_config_selectorINS0_5tupleIJttEEENS0_10empty_typeEEEZNS1_10merge_implIS3_NS0_12zip_iteratorINS5_IJN6thrust23THRUST_200600_302600_NS6detail15normal_iteratorINSC_10device_ptrIKtEEEESI_EEEEESK_NSA_INS5_IJNSE_INSF_ItEEEESM_EEEEEPS7_SP_SP_NSC_11hip_rocprim7__merge17predicate_wrapperIttNSC_7greaterItEEEEEE10hipError_tPvRmT0_T1_T2_T3_T4_T5_mmT6_P12ihipStream_tbEUlT_E_NS1_11comp_targetILNS1_3genE10ELNS1_11target_archE1201ELNS1_3gpuE5ELNS1_3repE0EEENS1_30default_config_static_selectorELNS0_4arch9wavefront6targetE0EEEvS10_.has_dyn_sized_stack, 0
	.set _ZN7rocprim17ROCPRIM_400000_NS6detail17trampoline_kernelINS0_14default_configENS1_21merge_config_selectorINS0_5tupleIJttEEENS0_10empty_typeEEEZNS1_10merge_implIS3_NS0_12zip_iteratorINS5_IJN6thrust23THRUST_200600_302600_NS6detail15normal_iteratorINSC_10device_ptrIKtEEEESI_EEEEESK_NSA_INS5_IJNSE_INSF_ItEEEESM_EEEEEPS7_SP_SP_NSC_11hip_rocprim7__merge17predicate_wrapperIttNSC_7greaterItEEEEEE10hipError_tPvRmT0_T1_T2_T3_T4_T5_mmT6_P12ihipStream_tbEUlT_E_NS1_11comp_targetILNS1_3genE10ELNS1_11target_archE1201ELNS1_3gpuE5ELNS1_3repE0EEENS1_30default_config_static_selectorELNS0_4arch9wavefront6targetE0EEEvS10_.has_recursion, 0
	.set _ZN7rocprim17ROCPRIM_400000_NS6detail17trampoline_kernelINS0_14default_configENS1_21merge_config_selectorINS0_5tupleIJttEEENS0_10empty_typeEEEZNS1_10merge_implIS3_NS0_12zip_iteratorINS5_IJN6thrust23THRUST_200600_302600_NS6detail15normal_iteratorINSC_10device_ptrIKtEEEESI_EEEEESK_NSA_INS5_IJNSE_INSF_ItEEEESM_EEEEEPS7_SP_SP_NSC_11hip_rocprim7__merge17predicate_wrapperIttNSC_7greaterItEEEEEE10hipError_tPvRmT0_T1_T2_T3_T4_T5_mmT6_P12ihipStream_tbEUlT_E_NS1_11comp_targetILNS1_3genE10ELNS1_11target_archE1201ELNS1_3gpuE5ELNS1_3repE0EEENS1_30default_config_static_selectorELNS0_4arch9wavefront6targetE0EEEvS10_.has_indirect_call, 0
	.section	.AMDGPU.csdata,"",@progbits
; Kernel info:
; codeLenInByte = 0
; TotalNumSgprs: 0
; NumVgprs: 0
; ScratchSize: 0
; MemoryBound: 0
; FloatMode: 240
; IeeeMode: 1
; LDSByteSize: 0 bytes/workgroup (compile time only)
; SGPRBlocks: 0
; VGPRBlocks: 0
; NumSGPRsForWavesPerEU: 1
; NumVGPRsForWavesPerEU: 1
; NamedBarCnt: 0
; Occupancy: 16
; WaveLimiterHint : 0
; COMPUTE_PGM_RSRC2:SCRATCH_EN: 0
; COMPUTE_PGM_RSRC2:USER_SGPR: 2
; COMPUTE_PGM_RSRC2:TRAP_HANDLER: 0
; COMPUTE_PGM_RSRC2:TGID_X_EN: 1
; COMPUTE_PGM_RSRC2:TGID_Y_EN: 0
; COMPUTE_PGM_RSRC2:TGID_Z_EN: 0
; COMPUTE_PGM_RSRC2:TIDIG_COMP_CNT: 0
	.section	.text._ZN7rocprim17ROCPRIM_400000_NS6detail17trampoline_kernelINS0_14default_configENS1_21merge_config_selectorINS0_5tupleIJttEEENS0_10empty_typeEEEZNS1_10merge_implIS3_NS0_12zip_iteratorINS5_IJN6thrust23THRUST_200600_302600_NS6detail15normal_iteratorINSC_10device_ptrIKtEEEESI_EEEEESK_NSA_INS5_IJNSE_INSF_ItEEEESM_EEEEEPS7_SP_SP_NSC_11hip_rocprim7__merge17predicate_wrapperIttNSC_7greaterItEEEEEE10hipError_tPvRmT0_T1_T2_T3_T4_T5_mmT6_P12ihipStream_tbEUlT_E_NS1_11comp_targetILNS1_3genE10ELNS1_11target_archE1200ELNS1_3gpuE4ELNS1_3repE0EEENS1_30default_config_static_selectorELNS0_4arch9wavefront6targetE0EEEvS10_,"axG",@progbits,_ZN7rocprim17ROCPRIM_400000_NS6detail17trampoline_kernelINS0_14default_configENS1_21merge_config_selectorINS0_5tupleIJttEEENS0_10empty_typeEEEZNS1_10merge_implIS3_NS0_12zip_iteratorINS5_IJN6thrust23THRUST_200600_302600_NS6detail15normal_iteratorINSC_10device_ptrIKtEEEESI_EEEEESK_NSA_INS5_IJNSE_INSF_ItEEEESM_EEEEEPS7_SP_SP_NSC_11hip_rocprim7__merge17predicate_wrapperIttNSC_7greaterItEEEEEE10hipError_tPvRmT0_T1_T2_T3_T4_T5_mmT6_P12ihipStream_tbEUlT_E_NS1_11comp_targetILNS1_3genE10ELNS1_11target_archE1200ELNS1_3gpuE4ELNS1_3repE0EEENS1_30default_config_static_selectorELNS0_4arch9wavefront6targetE0EEEvS10_,comdat
	.protected	_ZN7rocprim17ROCPRIM_400000_NS6detail17trampoline_kernelINS0_14default_configENS1_21merge_config_selectorINS0_5tupleIJttEEENS0_10empty_typeEEEZNS1_10merge_implIS3_NS0_12zip_iteratorINS5_IJN6thrust23THRUST_200600_302600_NS6detail15normal_iteratorINSC_10device_ptrIKtEEEESI_EEEEESK_NSA_INS5_IJNSE_INSF_ItEEEESM_EEEEEPS7_SP_SP_NSC_11hip_rocprim7__merge17predicate_wrapperIttNSC_7greaterItEEEEEE10hipError_tPvRmT0_T1_T2_T3_T4_T5_mmT6_P12ihipStream_tbEUlT_E_NS1_11comp_targetILNS1_3genE10ELNS1_11target_archE1200ELNS1_3gpuE4ELNS1_3repE0EEENS1_30default_config_static_selectorELNS0_4arch9wavefront6targetE0EEEvS10_ ; -- Begin function _ZN7rocprim17ROCPRIM_400000_NS6detail17trampoline_kernelINS0_14default_configENS1_21merge_config_selectorINS0_5tupleIJttEEENS0_10empty_typeEEEZNS1_10merge_implIS3_NS0_12zip_iteratorINS5_IJN6thrust23THRUST_200600_302600_NS6detail15normal_iteratorINSC_10device_ptrIKtEEEESI_EEEEESK_NSA_INS5_IJNSE_INSF_ItEEEESM_EEEEEPS7_SP_SP_NSC_11hip_rocprim7__merge17predicate_wrapperIttNSC_7greaterItEEEEEE10hipError_tPvRmT0_T1_T2_T3_T4_T5_mmT6_P12ihipStream_tbEUlT_E_NS1_11comp_targetILNS1_3genE10ELNS1_11target_archE1200ELNS1_3gpuE4ELNS1_3repE0EEENS1_30default_config_static_selectorELNS0_4arch9wavefront6targetE0EEEvS10_
	.globl	_ZN7rocprim17ROCPRIM_400000_NS6detail17trampoline_kernelINS0_14default_configENS1_21merge_config_selectorINS0_5tupleIJttEEENS0_10empty_typeEEEZNS1_10merge_implIS3_NS0_12zip_iteratorINS5_IJN6thrust23THRUST_200600_302600_NS6detail15normal_iteratorINSC_10device_ptrIKtEEEESI_EEEEESK_NSA_INS5_IJNSE_INSF_ItEEEESM_EEEEEPS7_SP_SP_NSC_11hip_rocprim7__merge17predicate_wrapperIttNSC_7greaterItEEEEEE10hipError_tPvRmT0_T1_T2_T3_T4_T5_mmT6_P12ihipStream_tbEUlT_E_NS1_11comp_targetILNS1_3genE10ELNS1_11target_archE1200ELNS1_3gpuE4ELNS1_3repE0EEENS1_30default_config_static_selectorELNS0_4arch9wavefront6targetE0EEEvS10_
	.p2align	8
	.type	_ZN7rocprim17ROCPRIM_400000_NS6detail17trampoline_kernelINS0_14default_configENS1_21merge_config_selectorINS0_5tupleIJttEEENS0_10empty_typeEEEZNS1_10merge_implIS3_NS0_12zip_iteratorINS5_IJN6thrust23THRUST_200600_302600_NS6detail15normal_iteratorINSC_10device_ptrIKtEEEESI_EEEEESK_NSA_INS5_IJNSE_INSF_ItEEEESM_EEEEEPS7_SP_SP_NSC_11hip_rocprim7__merge17predicate_wrapperIttNSC_7greaterItEEEEEE10hipError_tPvRmT0_T1_T2_T3_T4_T5_mmT6_P12ihipStream_tbEUlT_E_NS1_11comp_targetILNS1_3genE10ELNS1_11target_archE1200ELNS1_3gpuE4ELNS1_3repE0EEENS1_30default_config_static_selectorELNS0_4arch9wavefront6targetE0EEEvS10_,@function
_ZN7rocprim17ROCPRIM_400000_NS6detail17trampoline_kernelINS0_14default_configENS1_21merge_config_selectorINS0_5tupleIJttEEENS0_10empty_typeEEEZNS1_10merge_implIS3_NS0_12zip_iteratorINS5_IJN6thrust23THRUST_200600_302600_NS6detail15normal_iteratorINSC_10device_ptrIKtEEEESI_EEEEESK_NSA_INS5_IJNSE_INSF_ItEEEESM_EEEEEPS7_SP_SP_NSC_11hip_rocprim7__merge17predicate_wrapperIttNSC_7greaterItEEEEEE10hipError_tPvRmT0_T1_T2_T3_T4_T5_mmT6_P12ihipStream_tbEUlT_E_NS1_11comp_targetILNS1_3genE10ELNS1_11target_archE1200ELNS1_3gpuE4ELNS1_3repE0EEENS1_30default_config_static_selectorELNS0_4arch9wavefront6targetE0EEEvS10_: ; @_ZN7rocprim17ROCPRIM_400000_NS6detail17trampoline_kernelINS0_14default_configENS1_21merge_config_selectorINS0_5tupleIJttEEENS0_10empty_typeEEEZNS1_10merge_implIS3_NS0_12zip_iteratorINS5_IJN6thrust23THRUST_200600_302600_NS6detail15normal_iteratorINSC_10device_ptrIKtEEEESI_EEEEESK_NSA_INS5_IJNSE_INSF_ItEEEESM_EEEEEPS7_SP_SP_NSC_11hip_rocprim7__merge17predicate_wrapperIttNSC_7greaterItEEEEEE10hipError_tPvRmT0_T1_T2_T3_T4_T5_mmT6_P12ihipStream_tbEUlT_E_NS1_11comp_targetILNS1_3genE10ELNS1_11target_archE1200ELNS1_3gpuE4ELNS1_3repE0EEENS1_30default_config_static_selectorELNS0_4arch9wavefront6targetE0EEEvS10_
; %bb.0:
	.section	.rodata,"a",@progbits
	.p2align	6, 0x0
	.amdhsa_kernel _ZN7rocprim17ROCPRIM_400000_NS6detail17trampoline_kernelINS0_14default_configENS1_21merge_config_selectorINS0_5tupleIJttEEENS0_10empty_typeEEEZNS1_10merge_implIS3_NS0_12zip_iteratorINS5_IJN6thrust23THRUST_200600_302600_NS6detail15normal_iteratorINSC_10device_ptrIKtEEEESI_EEEEESK_NSA_INS5_IJNSE_INSF_ItEEEESM_EEEEEPS7_SP_SP_NSC_11hip_rocprim7__merge17predicate_wrapperIttNSC_7greaterItEEEEEE10hipError_tPvRmT0_T1_T2_T3_T4_T5_mmT6_P12ihipStream_tbEUlT_E_NS1_11comp_targetILNS1_3genE10ELNS1_11target_archE1200ELNS1_3gpuE4ELNS1_3repE0EEENS1_30default_config_static_selectorELNS0_4arch9wavefront6targetE0EEEvS10_
		.amdhsa_group_segment_fixed_size 0
		.amdhsa_private_segment_fixed_size 0
		.amdhsa_kernarg_size 64
		.amdhsa_user_sgpr_count 2
		.amdhsa_user_sgpr_dispatch_ptr 0
		.amdhsa_user_sgpr_queue_ptr 0
		.amdhsa_user_sgpr_kernarg_segment_ptr 1
		.amdhsa_user_sgpr_dispatch_id 0
		.amdhsa_user_sgpr_kernarg_preload_length 0
		.amdhsa_user_sgpr_kernarg_preload_offset 0
		.amdhsa_user_sgpr_private_segment_size 0
		.amdhsa_wavefront_size32 1
		.amdhsa_uses_dynamic_stack 0
		.amdhsa_enable_private_segment 0
		.amdhsa_system_sgpr_workgroup_id_x 1
		.amdhsa_system_sgpr_workgroup_id_y 0
		.amdhsa_system_sgpr_workgroup_id_z 0
		.amdhsa_system_sgpr_workgroup_info 0
		.amdhsa_system_vgpr_workitem_id 0
		.amdhsa_next_free_vgpr 1
		.amdhsa_next_free_sgpr 1
		.amdhsa_named_barrier_count 0
		.amdhsa_reserve_vcc 0
		.amdhsa_float_round_mode_32 0
		.amdhsa_float_round_mode_16_64 0
		.amdhsa_float_denorm_mode_32 3
		.amdhsa_float_denorm_mode_16_64 3
		.amdhsa_fp16_overflow 0
		.amdhsa_memory_ordered 1
		.amdhsa_forward_progress 1
		.amdhsa_inst_pref_size 0
		.amdhsa_round_robin_scheduling 0
		.amdhsa_exception_fp_ieee_invalid_op 0
		.amdhsa_exception_fp_denorm_src 0
		.amdhsa_exception_fp_ieee_div_zero 0
		.amdhsa_exception_fp_ieee_overflow 0
		.amdhsa_exception_fp_ieee_underflow 0
		.amdhsa_exception_fp_ieee_inexact 0
		.amdhsa_exception_int_div_zero 0
	.end_amdhsa_kernel
	.section	.text._ZN7rocprim17ROCPRIM_400000_NS6detail17trampoline_kernelINS0_14default_configENS1_21merge_config_selectorINS0_5tupleIJttEEENS0_10empty_typeEEEZNS1_10merge_implIS3_NS0_12zip_iteratorINS5_IJN6thrust23THRUST_200600_302600_NS6detail15normal_iteratorINSC_10device_ptrIKtEEEESI_EEEEESK_NSA_INS5_IJNSE_INSF_ItEEEESM_EEEEEPS7_SP_SP_NSC_11hip_rocprim7__merge17predicate_wrapperIttNSC_7greaterItEEEEEE10hipError_tPvRmT0_T1_T2_T3_T4_T5_mmT6_P12ihipStream_tbEUlT_E_NS1_11comp_targetILNS1_3genE10ELNS1_11target_archE1200ELNS1_3gpuE4ELNS1_3repE0EEENS1_30default_config_static_selectorELNS0_4arch9wavefront6targetE0EEEvS10_,"axG",@progbits,_ZN7rocprim17ROCPRIM_400000_NS6detail17trampoline_kernelINS0_14default_configENS1_21merge_config_selectorINS0_5tupleIJttEEENS0_10empty_typeEEEZNS1_10merge_implIS3_NS0_12zip_iteratorINS5_IJN6thrust23THRUST_200600_302600_NS6detail15normal_iteratorINSC_10device_ptrIKtEEEESI_EEEEESK_NSA_INS5_IJNSE_INSF_ItEEEESM_EEEEEPS7_SP_SP_NSC_11hip_rocprim7__merge17predicate_wrapperIttNSC_7greaterItEEEEEE10hipError_tPvRmT0_T1_T2_T3_T4_T5_mmT6_P12ihipStream_tbEUlT_E_NS1_11comp_targetILNS1_3genE10ELNS1_11target_archE1200ELNS1_3gpuE4ELNS1_3repE0EEENS1_30default_config_static_selectorELNS0_4arch9wavefront6targetE0EEEvS10_,comdat
.Lfunc_end395:
	.size	_ZN7rocprim17ROCPRIM_400000_NS6detail17trampoline_kernelINS0_14default_configENS1_21merge_config_selectorINS0_5tupleIJttEEENS0_10empty_typeEEEZNS1_10merge_implIS3_NS0_12zip_iteratorINS5_IJN6thrust23THRUST_200600_302600_NS6detail15normal_iteratorINSC_10device_ptrIKtEEEESI_EEEEESK_NSA_INS5_IJNSE_INSF_ItEEEESM_EEEEEPS7_SP_SP_NSC_11hip_rocprim7__merge17predicate_wrapperIttNSC_7greaterItEEEEEE10hipError_tPvRmT0_T1_T2_T3_T4_T5_mmT6_P12ihipStream_tbEUlT_E_NS1_11comp_targetILNS1_3genE10ELNS1_11target_archE1200ELNS1_3gpuE4ELNS1_3repE0EEENS1_30default_config_static_selectorELNS0_4arch9wavefront6targetE0EEEvS10_, .Lfunc_end395-_ZN7rocprim17ROCPRIM_400000_NS6detail17trampoline_kernelINS0_14default_configENS1_21merge_config_selectorINS0_5tupleIJttEEENS0_10empty_typeEEEZNS1_10merge_implIS3_NS0_12zip_iteratorINS5_IJN6thrust23THRUST_200600_302600_NS6detail15normal_iteratorINSC_10device_ptrIKtEEEESI_EEEEESK_NSA_INS5_IJNSE_INSF_ItEEEESM_EEEEEPS7_SP_SP_NSC_11hip_rocprim7__merge17predicate_wrapperIttNSC_7greaterItEEEEEE10hipError_tPvRmT0_T1_T2_T3_T4_T5_mmT6_P12ihipStream_tbEUlT_E_NS1_11comp_targetILNS1_3genE10ELNS1_11target_archE1200ELNS1_3gpuE4ELNS1_3repE0EEENS1_30default_config_static_selectorELNS0_4arch9wavefront6targetE0EEEvS10_
                                        ; -- End function
	.set _ZN7rocprim17ROCPRIM_400000_NS6detail17trampoline_kernelINS0_14default_configENS1_21merge_config_selectorINS0_5tupleIJttEEENS0_10empty_typeEEEZNS1_10merge_implIS3_NS0_12zip_iteratorINS5_IJN6thrust23THRUST_200600_302600_NS6detail15normal_iteratorINSC_10device_ptrIKtEEEESI_EEEEESK_NSA_INS5_IJNSE_INSF_ItEEEESM_EEEEEPS7_SP_SP_NSC_11hip_rocprim7__merge17predicate_wrapperIttNSC_7greaterItEEEEEE10hipError_tPvRmT0_T1_T2_T3_T4_T5_mmT6_P12ihipStream_tbEUlT_E_NS1_11comp_targetILNS1_3genE10ELNS1_11target_archE1200ELNS1_3gpuE4ELNS1_3repE0EEENS1_30default_config_static_selectorELNS0_4arch9wavefront6targetE0EEEvS10_.num_vgpr, 0
	.set _ZN7rocprim17ROCPRIM_400000_NS6detail17trampoline_kernelINS0_14default_configENS1_21merge_config_selectorINS0_5tupleIJttEEENS0_10empty_typeEEEZNS1_10merge_implIS3_NS0_12zip_iteratorINS5_IJN6thrust23THRUST_200600_302600_NS6detail15normal_iteratorINSC_10device_ptrIKtEEEESI_EEEEESK_NSA_INS5_IJNSE_INSF_ItEEEESM_EEEEEPS7_SP_SP_NSC_11hip_rocprim7__merge17predicate_wrapperIttNSC_7greaterItEEEEEE10hipError_tPvRmT0_T1_T2_T3_T4_T5_mmT6_P12ihipStream_tbEUlT_E_NS1_11comp_targetILNS1_3genE10ELNS1_11target_archE1200ELNS1_3gpuE4ELNS1_3repE0EEENS1_30default_config_static_selectorELNS0_4arch9wavefront6targetE0EEEvS10_.num_agpr, 0
	.set _ZN7rocprim17ROCPRIM_400000_NS6detail17trampoline_kernelINS0_14default_configENS1_21merge_config_selectorINS0_5tupleIJttEEENS0_10empty_typeEEEZNS1_10merge_implIS3_NS0_12zip_iteratorINS5_IJN6thrust23THRUST_200600_302600_NS6detail15normal_iteratorINSC_10device_ptrIKtEEEESI_EEEEESK_NSA_INS5_IJNSE_INSF_ItEEEESM_EEEEEPS7_SP_SP_NSC_11hip_rocprim7__merge17predicate_wrapperIttNSC_7greaterItEEEEEE10hipError_tPvRmT0_T1_T2_T3_T4_T5_mmT6_P12ihipStream_tbEUlT_E_NS1_11comp_targetILNS1_3genE10ELNS1_11target_archE1200ELNS1_3gpuE4ELNS1_3repE0EEENS1_30default_config_static_selectorELNS0_4arch9wavefront6targetE0EEEvS10_.numbered_sgpr, 0
	.set _ZN7rocprim17ROCPRIM_400000_NS6detail17trampoline_kernelINS0_14default_configENS1_21merge_config_selectorINS0_5tupleIJttEEENS0_10empty_typeEEEZNS1_10merge_implIS3_NS0_12zip_iteratorINS5_IJN6thrust23THRUST_200600_302600_NS6detail15normal_iteratorINSC_10device_ptrIKtEEEESI_EEEEESK_NSA_INS5_IJNSE_INSF_ItEEEESM_EEEEEPS7_SP_SP_NSC_11hip_rocprim7__merge17predicate_wrapperIttNSC_7greaterItEEEEEE10hipError_tPvRmT0_T1_T2_T3_T4_T5_mmT6_P12ihipStream_tbEUlT_E_NS1_11comp_targetILNS1_3genE10ELNS1_11target_archE1200ELNS1_3gpuE4ELNS1_3repE0EEENS1_30default_config_static_selectorELNS0_4arch9wavefront6targetE0EEEvS10_.num_named_barrier, 0
	.set _ZN7rocprim17ROCPRIM_400000_NS6detail17trampoline_kernelINS0_14default_configENS1_21merge_config_selectorINS0_5tupleIJttEEENS0_10empty_typeEEEZNS1_10merge_implIS3_NS0_12zip_iteratorINS5_IJN6thrust23THRUST_200600_302600_NS6detail15normal_iteratorINSC_10device_ptrIKtEEEESI_EEEEESK_NSA_INS5_IJNSE_INSF_ItEEEESM_EEEEEPS7_SP_SP_NSC_11hip_rocprim7__merge17predicate_wrapperIttNSC_7greaterItEEEEEE10hipError_tPvRmT0_T1_T2_T3_T4_T5_mmT6_P12ihipStream_tbEUlT_E_NS1_11comp_targetILNS1_3genE10ELNS1_11target_archE1200ELNS1_3gpuE4ELNS1_3repE0EEENS1_30default_config_static_selectorELNS0_4arch9wavefront6targetE0EEEvS10_.private_seg_size, 0
	.set _ZN7rocprim17ROCPRIM_400000_NS6detail17trampoline_kernelINS0_14default_configENS1_21merge_config_selectorINS0_5tupleIJttEEENS0_10empty_typeEEEZNS1_10merge_implIS3_NS0_12zip_iteratorINS5_IJN6thrust23THRUST_200600_302600_NS6detail15normal_iteratorINSC_10device_ptrIKtEEEESI_EEEEESK_NSA_INS5_IJNSE_INSF_ItEEEESM_EEEEEPS7_SP_SP_NSC_11hip_rocprim7__merge17predicate_wrapperIttNSC_7greaterItEEEEEE10hipError_tPvRmT0_T1_T2_T3_T4_T5_mmT6_P12ihipStream_tbEUlT_E_NS1_11comp_targetILNS1_3genE10ELNS1_11target_archE1200ELNS1_3gpuE4ELNS1_3repE0EEENS1_30default_config_static_selectorELNS0_4arch9wavefront6targetE0EEEvS10_.uses_vcc, 0
	.set _ZN7rocprim17ROCPRIM_400000_NS6detail17trampoline_kernelINS0_14default_configENS1_21merge_config_selectorINS0_5tupleIJttEEENS0_10empty_typeEEEZNS1_10merge_implIS3_NS0_12zip_iteratorINS5_IJN6thrust23THRUST_200600_302600_NS6detail15normal_iteratorINSC_10device_ptrIKtEEEESI_EEEEESK_NSA_INS5_IJNSE_INSF_ItEEEESM_EEEEEPS7_SP_SP_NSC_11hip_rocprim7__merge17predicate_wrapperIttNSC_7greaterItEEEEEE10hipError_tPvRmT0_T1_T2_T3_T4_T5_mmT6_P12ihipStream_tbEUlT_E_NS1_11comp_targetILNS1_3genE10ELNS1_11target_archE1200ELNS1_3gpuE4ELNS1_3repE0EEENS1_30default_config_static_selectorELNS0_4arch9wavefront6targetE0EEEvS10_.uses_flat_scratch, 0
	.set _ZN7rocprim17ROCPRIM_400000_NS6detail17trampoline_kernelINS0_14default_configENS1_21merge_config_selectorINS0_5tupleIJttEEENS0_10empty_typeEEEZNS1_10merge_implIS3_NS0_12zip_iteratorINS5_IJN6thrust23THRUST_200600_302600_NS6detail15normal_iteratorINSC_10device_ptrIKtEEEESI_EEEEESK_NSA_INS5_IJNSE_INSF_ItEEEESM_EEEEEPS7_SP_SP_NSC_11hip_rocprim7__merge17predicate_wrapperIttNSC_7greaterItEEEEEE10hipError_tPvRmT0_T1_T2_T3_T4_T5_mmT6_P12ihipStream_tbEUlT_E_NS1_11comp_targetILNS1_3genE10ELNS1_11target_archE1200ELNS1_3gpuE4ELNS1_3repE0EEENS1_30default_config_static_selectorELNS0_4arch9wavefront6targetE0EEEvS10_.has_dyn_sized_stack, 0
	.set _ZN7rocprim17ROCPRIM_400000_NS6detail17trampoline_kernelINS0_14default_configENS1_21merge_config_selectorINS0_5tupleIJttEEENS0_10empty_typeEEEZNS1_10merge_implIS3_NS0_12zip_iteratorINS5_IJN6thrust23THRUST_200600_302600_NS6detail15normal_iteratorINSC_10device_ptrIKtEEEESI_EEEEESK_NSA_INS5_IJNSE_INSF_ItEEEESM_EEEEEPS7_SP_SP_NSC_11hip_rocprim7__merge17predicate_wrapperIttNSC_7greaterItEEEEEE10hipError_tPvRmT0_T1_T2_T3_T4_T5_mmT6_P12ihipStream_tbEUlT_E_NS1_11comp_targetILNS1_3genE10ELNS1_11target_archE1200ELNS1_3gpuE4ELNS1_3repE0EEENS1_30default_config_static_selectorELNS0_4arch9wavefront6targetE0EEEvS10_.has_recursion, 0
	.set _ZN7rocprim17ROCPRIM_400000_NS6detail17trampoline_kernelINS0_14default_configENS1_21merge_config_selectorINS0_5tupleIJttEEENS0_10empty_typeEEEZNS1_10merge_implIS3_NS0_12zip_iteratorINS5_IJN6thrust23THRUST_200600_302600_NS6detail15normal_iteratorINSC_10device_ptrIKtEEEESI_EEEEESK_NSA_INS5_IJNSE_INSF_ItEEEESM_EEEEEPS7_SP_SP_NSC_11hip_rocprim7__merge17predicate_wrapperIttNSC_7greaterItEEEEEE10hipError_tPvRmT0_T1_T2_T3_T4_T5_mmT6_P12ihipStream_tbEUlT_E_NS1_11comp_targetILNS1_3genE10ELNS1_11target_archE1200ELNS1_3gpuE4ELNS1_3repE0EEENS1_30default_config_static_selectorELNS0_4arch9wavefront6targetE0EEEvS10_.has_indirect_call, 0
	.section	.AMDGPU.csdata,"",@progbits
; Kernel info:
; codeLenInByte = 0
; TotalNumSgprs: 0
; NumVgprs: 0
; ScratchSize: 0
; MemoryBound: 0
; FloatMode: 240
; IeeeMode: 1
; LDSByteSize: 0 bytes/workgroup (compile time only)
; SGPRBlocks: 0
; VGPRBlocks: 0
; NumSGPRsForWavesPerEU: 1
; NumVGPRsForWavesPerEU: 1
; NamedBarCnt: 0
; Occupancy: 16
; WaveLimiterHint : 0
; COMPUTE_PGM_RSRC2:SCRATCH_EN: 0
; COMPUTE_PGM_RSRC2:USER_SGPR: 2
; COMPUTE_PGM_RSRC2:TRAP_HANDLER: 0
; COMPUTE_PGM_RSRC2:TGID_X_EN: 1
; COMPUTE_PGM_RSRC2:TGID_Y_EN: 0
; COMPUTE_PGM_RSRC2:TGID_Z_EN: 0
; COMPUTE_PGM_RSRC2:TIDIG_COMP_CNT: 0
	.section	.text._ZN7rocprim17ROCPRIM_400000_NS6detail17trampoline_kernelINS0_14default_configENS1_21merge_config_selectorINS0_5tupleIJttEEENS0_10empty_typeEEEZNS1_10merge_implIS3_NS0_12zip_iteratorINS5_IJN6thrust23THRUST_200600_302600_NS6detail15normal_iteratorINSC_10device_ptrIKtEEEESI_EEEEESK_NSA_INS5_IJNSE_INSF_ItEEEESM_EEEEEPS7_SP_SP_NSC_11hip_rocprim7__merge17predicate_wrapperIttNSC_7greaterItEEEEEE10hipError_tPvRmT0_T1_T2_T3_T4_T5_mmT6_P12ihipStream_tbEUlT_E_NS1_11comp_targetILNS1_3genE9ELNS1_11target_archE1100ELNS1_3gpuE3ELNS1_3repE0EEENS1_30default_config_static_selectorELNS0_4arch9wavefront6targetE0EEEvS10_,"axG",@progbits,_ZN7rocprim17ROCPRIM_400000_NS6detail17trampoline_kernelINS0_14default_configENS1_21merge_config_selectorINS0_5tupleIJttEEENS0_10empty_typeEEEZNS1_10merge_implIS3_NS0_12zip_iteratorINS5_IJN6thrust23THRUST_200600_302600_NS6detail15normal_iteratorINSC_10device_ptrIKtEEEESI_EEEEESK_NSA_INS5_IJNSE_INSF_ItEEEESM_EEEEEPS7_SP_SP_NSC_11hip_rocprim7__merge17predicate_wrapperIttNSC_7greaterItEEEEEE10hipError_tPvRmT0_T1_T2_T3_T4_T5_mmT6_P12ihipStream_tbEUlT_E_NS1_11comp_targetILNS1_3genE9ELNS1_11target_archE1100ELNS1_3gpuE3ELNS1_3repE0EEENS1_30default_config_static_selectorELNS0_4arch9wavefront6targetE0EEEvS10_,comdat
	.protected	_ZN7rocprim17ROCPRIM_400000_NS6detail17trampoline_kernelINS0_14default_configENS1_21merge_config_selectorINS0_5tupleIJttEEENS0_10empty_typeEEEZNS1_10merge_implIS3_NS0_12zip_iteratorINS5_IJN6thrust23THRUST_200600_302600_NS6detail15normal_iteratorINSC_10device_ptrIKtEEEESI_EEEEESK_NSA_INS5_IJNSE_INSF_ItEEEESM_EEEEEPS7_SP_SP_NSC_11hip_rocprim7__merge17predicate_wrapperIttNSC_7greaterItEEEEEE10hipError_tPvRmT0_T1_T2_T3_T4_T5_mmT6_P12ihipStream_tbEUlT_E_NS1_11comp_targetILNS1_3genE9ELNS1_11target_archE1100ELNS1_3gpuE3ELNS1_3repE0EEENS1_30default_config_static_selectorELNS0_4arch9wavefront6targetE0EEEvS10_ ; -- Begin function _ZN7rocprim17ROCPRIM_400000_NS6detail17trampoline_kernelINS0_14default_configENS1_21merge_config_selectorINS0_5tupleIJttEEENS0_10empty_typeEEEZNS1_10merge_implIS3_NS0_12zip_iteratorINS5_IJN6thrust23THRUST_200600_302600_NS6detail15normal_iteratorINSC_10device_ptrIKtEEEESI_EEEEESK_NSA_INS5_IJNSE_INSF_ItEEEESM_EEEEEPS7_SP_SP_NSC_11hip_rocprim7__merge17predicate_wrapperIttNSC_7greaterItEEEEEE10hipError_tPvRmT0_T1_T2_T3_T4_T5_mmT6_P12ihipStream_tbEUlT_E_NS1_11comp_targetILNS1_3genE9ELNS1_11target_archE1100ELNS1_3gpuE3ELNS1_3repE0EEENS1_30default_config_static_selectorELNS0_4arch9wavefront6targetE0EEEvS10_
	.globl	_ZN7rocprim17ROCPRIM_400000_NS6detail17trampoline_kernelINS0_14default_configENS1_21merge_config_selectorINS0_5tupleIJttEEENS0_10empty_typeEEEZNS1_10merge_implIS3_NS0_12zip_iteratorINS5_IJN6thrust23THRUST_200600_302600_NS6detail15normal_iteratorINSC_10device_ptrIKtEEEESI_EEEEESK_NSA_INS5_IJNSE_INSF_ItEEEESM_EEEEEPS7_SP_SP_NSC_11hip_rocprim7__merge17predicate_wrapperIttNSC_7greaterItEEEEEE10hipError_tPvRmT0_T1_T2_T3_T4_T5_mmT6_P12ihipStream_tbEUlT_E_NS1_11comp_targetILNS1_3genE9ELNS1_11target_archE1100ELNS1_3gpuE3ELNS1_3repE0EEENS1_30default_config_static_selectorELNS0_4arch9wavefront6targetE0EEEvS10_
	.p2align	8
	.type	_ZN7rocprim17ROCPRIM_400000_NS6detail17trampoline_kernelINS0_14default_configENS1_21merge_config_selectorINS0_5tupleIJttEEENS0_10empty_typeEEEZNS1_10merge_implIS3_NS0_12zip_iteratorINS5_IJN6thrust23THRUST_200600_302600_NS6detail15normal_iteratorINSC_10device_ptrIKtEEEESI_EEEEESK_NSA_INS5_IJNSE_INSF_ItEEEESM_EEEEEPS7_SP_SP_NSC_11hip_rocprim7__merge17predicate_wrapperIttNSC_7greaterItEEEEEE10hipError_tPvRmT0_T1_T2_T3_T4_T5_mmT6_P12ihipStream_tbEUlT_E_NS1_11comp_targetILNS1_3genE9ELNS1_11target_archE1100ELNS1_3gpuE3ELNS1_3repE0EEENS1_30default_config_static_selectorELNS0_4arch9wavefront6targetE0EEEvS10_,@function
_ZN7rocprim17ROCPRIM_400000_NS6detail17trampoline_kernelINS0_14default_configENS1_21merge_config_selectorINS0_5tupleIJttEEENS0_10empty_typeEEEZNS1_10merge_implIS3_NS0_12zip_iteratorINS5_IJN6thrust23THRUST_200600_302600_NS6detail15normal_iteratorINSC_10device_ptrIKtEEEESI_EEEEESK_NSA_INS5_IJNSE_INSF_ItEEEESM_EEEEEPS7_SP_SP_NSC_11hip_rocprim7__merge17predicate_wrapperIttNSC_7greaterItEEEEEE10hipError_tPvRmT0_T1_T2_T3_T4_T5_mmT6_P12ihipStream_tbEUlT_E_NS1_11comp_targetILNS1_3genE9ELNS1_11target_archE1100ELNS1_3gpuE3ELNS1_3repE0EEENS1_30default_config_static_selectorELNS0_4arch9wavefront6targetE0EEEvS10_: ; @_ZN7rocprim17ROCPRIM_400000_NS6detail17trampoline_kernelINS0_14default_configENS1_21merge_config_selectorINS0_5tupleIJttEEENS0_10empty_typeEEEZNS1_10merge_implIS3_NS0_12zip_iteratorINS5_IJN6thrust23THRUST_200600_302600_NS6detail15normal_iteratorINSC_10device_ptrIKtEEEESI_EEEEESK_NSA_INS5_IJNSE_INSF_ItEEEESM_EEEEEPS7_SP_SP_NSC_11hip_rocprim7__merge17predicate_wrapperIttNSC_7greaterItEEEEEE10hipError_tPvRmT0_T1_T2_T3_T4_T5_mmT6_P12ihipStream_tbEUlT_E_NS1_11comp_targetILNS1_3genE9ELNS1_11target_archE1100ELNS1_3gpuE3ELNS1_3repE0EEENS1_30default_config_static_selectorELNS0_4arch9wavefront6targetE0EEEvS10_
; %bb.0:
	.section	.rodata,"a",@progbits
	.p2align	6, 0x0
	.amdhsa_kernel _ZN7rocprim17ROCPRIM_400000_NS6detail17trampoline_kernelINS0_14default_configENS1_21merge_config_selectorINS0_5tupleIJttEEENS0_10empty_typeEEEZNS1_10merge_implIS3_NS0_12zip_iteratorINS5_IJN6thrust23THRUST_200600_302600_NS6detail15normal_iteratorINSC_10device_ptrIKtEEEESI_EEEEESK_NSA_INS5_IJNSE_INSF_ItEEEESM_EEEEEPS7_SP_SP_NSC_11hip_rocprim7__merge17predicate_wrapperIttNSC_7greaterItEEEEEE10hipError_tPvRmT0_T1_T2_T3_T4_T5_mmT6_P12ihipStream_tbEUlT_E_NS1_11comp_targetILNS1_3genE9ELNS1_11target_archE1100ELNS1_3gpuE3ELNS1_3repE0EEENS1_30default_config_static_selectorELNS0_4arch9wavefront6targetE0EEEvS10_
		.amdhsa_group_segment_fixed_size 0
		.amdhsa_private_segment_fixed_size 0
		.amdhsa_kernarg_size 64
		.amdhsa_user_sgpr_count 2
		.amdhsa_user_sgpr_dispatch_ptr 0
		.amdhsa_user_sgpr_queue_ptr 0
		.amdhsa_user_sgpr_kernarg_segment_ptr 1
		.amdhsa_user_sgpr_dispatch_id 0
		.amdhsa_user_sgpr_kernarg_preload_length 0
		.amdhsa_user_sgpr_kernarg_preload_offset 0
		.amdhsa_user_sgpr_private_segment_size 0
		.amdhsa_wavefront_size32 1
		.amdhsa_uses_dynamic_stack 0
		.amdhsa_enable_private_segment 0
		.amdhsa_system_sgpr_workgroup_id_x 1
		.amdhsa_system_sgpr_workgroup_id_y 0
		.amdhsa_system_sgpr_workgroup_id_z 0
		.amdhsa_system_sgpr_workgroup_info 0
		.amdhsa_system_vgpr_workitem_id 0
		.amdhsa_next_free_vgpr 1
		.amdhsa_next_free_sgpr 1
		.amdhsa_named_barrier_count 0
		.amdhsa_reserve_vcc 0
		.amdhsa_float_round_mode_32 0
		.amdhsa_float_round_mode_16_64 0
		.amdhsa_float_denorm_mode_32 3
		.amdhsa_float_denorm_mode_16_64 3
		.amdhsa_fp16_overflow 0
		.amdhsa_memory_ordered 1
		.amdhsa_forward_progress 1
		.amdhsa_inst_pref_size 0
		.amdhsa_round_robin_scheduling 0
		.amdhsa_exception_fp_ieee_invalid_op 0
		.amdhsa_exception_fp_denorm_src 0
		.amdhsa_exception_fp_ieee_div_zero 0
		.amdhsa_exception_fp_ieee_overflow 0
		.amdhsa_exception_fp_ieee_underflow 0
		.amdhsa_exception_fp_ieee_inexact 0
		.amdhsa_exception_int_div_zero 0
	.end_amdhsa_kernel
	.section	.text._ZN7rocprim17ROCPRIM_400000_NS6detail17trampoline_kernelINS0_14default_configENS1_21merge_config_selectorINS0_5tupleIJttEEENS0_10empty_typeEEEZNS1_10merge_implIS3_NS0_12zip_iteratorINS5_IJN6thrust23THRUST_200600_302600_NS6detail15normal_iteratorINSC_10device_ptrIKtEEEESI_EEEEESK_NSA_INS5_IJNSE_INSF_ItEEEESM_EEEEEPS7_SP_SP_NSC_11hip_rocprim7__merge17predicate_wrapperIttNSC_7greaterItEEEEEE10hipError_tPvRmT0_T1_T2_T3_T4_T5_mmT6_P12ihipStream_tbEUlT_E_NS1_11comp_targetILNS1_3genE9ELNS1_11target_archE1100ELNS1_3gpuE3ELNS1_3repE0EEENS1_30default_config_static_selectorELNS0_4arch9wavefront6targetE0EEEvS10_,"axG",@progbits,_ZN7rocprim17ROCPRIM_400000_NS6detail17trampoline_kernelINS0_14default_configENS1_21merge_config_selectorINS0_5tupleIJttEEENS0_10empty_typeEEEZNS1_10merge_implIS3_NS0_12zip_iteratorINS5_IJN6thrust23THRUST_200600_302600_NS6detail15normal_iteratorINSC_10device_ptrIKtEEEESI_EEEEESK_NSA_INS5_IJNSE_INSF_ItEEEESM_EEEEEPS7_SP_SP_NSC_11hip_rocprim7__merge17predicate_wrapperIttNSC_7greaterItEEEEEE10hipError_tPvRmT0_T1_T2_T3_T4_T5_mmT6_P12ihipStream_tbEUlT_E_NS1_11comp_targetILNS1_3genE9ELNS1_11target_archE1100ELNS1_3gpuE3ELNS1_3repE0EEENS1_30default_config_static_selectorELNS0_4arch9wavefront6targetE0EEEvS10_,comdat
.Lfunc_end396:
	.size	_ZN7rocprim17ROCPRIM_400000_NS6detail17trampoline_kernelINS0_14default_configENS1_21merge_config_selectorINS0_5tupleIJttEEENS0_10empty_typeEEEZNS1_10merge_implIS3_NS0_12zip_iteratorINS5_IJN6thrust23THRUST_200600_302600_NS6detail15normal_iteratorINSC_10device_ptrIKtEEEESI_EEEEESK_NSA_INS5_IJNSE_INSF_ItEEEESM_EEEEEPS7_SP_SP_NSC_11hip_rocprim7__merge17predicate_wrapperIttNSC_7greaterItEEEEEE10hipError_tPvRmT0_T1_T2_T3_T4_T5_mmT6_P12ihipStream_tbEUlT_E_NS1_11comp_targetILNS1_3genE9ELNS1_11target_archE1100ELNS1_3gpuE3ELNS1_3repE0EEENS1_30default_config_static_selectorELNS0_4arch9wavefront6targetE0EEEvS10_, .Lfunc_end396-_ZN7rocprim17ROCPRIM_400000_NS6detail17trampoline_kernelINS0_14default_configENS1_21merge_config_selectorINS0_5tupleIJttEEENS0_10empty_typeEEEZNS1_10merge_implIS3_NS0_12zip_iteratorINS5_IJN6thrust23THRUST_200600_302600_NS6detail15normal_iteratorINSC_10device_ptrIKtEEEESI_EEEEESK_NSA_INS5_IJNSE_INSF_ItEEEESM_EEEEEPS7_SP_SP_NSC_11hip_rocprim7__merge17predicate_wrapperIttNSC_7greaterItEEEEEE10hipError_tPvRmT0_T1_T2_T3_T4_T5_mmT6_P12ihipStream_tbEUlT_E_NS1_11comp_targetILNS1_3genE9ELNS1_11target_archE1100ELNS1_3gpuE3ELNS1_3repE0EEENS1_30default_config_static_selectorELNS0_4arch9wavefront6targetE0EEEvS10_
                                        ; -- End function
	.set _ZN7rocprim17ROCPRIM_400000_NS6detail17trampoline_kernelINS0_14default_configENS1_21merge_config_selectorINS0_5tupleIJttEEENS0_10empty_typeEEEZNS1_10merge_implIS3_NS0_12zip_iteratorINS5_IJN6thrust23THRUST_200600_302600_NS6detail15normal_iteratorINSC_10device_ptrIKtEEEESI_EEEEESK_NSA_INS5_IJNSE_INSF_ItEEEESM_EEEEEPS7_SP_SP_NSC_11hip_rocprim7__merge17predicate_wrapperIttNSC_7greaterItEEEEEE10hipError_tPvRmT0_T1_T2_T3_T4_T5_mmT6_P12ihipStream_tbEUlT_E_NS1_11comp_targetILNS1_3genE9ELNS1_11target_archE1100ELNS1_3gpuE3ELNS1_3repE0EEENS1_30default_config_static_selectorELNS0_4arch9wavefront6targetE0EEEvS10_.num_vgpr, 0
	.set _ZN7rocprim17ROCPRIM_400000_NS6detail17trampoline_kernelINS0_14default_configENS1_21merge_config_selectorINS0_5tupleIJttEEENS0_10empty_typeEEEZNS1_10merge_implIS3_NS0_12zip_iteratorINS5_IJN6thrust23THRUST_200600_302600_NS6detail15normal_iteratorINSC_10device_ptrIKtEEEESI_EEEEESK_NSA_INS5_IJNSE_INSF_ItEEEESM_EEEEEPS7_SP_SP_NSC_11hip_rocprim7__merge17predicate_wrapperIttNSC_7greaterItEEEEEE10hipError_tPvRmT0_T1_T2_T3_T4_T5_mmT6_P12ihipStream_tbEUlT_E_NS1_11comp_targetILNS1_3genE9ELNS1_11target_archE1100ELNS1_3gpuE3ELNS1_3repE0EEENS1_30default_config_static_selectorELNS0_4arch9wavefront6targetE0EEEvS10_.num_agpr, 0
	.set _ZN7rocprim17ROCPRIM_400000_NS6detail17trampoline_kernelINS0_14default_configENS1_21merge_config_selectorINS0_5tupleIJttEEENS0_10empty_typeEEEZNS1_10merge_implIS3_NS0_12zip_iteratorINS5_IJN6thrust23THRUST_200600_302600_NS6detail15normal_iteratorINSC_10device_ptrIKtEEEESI_EEEEESK_NSA_INS5_IJNSE_INSF_ItEEEESM_EEEEEPS7_SP_SP_NSC_11hip_rocprim7__merge17predicate_wrapperIttNSC_7greaterItEEEEEE10hipError_tPvRmT0_T1_T2_T3_T4_T5_mmT6_P12ihipStream_tbEUlT_E_NS1_11comp_targetILNS1_3genE9ELNS1_11target_archE1100ELNS1_3gpuE3ELNS1_3repE0EEENS1_30default_config_static_selectorELNS0_4arch9wavefront6targetE0EEEvS10_.numbered_sgpr, 0
	.set _ZN7rocprim17ROCPRIM_400000_NS6detail17trampoline_kernelINS0_14default_configENS1_21merge_config_selectorINS0_5tupleIJttEEENS0_10empty_typeEEEZNS1_10merge_implIS3_NS0_12zip_iteratorINS5_IJN6thrust23THRUST_200600_302600_NS6detail15normal_iteratorINSC_10device_ptrIKtEEEESI_EEEEESK_NSA_INS5_IJNSE_INSF_ItEEEESM_EEEEEPS7_SP_SP_NSC_11hip_rocprim7__merge17predicate_wrapperIttNSC_7greaterItEEEEEE10hipError_tPvRmT0_T1_T2_T3_T4_T5_mmT6_P12ihipStream_tbEUlT_E_NS1_11comp_targetILNS1_3genE9ELNS1_11target_archE1100ELNS1_3gpuE3ELNS1_3repE0EEENS1_30default_config_static_selectorELNS0_4arch9wavefront6targetE0EEEvS10_.num_named_barrier, 0
	.set _ZN7rocprim17ROCPRIM_400000_NS6detail17trampoline_kernelINS0_14default_configENS1_21merge_config_selectorINS0_5tupleIJttEEENS0_10empty_typeEEEZNS1_10merge_implIS3_NS0_12zip_iteratorINS5_IJN6thrust23THRUST_200600_302600_NS6detail15normal_iteratorINSC_10device_ptrIKtEEEESI_EEEEESK_NSA_INS5_IJNSE_INSF_ItEEEESM_EEEEEPS7_SP_SP_NSC_11hip_rocprim7__merge17predicate_wrapperIttNSC_7greaterItEEEEEE10hipError_tPvRmT0_T1_T2_T3_T4_T5_mmT6_P12ihipStream_tbEUlT_E_NS1_11comp_targetILNS1_3genE9ELNS1_11target_archE1100ELNS1_3gpuE3ELNS1_3repE0EEENS1_30default_config_static_selectorELNS0_4arch9wavefront6targetE0EEEvS10_.private_seg_size, 0
	.set _ZN7rocprim17ROCPRIM_400000_NS6detail17trampoline_kernelINS0_14default_configENS1_21merge_config_selectorINS0_5tupleIJttEEENS0_10empty_typeEEEZNS1_10merge_implIS3_NS0_12zip_iteratorINS5_IJN6thrust23THRUST_200600_302600_NS6detail15normal_iteratorINSC_10device_ptrIKtEEEESI_EEEEESK_NSA_INS5_IJNSE_INSF_ItEEEESM_EEEEEPS7_SP_SP_NSC_11hip_rocprim7__merge17predicate_wrapperIttNSC_7greaterItEEEEEE10hipError_tPvRmT0_T1_T2_T3_T4_T5_mmT6_P12ihipStream_tbEUlT_E_NS1_11comp_targetILNS1_3genE9ELNS1_11target_archE1100ELNS1_3gpuE3ELNS1_3repE0EEENS1_30default_config_static_selectorELNS0_4arch9wavefront6targetE0EEEvS10_.uses_vcc, 0
	.set _ZN7rocprim17ROCPRIM_400000_NS6detail17trampoline_kernelINS0_14default_configENS1_21merge_config_selectorINS0_5tupleIJttEEENS0_10empty_typeEEEZNS1_10merge_implIS3_NS0_12zip_iteratorINS5_IJN6thrust23THRUST_200600_302600_NS6detail15normal_iteratorINSC_10device_ptrIKtEEEESI_EEEEESK_NSA_INS5_IJNSE_INSF_ItEEEESM_EEEEEPS7_SP_SP_NSC_11hip_rocprim7__merge17predicate_wrapperIttNSC_7greaterItEEEEEE10hipError_tPvRmT0_T1_T2_T3_T4_T5_mmT6_P12ihipStream_tbEUlT_E_NS1_11comp_targetILNS1_3genE9ELNS1_11target_archE1100ELNS1_3gpuE3ELNS1_3repE0EEENS1_30default_config_static_selectorELNS0_4arch9wavefront6targetE0EEEvS10_.uses_flat_scratch, 0
	.set _ZN7rocprim17ROCPRIM_400000_NS6detail17trampoline_kernelINS0_14default_configENS1_21merge_config_selectorINS0_5tupleIJttEEENS0_10empty_typeEEEZNS1_10merge_implIS3_NS0_12zip_iteratorINS5_IJN6thrust23THRUST_200600_302600_NS6detail15normal_iteratorINSC_10device_ptrIKtEEEESI_EEEEESK_NSA_INS5_IJNSE_INSF_ItEEEESM_EEEEEPS7_SP_SP_NSC_11hip_rocprim7__merge17predicate_wrapperIttNSC_7greaterItEEEEEE10hipError_tPvRmT0_T1_T2_T3_T4_T5_mmT6_P12ihipStream_tbEUlT_E_NS1_11comp_targetILNS1_3genE9ELNS1_11target_archE1100ELNS1_3gpuE3ELNS1_3repE0EEENS1_30default_config_static_selectorELNS0_4arch9wavefront6targetE0EEEvS10_.has_dyn_sized_stack, 0
	.set _ZN7rocprim17ROCPRIM_400000_NS6detail17trampoline_kernelINS0_14default_configENS1_21merge_config_selectorINS0_5tupleIJttEEENS0_10empty_typeEEEZNS1_10merge_implIS3_NS0_12zip_iteratorINS5_IJN6thrust23THRUST_200600_302600_NS6detail15normal_iteratorINSC_10device_ptrIKtEEEESI_EEEEESK_NSA_INS5_IJNSE_INSF_ItEEEESM_EEEEEPS7_SP_SP_NSC_11hip_rocprim7__merge17predicate_wrapperIttNSC_7greaterItEEEEEE10hipError_tPvRmT0_T1_T2_T3_T4_T5_mmT6_P12ihipStream_tbEUlT_E_NS1_11comp_targetILNS1_3genE9ELNS1_11target_archE1100ELNS1_3gpuE3ELNS1_3repE0EEENS1_30default_config_static_selectorELNS0_4arch9wavefront6targetE0EEEvS10_.has_recursion, 0
	.set _ZN7rocprim17ROCPRIM_400000_NS6detail17trampoline_kernelINS0_14default_configENS1_21merge_config_selectorINS0_5tupleIJttEEENS0_10empty_typeEEEZNS1_10merge_implIS3_NS0_12zip_iteratorINS5_IJN6thrust23THRUST_200600_302600_NS6detail15normal_iteratorINSC_10device_ptrIKtEEEESI_EEEEESK_NSA_INS5_IJNSE_INSF_ItEEEESM_EEEEEPS7_SP_SP_NSC_11hip_rocprim7__merge17predicate_wrapperIttNSC_7greaterItEEEEEE10hipError_tPvRmT0_T1_T2_T3_T4_T5_mmT6_P12ihipStream_tbEUlT_E_NS1_11comp_targetILNS1_3genE9ELNS1_11target_archE1100ELNS1_3gpuE3ELNS1_3repE0EEENS1_30default_config_static_selectorELNS0_4arch9wavefront6targetE0EEEvS10_.has_indirect_call, 0
	.section	.AMDGPU.csdata,"",@progbits
; Kernel info:
; codeLenInByte = 0
; TotalNumSgprs: 0
; NumVgprs: 0
; ScratchSize: 0
; MemoryBound: 0
; FloatMode: 240
; IeeeMode: 1
; LDSByteSize: 0 bytes/workgroup (compile time only)
; SGPRBlocks: 0
; VGPRBlocks: 0
; NumSGPRsForWavesPerEU: 1
; NumVGPRsForWavesPerEU: 1
; NamedBarCnt: 0
; Occupancy: 16
; WaveLimiterHint : 0
; COMPUTE_PGM_RSRC2:SCRATCH_EN: 0
; COMPUTE_PGM_RSRC2:USER_SGPR: 2
; COMPUTE_PGM_RSRC2:TRAP_HANDLER: 0
; COMPUTE_PGM_RSRC2:TGID_X_EN: 1
; COMPUTE_PGM_RSRC2:TGID_Y_EN: 0
; COMPUTE_PGM_RSRC2:TGID_Z_EN: 0
; COMPUTE_PGM_RSRC2:TIDIG_COMP_CNT: 0
	.section	.text._ZN7rocprim17ROCPRIM_400000_NS6detail17trampoline_kernelINS0_14default_configENS1_21merge_config_selectorINS0_5tupleIJttEEENS0_10empty_typeEEEZNS1_10merge_implIS3_NS0_12zip_iteratorINS5_IJN6thrust23THRUST_200600_302600_NS6detail15normal_iteratorINSC_10device_ptrIKtEEEESI_EEEEESK_NSA_INS5_IJNSE_INSF_ItEEEESM_EEEEEPS7_SP_SP_NSC_11hip_rocprim7__merge17predicate_wrapperIttNSC_7greaterItEEEEEE10hipError_tPvRmT0_T1_T2_T3_T4_T5_mmT6_P12ihipStream_tbEUlT_E_NS1_11comp_targetILNS1_3genE8ELNS1_11target_archE1030ELNS1_3gpuE2ELNS1_3repE0EEENS1_30default_config_static_selectorELNS0_4arch9wavefront6targetE0EEEvS10_,"axG",@progbits,_ZN7rocprim17ROCPRIM_400000_NS6detail17trampoline_kernelINS0_14default_configENS1_21merge_config_selectorINS0_5tupleIJttEEENS0_10empty_typeEEEZNS1_10merge_implIS3_NS0_12zip_iteratorINS5_IJN6thrust23THRUST_200600_302600_NS6detail15normal_iteratorINSC_10device_ptrIKtEEEESI_EEEEESK_NSA_INS5_IJNSE_INSF_ItEEEESM_EEEEEPS7_SP_SP_NSC_11hip_rocprim7__merge17predicate_wrapperIttNSC_7greaterItEEEEEE10hipError_tPvRmT0_T1_T2_T3_T4_T5_mmT6_P12ihipStream_tbEUlT_E_NS1_11comp_targetILNS1_3genE8ELNS1_11target_archE1030ELNS1_3gpuE2ELNS1_3repE0EEENS1_30default_config_static_selectorELNS0_4arch9wavefront6targetE0EEEvS10_,comdat
	.protected	_ZN7rocprim17ROCPRIM_400000_NS6detail17trampoline_kernelINS0_14default_configENS1_21merge_config_selectorINS0_5tupleIJttEEENS0_10empty_typeEEEZNS1_10merge_implIS3_NS0_12zip_iteratorINS5_IJN6thrust23THRUST_200600_302600_NS6detail15normal_iteratorINSC_10device_ptrIKtEEEESI_EEEEESK_NSA_INS5_IJNSE_INSF_ItEEEESM_EEEEEPS7_SP_SP_NSC_11hip_rocprim7__merge17predicate_wrapperIttNSC_7greaterItEEEEEE10hipError_tPvRmT0_T1_T2_T3_T4_T5_mmT6_P12ihipStream_tbEUlT_E_NS1_11comp_targetILNS1_3genE8ELNS1_11target_archE1030ELNS1_3gpuE2ELNS1_3repE0EEENS1_30default_config_static_selectorELNS0_4arch9wavefront6targetE0EEEvS10_ ; -- Begin function _ZN7rocprim17ROCPRIM_400000_NS6detail17trampoline_kernelINS0_14default_configENS1_21merge_config_selectorINS0_5tupleIJttEEENS0_10empty_typeEEEZNS1_10merge_implIS3_NS0_12zip_iteratorINS5_IJN6thrust23THRUST_200600_302600_NS6detail15normal_iteratorINSC_10device_ptrIKtEEEESI_EEEEESK_NSA_INS5_IJNSE_INSF_ItEEEESM_EEEEEPS7_SP_SP_NSC_11hip_rocprim7__merge17predicate_wrapperIttNSC_7greaterItEEEEEE10hipError_tPvRmT0_T1_T2_T3_T4_T5_mmT6_P12ihipStream_tbEUlT_E_NS1_11comp_targetILNS1_3genE8ELNS1_11target_archE1030ELNS1_3gpuE2ELNS1_3repE0EEENS1_30default_config_static_selectorELNS0_4arch9wavefront6targetE0EEEvS10_
	.globl	_ZN7rocprim17ROCPRIM_400000_NS6detail17trampoline_kernelINS0_14default_configENS1_21merge_config_selectorINS0_5tupleIJttEEENS0_10empty_typeEEEZNS1_10merge_implIS3_NS0_12zip_iteratorINS5_IJN6thrust23THRUST_200600_302600_NS6detail15normal_iteratorINSC_10device_ptrIKtEEEESI_EEEEESK_NSA_INS5_IJNSE_INSF_ItEEEESM_EEEEEPS7_SP_SP_NSC_11hip_rocprim7__merge17predicate_wrapperIttNSC_7greaterItEEEEEE10hipError_tPvRmT0_T1_T2_T3_T4_T5_mmT6_P12ihipStream_tbEUlT_E_NS1_11comp_targetILNS1_3genE8ELNS1_11target_archE1030ELNS1_3gpuE2ELNS1_3repE0EEENS1_30default_config_static_selectorELNS0_4arch9wavefront6targetE0EEEvS10_
	.p2align	8
	.type	_ZN7rocprim17ROCPRIM_400000_NS6detail17trampoline_kernelINS0_14default_configENS1_21merge_config_selectorINS0_5tupleIJttEEENS0_10empty_typeEEEZNS1_10merge_implIS3_NS0_12zip_iteratorINS5_IJN6thrust23THRUST_200600_302600_NS6detail15normal_iteratorINSC_10device_ptrIKtEEEESI_EEEEESK_NSA_INS5_IJNSE_INSF_ItEEEESM_EEEEEPS7_SP_SP_NSC_11hip_rocprim7__merge17predicate_wrapperIttNSC_7greaterItEEEEEE10hipError_tPvRmT0_T1_T2_T3_T4_T5_mmT6_P12ihipStream_tbEUlT_E_NS1_11comp_targetILNS1_3genE8ELNS1_11target_archE1030ELNS1_3gpuE2ELNS1_3repE0EEENS1_30default_config_static_selectorELNS0_4arch9wavefront6targetE0EEEvS10_,@function
_ZN7rocprim17ROCPRIM_400000_NS6detail17trampoline_kernelINS0_14default_configENS1_21merge_config_selectorINS0_5tupleIJttEEENS0_10empty_typeEEEZNS1_10merge_implIS3_NS0_12zip_iteratorINS5_IJN6thrust23THRUST_200600_302600_NS6detail15normal_iteratorINSC_10device_ptrIKtEEEESI_EEEEESK_NSA_INS5_IJNSE_INSF_ItEEEESM_EEEEEPS7_SP_SP_NSC_11hip_rocprim7__merge17predicate_wrapperIttNSC_7greaterItEEEEEE10hipError_tPvRmT0_T1_T2_T3_T4_T5_mmT6_P12ihipStream_tbEUlT_E_NS1_11comp_targetILNS1_3genE8ELNS1_11target_archE1030ELNS1_3gpuE2ELNS1_3repE0EEENS1_30default_config_static_selectorELNS0_4arch9wavefront6targetE0EEEvS10_: ; @_ZN7rocprim17ROCPRIM_400000_NS6detail17trampoline_kernelINS0_14default_configENS1_21merge_config_selectorINS0_5tupleIJttEEENS0_10empty_typeEEEZNS1_10merge_implIS3_NS0_12zip_iteratorINS5_IJN6thrust23THRUST_200600_302600_NS6detail15normal_iteratorINSC_10device_ptrIKtEEEESI_EEEEESK_NSA_INS5_IJNSE_INSF_ItEEEESM_EEEEEPS7_SP_SP_NSC_11hip_rocprim7__merge17predicate_wrapperIttNSC_7greaterItEEEEEE10hipError_tPvRmT0_T1_T2_T3_T4_T5_mmT6_P12ihipStream_tbEUlT_E_NS1_11comp_targetILNS1_3genE8ELNS1_11target_archE1030ELNS1_3gpuE2ELNS1_3repE0EEENS1_30default_config_static_selectorELNS0_4arch9wavefront6targetE0EEEvS10_
; %bb.0:
	.section	.rodata,"a",@progbits
	.p2align	6, 0x0
	.amdhsa_kernel _ZN7rocprim17ROCPRIM_400000_NS6detail17trampoline_kernelINS0_14default_configENS1_21merge_config_selectorINS0_5tupleIJttEEENS0_10empty_typeEEEZNS1_10merge_implIS3_NS0_12zip_iteratorINS5_IJN6thrust23THRUST_200600_302600_NS6detail15normal_iteratorINSC_10device_ptrIKtEEEESI_EEEEESK_NSA_INS5_IJNSE_INSF_ItEEEESM_EEEEEPS7_SP_SP_NSC_11hip_rocprim7__merge17predicate_wrapperIttNSC_7greaterItEEEEEE10hipError_tPvRmT0_T1_T2_T3_T4_T5_mmT6_P12ihipStream_tbEUlT_E_NS1_11comp_targetILNS1_3genE8ELNS1_11target_archE1030ELNS1_3gpuE2ELNS1_3repE0EEENS1_30default_config_static_selectorELNS0_4arch9wavefront6targetE0EEEvS10_
		.amdhsa_group_segment_fixed_size 0
		.amdhsa_private_segment_fixed_size 0
		.amdhsa_kernarg_size 64
		.amdhsa_user_sgpr_count 2
		.amdhsa_user_sgpr_dispatch_ptr 0
		.amdhsa_user_sgpr_queue_ptr 0
		.amdhsa_user_sgpr_kernarg_segment_ptr 1
		.amdhsa_user_sgpr_dispatch_id 0
		.amdhsa_user_sgpr_kernarg_preload_length 0
		.amdhsa_user_sgpr_kernarg_preload_offset 0
		.amdhsa_user_sgpr_private_segment_size 0
		.amdhsa_wavefront_size32 1
		.amdhsa_uses_dynamic_stack 0
		.amdhsa_enable_private_segment 0
		.amdhsa_system_sgpr_workgroup_id_x 1
		.amdhsa_system_sgpr_workgroup_id_y 0
		.amdhsa_system_sgpr_workgroup_id_z 0
		.amdhsa_system_sgpr_workgroup_info 0
		.amdhsa_system_vgpr_workitem_id 0
		.amdhsa_next_free_vgpr 1
		.amdhsa_next_free_sgpr 1
		.amdhsa_named_barrier_count 0
		.amdhsa_reserve_vcc 0
		.amdhsa_float_round_mode_32 0
		.amdhsa_float_round_mode_16_64 0
		.amdhsa_float_denorm_mode_32 3
		.amdhsa_float_denorm_mode_16_64 3
		.amdhsa_fp16_overflow 0
		.amdhsa_memory_ordered 1
		.amdhsa_forward_progress 1
		.amdhsa_inst_pref_size 0
		.amdhsa_round_robin_scheduling 0
		.amdhsa_exception_fp_ieee_invalid_op 0
		.amdhsa_exception_fp_denorm_src 0
		.amdhsa_exception_fp_ieee_div_zero 0
		.amdhsa_exception_fp_ieee_overflow 0
		.amdhsa_exception_fp_ieee_underflow 0
		.amdhsa_exception_fp_ieee_inexact 0
		.amdhsa_exception_int_div_zero 0
	.end_amdhsa_kernel
	.section	.text._ZN7rocprim17ROCPRIM_400000_NS6detail17trampoline_kernelINS0_14default_configENS1_21merge_config_selectorINS0_5tupleIJttEEENS0_10empty_typeEEEZNS1_10merge_implIS3_NS0_12zip_iteratorINS5_IJN6thrust23THRUST_200600_302600_NS6detail15normal_iteratorINSC_10device_ptrIKtEEEESI_EEEEESK_NSA_INS5_IJNSE_INSF_ItEEEESM_EEEEEPS7_SP_SP_NSC_11hip_rocprim7__merge17predicate_wrapperIttNSC_7greaterItEEEEEE10hipError_tPvRmT0_T1_T2_T3_T4_T5_mmT6_P12ihipStream_tbEUlT_E_NS1_11comp_targetILNS1_3genE8ELNS1_11target_archE1030ELNS1_3gpuE2ELNS1_3repE0EEENS1_30default_config_static_selectorELNS0_4arch9wavefront6targetE0EEEvS10_,"axG",@progbits,_ZN7rocprim17ROCPRIM_400000_NS6detail17trampoline_kernelINS0_14default_configENS1_21merge_config_selectorINS0_5tupleIJttEEENS0_10empty_typeEEEZNS1_10merge_implIS3_NS0_12zip_iteratorINS5_IJN6thrust23THRUST_200600_302600_NS6detail15normal_iteratorINSC_10device_ptrIKtEEEESI_EEEEESK_NSA_INS5_IJNSE_INSF_ItEEEESM_EEEEEPS7_SP_SP_NSC_11hip_rocprim7__merge17predicate_wrapperIttNSC_7greaterItEEEEEE10hipError_tPvRmT0_T1_T2_T3_T4_T5_mmT6_P12ihipStream_tbEUlT_E_NS1_11comp_targetILNS1_3genE8ELNS1_11target_archE1030ELNS1_3gpuE2ELNS1_3repE0EEENS1_30default_config_static_selectorELNS0_4arch9wavefront6targetE0EEEvS10_,comdat
.Lfunc_end397:
	.size	_ZN7rocprim17ROCPRIM_400000_NS6detail17trampoline_kernelINS0_14default_configENS1_21merge_config_selectorINS0_5tupleIJttEEENS0_10empty_typeEEEZNS1_10merge_implIS3_NS0_12zip_iteratorINS5_IJN6thrust23THRUST_200600_302600_NS6detail15normal_iteratorINSC_10device_ptrIKtEEEESI_EEEEESK_NSA_INS5_IJNSE_INSF_ItEEEESM_EEEEEPS7_SP_SP_NSC_11hip_rocprim7__merge17predicate_wrapperIttNSC_7greaterItEEEEEE10hipError_tPvRmT0_T1_T2_T3_T4_T5_mmT6_P12ihipStream_tbEUlT_E_NS1_11comp_targetILNS1_3genE8ELNS1_11target_archE1030ELNS1_3gpuE2ELNS1_3repE0EEENS1_30default_config_static_selectorELNS0_4arch9wavefront6targetE0EEEvS10_, .Lfunc_end397-_ZN7rocprim17ROCPRIM_400000_NS6detail17trampoline_kernelINS0_14default_configENS1_21merge_config_selectorINS0_5tupleIJttEEENS0_10empty_typeEEEZNS1_10merge_implIS3_NS0_12zip_iteratorINS5_IJN6thrust23THRUST_200600_302600_NS6detail15normal_iteratorINSC_10device_ptrIKtEEEESI_EEEEESK_NSA_INS5_IJNSE_INSF_ItEEEESM_EEEEEPS7_SP_SP_NSC_11hip_rocprim7__merge17predicate_wrapperIttNSC_7greaterItEEEEEE10hipError_tPvRmT0_T1_T2_T3_T4_T5_mmT6_P12ihipStream_tbEUlT_E_NS1_11comp_targetILNS1_3genE8ELNS1_11target_archE1030ELNS1_3gpuE2ELNS1_3repE0EEENS1_30default_config_static_selectorELNS0_4arch9wavefront6targetE0EEEvS10_
                                        ; -- End function
	.set _ZN7rocprim17ROCPRIM_400000_NS6detail17trampoline_kernelINS0_14default_configENS1_21merge_config_selectorINS0_5tupleIJttEEENS0_10empty_typeEEEZNS1_10merge_implIS3_NS0_12zip_iteratorINS5_IJN6thrust23THRUST_200600_302600_NS6detail15normal_iteratorINSC_10device_ptrIKtEEEESI_EEEEESK_NSA_INS5_IJNSE_INSF_ItEEEESM_EEEEEPS7_SP_SP_NSC_11hip_rocprim7__merge17predicate_wrapperIttNSC_7greaterItEEEEEE10hipError_tPvRmT0_T1_T2_T3_T4_T5_mmT6_P12ihipStream_tbEUlT_E_NS1_11comp_targetILNS1_3genE8ELNS1_11target_archE1030ELNS1_3gpuE2ELNS1_3repE0EEENS1_30default_config_static_selectorELNS0_4arch9wavefront6targetE0EEEvS10_.num_vgpr, 0
	.set _ZN7rocprim17ROCPRIM_400000_NS6detail17trampoline_kernelINS0_14default_configENS1_21merge_config_selectorINS0_5tupleIJttEEENS0_10empty_typeEEEZNS1_10merge_implIS3_NS0_12zip_iteratorINS5_IJN6thrust23THRUST_200600_302600_NS6detail15normal_iteratorINSC_10device_ptrIKtEEEESI_EEEEESK_NSA_INS5_IJNSE_INSF_ItEEEESM_EEEEEPS7_SP_SP_NSC_11hip_rocprim7__merge17predicate_wrapperIttNSC_7greaterItEEEEEE10hipError_tPvRmT0_T1_T2_T3_T4_T5_mmT6_P12ihipStream_tbEUlT_E_NS1_11comp_targetILNS1_3genE8ELNS1_11target_archE1030ELNS1_3gpuE2ELNS1_3repE0EEENS1_30default_config_static_selectorELNS0_4arch9wavefront6targetE0EEEvS10_.num_agpr, 0
	.set _ZN7rocprim17ROCPRIM_400000_NS6detail17trampoline_kernelINS0_14default_configENS1_21merge_config_selectorINS0_5tupleIJttEEENS0_10empty_typeEEEZNS1_10merge_implIS3_NS0_12zip_iteratorINS5_IJN6thrust23THRUST_200600_302600_NS6detail15normal_iteratorINSC_10device_ptrIKtEEEESI_EEEEESK_NSA_INS5_IJNSE_INSF_ItEEEESM_EEEEEPS7_SP_SP_NSC_11hip_rocprim7__merge17predicate_wrapperIttNSC_7greaterItEEEEEE10hipError_tPvRmT0_T1_T2_T3_T4_T5_mmT6_P12ihipStream_tbEUlT_E_NS1_11comp_targetILNS1_3genE8ELNS1_11target_archE1030ELNS1_3gpuE2ELNS1_3repE0EEENS1_30default_config_static_selectorELNS0_4arch9wavefront6targetE0EEEvS10_.numbered_sgpr, 0
	.set _ZN7rocprim17ROCPRIM_400000_NS6detail17trampoline_kernelINS0_14default_configENS1_21merge_config_selectorINS0_5tupleIJttEEENS0_10empty_typeEEEZNS1_10merge_implIS3_NS0_12zip_iteratorINS5_IJN6thrust23THRUST_200600_302600_NS6detail15normal_iteratorINSC_10device_ptrIKtEEEESI_EEEEESK_NSA_INS5_IJNSE_INSF_ItEEEESM_EEEEEPS7_SP_SP_NSC_11hip_rocprim7__merge17predicate_wrapperIttNSC_7greaterItEEEEEE10hipError_tPvRmT0_T1_T2_T3_T4_T5_mmT6_P12ihipStream_tbEUlT_E_NS1_11comp_targetILNS1_3genE8ELNS1_11target_archE1030ELNS1_3gpuE2ELNS1_3repE0EEENS1_30default_config_static_selectorELNS0_4arch9wavefront6targetE0EEEvS10_.num_named_barrier, 0
	.set _ZN7rocprim17ROCPRIM_400000_NS6detail17trampoline_kernelINS0_14default_configENS1_21merge_config_selectorINS0_5tupleIJttEEENS0_10empty_typeEEEZNS1_10merge_implIS3_NS0_12zip_iteratorINS5_IJN6thrust23THRUST_200600_302600_NS6detail15normal_iteratorINSC_10device_ptrIKtEEEESI_EEEEESK_NSA_INS5_IJNSE_INSF_ItEEEESM_EEEEEPS7_SP_SP_NSC_11hip_rocprim7__merge17predicate_wrapperIttNSC_7greaterItEEEEEE10hipError_tPvRmT0_T1_T2_T3_T4_T5_mmT6_P12ihipStream_tbEUlT_E_NS1_11comp_targetILNS1_3genE8ELNS1_11target_archE1030ELNS1_3gpuE2ELNS1_3repE0EEENS1_30default_config_static_selectorELNS0_4arch9wavefront6targetE0EEEvS10_.private_seg_size, 0
	.set _ZN7rocprim17ROCPRIM_400000_NS6detail17trampoline_kernelINS0_14default_configENS1_21merge_config_selectorINS0_5tupleIJttEEENS0_10empty_typeEEEZNS1_10merge_implIS3_NS0_12zip_iteratorINS5_IJN6thrust23THRUST_200600_302600_NS6detail15normal_iteratorINSC_10device_ptrIKtEEEESI_EEEEESK_NSA_INS5_IJNSE_INSF_ItEEEESM_EEEEEPS7_SP_SP_NSC_11hip_rocprim7__merge17predicate_wrapperIttNSC_7greaterItEEEEEE10hipError_tPvRmT0_T1_T2_T3_T4_T5_mmT6_P12ihipStream_tbEUlT_E_NS1_11comp_targetILNS1_3genE8ELNS1_11target_archE1030ELNS1_3gpuE2ELNS1_3repE0EEENS1_30default_config_static_selectorELNS0_4arch9wavefront6targetE0EEEvS10_.uses_vcc, 0
	.set _ZN7rocprim17ROCPRIM_400000_NS6detail17trampoline_kernelINS0_14default_configENS1_21merge_config_selectorINS0_5tupleIJttEEENS0_10empty_typeEEEZNS1_10merge_implIS3_NS0_12zip_iteratorINS5_IJN6thrust23THRUST_200600_302600_NS6detail15normal_iteratorINSC_10device_ptrIKtEEEESI_EEEEESK_NSA_INS5_IJNSE_INSF_ItEEEESM_EEEEEPS7_SP_SP_NSC_11hip_rocprim7__merge17predicate_wrapperIttNSC_7greaterItEEEEEE10hipError_tPvRmT0_T1_T2_T3_T4_T5_mmT6_P12ihipStream_tbEUlT_E_NS1_11comp_targetILNS1_3genE8ELNS1_11target_archE1030ELNS1_3gpuE2ELNS1_3repE0EEENS1_30default_config_static_selectorELNS0_4arch9wavefront6targetE0EEEvS10_.uses_flat_scratch, 0
	.set _ZN7rocprim17ROCPRIM_400000_NS6detail17trampoline_kernelINS0_14default_configENS1_21merge_config_selectorINS0_5tupleIJttEEENS0_10empty_typeEEEZNS1_10merge_implIS3_NS0_12zip_iteratorINS5_IJN6thrust23THRUST_200600_302600_NS6detail15normal_iteratorINSC_10device_ptrIKtEEEESI_EEEEESK_NSA_INS5_IJNSE_INSF_ItEEEESM_EEEEEPS7_SP_SP_NSC_11hip_rocprim7__merge17predicate_wrapperIttNSC_7greaterItEEEEEE10hipError_tPvRmT0_T1_T2_T3_T4_T5_mmT6_P12ihipStream_tbEUlT_E_NS1_11comp_targetILNS1_3genE8ELNS1_11target_archE1030ELNS1_3gpuE2ELNS1_3repE0EEENS1_30default_config_static_selectorELNS0_4arch9wavefront6targetE0EEEvS10_.has_dyn_sized_stack, 0
	.set _ZN7rocprim17ROCPRIM_400000_NS6detail17trampoline_kernelINS0_14default_configENS1_21merge_config_selectorINS0_5tupleIJttEEENS0_10empty_typeEEEZNS1_10merge_implIS3_NS0_12zip_iteratorINS5_IJN6thrust23THRUST_200600_302600_NS6detail15normal_iteratorINSC_10device_ptrIKtEEEESI_EEEEESK_NSA_INS5_IJNSE_INSF_ItEEEESM_EEEEEPS7_SP_SP_NSC_11hip_rocprim7__merge17predicate_wrapperIttNSC_7greaterItEEEEEE10hipError_tPvRmT0_T1_T2_T3_T4_T5_mmT6_P12ihipStream_tbEUlT_E_NS1_11comp_targetILNS1_3genE8ELNS1_11target_archE1030ELNS1_3gpuE2ELNS1_3repE0EEENS1_30default_config_static_selectorELNS0_4arch9wavefront6targetE0EEEvS10_.has_recursion, 0
	.set _ZN7rocprim17ROCPRIM_400000_NS6detail17trampoline_kernelINS0_14default_configENS1_21merge_config_selectorINS0_5tupleIJttEEENS0_10empty_typeEEEZNS1_10merge_implIS3_NS0_12zip_iteratorINS5_IJN6thrust23THRUST_200600_302600_NS6detail15normal_iteratorINSC_10device_ptrIKtEEEESI_EEEEESK_NSA_INS5_IJNSE_INSF_ItEEEESM_EEEEEPS7_SP_SP_NSC_11hip_rocprim7__merge17predicate_wrapperIttNSC_7greaterItEEEEEE10hipError_tPvRmT0_T1_T2_T3_T4_T5_mmT6_P12ihipStream_tbEUlT_E_NS1_11comp_targetILNS1_3genE8ELNS1_11target_archE1030ELNS1_3gpuE2ELNS1_3repE0EEENS1_30default_config_static_selectorELNS0_4arch9wavefront6targetE0EEEvS10_.has_indirect_call, 0
	.section	.AMDGPU.csdata,"",@progbits
; Kernel info:
; codeLenInByte = 0
; TotalNumSgprs: 0
; NumVgprs: 0
; ScratchSize: 0
; MemoryBound: 0
; FloatMode: 240
; IeeeMode: 1
; LDSByteSize: 0 bytes/workgroup (compile time only)
; SGPRBlocks: 0
; VGPRBlocks: 0
; NumSGPRsForWavesPerEU: 1
; NumVGPRsForWavesPerEU: 1
; NamedBarCnt: 0
; Occupancy: 16
; WaveLimiterHint : 0
; COMPUTE_PGM_RSRC2:SCRATCH_EN: 0
; COMPUTE_PGM_RSRC2:USER_SGPR: 2
; COMPUTE_PGM_RSRC2:TRAP_HANDLER: 0
; COMPUTE_PGM_RSRC2:TGID_X_EN: 1
; COMPUTE_PGM_RSRC2:TGID_Y_EN: 0
; COMPUTE_PGM_RSRC2:TGID_Z_EN: 0
; COMPUTE_PGM_RSRC2:TIDIG_COMP_CNT: 0
	.section	.text._ZN7rocprim17ROCPRIM_400000_NS6detail17trampoline_kernelINS0_14default_configENS1_21merge_config_selectorINS0_5tupleIJttEEENS0_10empty_typeEEEZNS1_10merge_implIS3_NS0_12zip_iteratorINS5_IJN6thrust23THRUST_200600_302600_NS6detail15normal_iteratorINSC_10device_ptrIKtEEEESI_EEEEESK_NSA_INS5_IJNSE_INSF_ItEEEESM_EEEEEPS7_SP_SP_NSC_11hip_rocprim7__merge17predicate_wrapperIttNSC_7greaterItEEEEEE10hipError_tPvRmT0_T1_T2_T3_T4_T5_mmT6_P12ihipStream_tbEUlT_E0_NS1_11comp_targetILNS1_3genE0ELNS1_11target_archE4294967295ELNS1_3gpuE0ELNS1_3repE0EEENS1_30default_config_static_selectorELNS0_4arch9wavefront6targetE0EEEvS10_,"axG",@progbits,_ZN7rocprim17ROCPRIM_400000_NS6detail17trampoline_kernelINS0_14default_configENS1_21merge_config_selectorINS0_5tupleIJttEEENS0_10empty_typeEEEZNS1_10merge_implIS3_NS0_12zip_iteratorINS5_IJN6thrust23THRUST_200600_302600_NS6detail15normal_iteratorINSC_10device_ptrIKtEEEESI_EEEEESK_NSA_INS5_IJNSE_INSF_ItEEEESM_EEEEEPS7_SP_SP_NSC_11hip_rocprim7__merge17predicate_wrapperIttNSC_7greaterItEEEEEE10hipError_tPvRmT0_T1_T2_T3_T4_T5_mmT6_P12ihipStream_tbEUlT_E0_NS1_11comp_targetILNS1_3genE0ELNS1_11target_archE4294967295ELNS1_3gpuE0ELNS1_3repE0EEENS1_30default_config_static_selectorELNS0_4arch9wavefront6targetE0EEEvS10_,comdat
	.protected	_ZN7rocprim17ROCPRIM_400000_NS6detail17trampoline_kernelINS0_14default_configENS1_21merge_config_selectorINS0_5tupleIJttEEENS0_10empty_typeEEEZNS1_10merge_implIS3_NS0_12zip_iteratorINS5_IJN6thrust23THRUST_200600_302600_NS6detail15normal_iteratorINSC_10device_ptrIKtEEEESI_EEEEESK_NSA_INS5_IJNSE_INSF_ItEEEESM_EEEEEPS7_SP_SP_NSC_11hip_rocprim7__merge17predicate_wrapperIttNSC_7greaterItEEEEEE10hipError_tPvRmT0_T1_T2_T3_T4_T5_mmT6_P12ihipStream_tbEUlT_E0_NS1_11comp_targetILNS1_3genE0ELNS1_11target_archE4294967295ELNS1_3gpuE0ELNS1_3repE0EEENS1_30default_config_static_selectorELNS0_4arch9wavefront6targetE0EEEvS10_ ; -- Begin function _ZN7rocprim17ROCPRIM_400000_NS6detail17trampoline_kernelINS0_14default_configENS1_21merge_config_selectorINS0_5tupleIJttEEENS0_10empty_typeEEEZNS1_10merge_implIS3_NS0_12zip_iteratorINS5_IJN6thrust23THRUST_200600_302600_NS6detail15normal_iteratorINSC_10device_ptrIKtEEEESI_EEEEESK_NSA_INS5_IJNSE_INSF_ItEEEESM_EEEEEPS7_SP_SP_NSC_11hip_rocprim7__merge17predicate_wrapperIttNSC_7greaterItEEEEEE10hipError_tPvRmT0_T1_T2_T3_T4_T5_mmT6_P12ihipStream_tbEUlT_E0_NS1_11comp_targetILNS1_3genE0ELNS1_11target_archE4294967295ELNS1_3gpuE0ELNS1_3repE0EEENS1_30default_config_static_selectorELNS0_4arch9wavefront6targetE0EEEvS10_
	.globl	_ZN7rocprim17ROCPRIM_400000_NS6detail17trampoline_kernelINS0_14default_configENS1_21merge_config_selectorINS0_5tupleIJttEEENS0_10empty_typeEEEZNS1_10merge_implIS3_NS0_12zip_iteratorINS5_IJN6thrust23THRUST_200600_302600_NS6detail15normal_iteratorINSC_10device_ptrIKtEEEESI_EEEEESK_NSA_INS5_IJNSE_INSF_ItEEEESM_EEEEEPS7_SP_SP_NSC_11hip_rocprim7__merge17predicate_wrapperIttNSC_7greaterItEEEEEE10hipError_tPvRmT0_T1_T2_T3_T4_T5_mmT6_P12ihipStream_tbEUlT_E0_NS1_11comp_targetILNS1_3genE0ELNS1_11target_archE4294967295ELNS1_3gpuE0ELNS1_3repE0EEENS1_30default_config_static_selectorELNS0_4arch9wavefront6targetE0EEEvS10_
	.p2align	8
	.type	_ZN7rocprim17ROCPRIM_400000_NS6detail17trampoline_kernelINS0_14default_configENS1_21merge_config_selectorINS0_5tupleIJttEEENS0_10empty_typeEEEZNS1_10merge_implIS3_NS0_12zip_iteratorINS5_IJN6thrust23THRUST_200600_302600_NS6detail15normal_iteratorINSC_10device_ptrIKtEEEESI_EEEEESK_NSA_INS5_IJNSE_INSF_ItEEEESM_EEEEEPS7_SP_SP_NSC_11hip_rocprim7__merge17predicate_wrapperIttNSC_7greaterItEEEEEE10hipError_tPvRmT0_T1_T2_T3_T4_T5_mmT6_P12ihipStream_tbEUlT_E0_NS1_11comp_targetILNS1_3genE0ELNS1_11target_archE4294967295ELNS1_3gpuE0ELNS1_3repE0EEENS1_30default_config_static_selectorELNS0_4arch9wavefront6targetE0EEEvS10_,@function
_ZN7rocprim17ROCPRIM_400000_NS6detail17trampoline_kernelINS0_14default_configENS1_21merge_config_selectorINS0_5tupleIJttEEENS0_10empty_typeEEEZNS1_10merge_implIS3_NS0_12zip_iteratorINS5_IJN6thrust23THRUST_200600_302600_NS6detail15normal_iteratorINSC_10device_ptrIKtEEEESI_EEEEESK_NSA_INS5_IJNSE_INSF_ItEEEESM_EEEEEPS7_SP_SP_NSC_11hip_rocprim7__merge17predicate_wrapperIttNSC_7greaterItEEEEEE10hipError_tPvRmT0_T1_T2_T3_T4_T5_mmT6_P12ihipStream_tbEUlT_E0_NS1_11comp_targetILNS1_3genE0ELNS1_11target_archE4294967295ELNS1_3gpuE0ELNS1_3repE0EEENS1_30default_config_static_selectorELNS0_4arch9wavefront6targetE0EEEvS10_: ; @_ZN7rocprim17ROCPRIM_400000_NS6detail17trampoline_kernelINS0_14default_configENS1_21merge_config_selectorINS0_5tupleIJttEEENS0_10empty_typeEEEZNS1_10merge_implIS3_NS0_12zip_iteratorINS5_IJN6thrust23THRUST_200600_302600_NS6detail15normal_iteratorINSC_10device_ptrIKtEEEESI_EEEEESK_NSA_INS5_IJNSE_INSF_ItEEEESM_EEEEEPS7_SP_SP_NSC_11hip_rocprim7__merge17predicate_wrapperIttNSC_7greaterItEEEEEE10hipError_tPvRmT0_T1_T2_T3_T4_T5_mmT6_P12ihipStream_tbEUlT_E0_NS1_11comp_targetILNS1_3genE0ELNS1_11target_archE4294967295ELNS1_3gpuE0ELNS1_3repE0EEENS1_30default_config_static_selectorELNS0_4arch9wavefront6targetE0EEEvS10_
; %bb.0:
	s_clause 0x1
	s_load_b128 s[12:15], s[0:1], 0x58
	s_load_b256 s[4:11], s[0:1], 0x8
	s_bfe_u32 s2, ttmp6, 0x4000c
	s_and_b32 s3, ttmp6, 15
	s_add_co_i32 s2, s2, 1
	s_wait_kmcnt 0x0
	s_getreg_b32 s13, hwreg(HW_REG_IB_STS2, 6, 4)
	s_mul_i32 s2, ttmp9, s2
	s_mov_b32 s19, 0
	s_add_co_i32 s3, s3, s2
	s_cmp_eq_u32 s13, 0
	v_mov_b32_e32 v1, 0
	s_cselect_b32 s2, ttmp9, s3
	s_add_co_i32 s22, s14, s12
	s_add_co_i32 s12, s2, 1
	;; [unrolled: 1-line block ×3, first 2 shown]
	s_delay_alu instid0(SALU_CYCLE_1) | instskip(NEXT) | instid1(SALU_CYCLE_1)
	s_mul_hi_u32 s3, s3, 0xcccccccd
	s_lshr_b32 s3, s3, 11
	s_delay_alu instid0(SALU_CYCLE_1)
	s_min_u32 s16, s2, s3
	s_min_u32 s3, s12, s3
	s_clause 0x1
	s_load_b32 s18, s[4:5], s16 offset:0x0 scale_offset
	s_load_b32 s17, s[4:5], s3 offset:0x0 scale_offset
	s_load_b128 s[12:15], s[0:1], 0x28
	s_wait_xcnt 0x0
	s_mul_i32 s16, s2, 0xa00
	s_mov_b32 s3, s19
	s_add_co_i32 s2, s16, 0xa00
	s_delay_alu instid0(SALU_CYCLE_1)
	s_min_u32 s23, s22, s2
	s_wait_kmcnt 0x0
	s_sub_co_i32 s2, s16, s18
	s_lshl_b64 s[20:21], s[18:19], 1
	s_lshl_b64 s[24:25], s[2:3], 1
	s_add_co_i32 s2, s2, s17
	s_sub_co_i32 s18, s17, s18
	s_sub_co_i32 s2, s23, s2
	s_add_nc_u64 s[4:5], s[10:11], s[24:25]
	s_add_nc_u64 s[10:11], s[12:13], s[24:25]
	;; [unrolled: 1-line block ×3, first 2 shown]
	s_mov_b32 s3, exec_lo
	v_cmpx_le_u32_e64 s18, v0
	s_xor_b32 s3, exec_lo, s3
	s_cbranch_execz .LBB398_4
; %bb.1:
	s_mov_b32 s17, exec_lo
	v_cmpx_gt_u64_e64 s[12:13], v[0:1]
	s_cbranch_execz .LBB398_3
; %bb.2:
	v_subrev_nc_u32_e32 v2, s18, v0
	s_clause 0x1
	global_load_u16 v3, v2, s[4:5] scale_offset
	global_load_u16 v4, v2, s[10:11] scale_offset
	s_wait_xcnt 0x0
	v_lshlrev_b32_e32 v2, 2, v0
	s_wait_loadcnt 0x0
	v_perm_b32 v3, v4, v3, 0x5040100
	ds_store_b32 v2, v3
.LBB398_3:
	s_or_b32 exec_lo, exec_lo, s17
.LBB398_4:
	s_or_saveexec_b32 s3, s3
	v_lshlrev_b32_e32 v20, 2, v0
	s_add_nc_u64 s[6:7], s[6:7], s[20:21]
	s_add_nc_u64 s[8:9], s[8:9], s[20:21]
	s_xor_b32 exec_lo, exec_lo, s3
	s_cbranch_execz .LBB398_6
; %bb.5:
	s_clause 0x1
	global_load_u16 v2, v0, s[6:7] scale_offset
	global_load_u16 v3, v0, s[8:9] scale_offset
	s_wait_loadcnt 0x0
	v_perm_b32 v2, v3, v2, 0x5040100
	ds_store_b32 v20, v2
.LBB398_6:
	s_or_b32 exec_lo, exec_lo, s3
	v_or_b32_e32 v2, 0x100, v0
	v_mov_b32_e32 v3, 0
	s_mov_b32 s3, exec_lo
	s_delay_alu instid0(VALU_DEP_2)
	v_cmpx_le_u32_e64 s18, v2
	s_xor_b32 s3, exec_lo, s3
	s_cbranch_execz .LBB398_10
; %bb.7:
	s_mov_b32 s17, exec_lo
	v_cmpx_gt_u64_e64 s[12:13], v[2:3]
	s_cbranch_execz .LBB398_9
; %bb.8:
	v_sub_nc_u64_e64 v[4:5], v[0:1], s[18:19]
	s_delay_alu instid0(VALU_DEP_1) | instskip(NEXT) | instid1(VALU_DEP_1)
	v_lshlrev_b64_e32 v[4:5], 1, v[4:5]
	v_add_nc_u64_e32 v[6:7], s[4:5], v[4:5]
	v_add_nc_u64_e32 v[4:5], s[10:11], v[4:5]
	global_load_u16 v3, v[6:7], off offset:512
	global_load_u16 v8, v[4:5], off offset:512
	s_wait_loadcnt 0x0
	v_perm_b32 v3, v8, v3, 0x5040100
	ds_store_b32 v20, v3 offset:1024
.LBB398_9:
	s_or_b32 exec_lo, exec_lo, s17
.LBB398_10:
	s_and_not1_saveexec_b32 s3, s3
	s_cbranch_execz .LBB398_12
; %bb.11:
	s_clause 0x1
	global_load_u16 v3, v0, s[6:7] offset:512 scale_offset
	global_load_u16 v4, v0, s[8:9] offset:512 scale_offset
	s_wait_loadcnt 0x0
	v_perm_b32 v3, v4, v3, 0x5040100
	ds_store_b32 v20, v3 offset:1024
.LBB398_12:
	s_or_b32 exec_lo, exec_lo, s3
	v_or_b32_e32 v4, 0x200, v0
	v_mov_b32_e32 v5, 0
	s_mov_b32 s3, exec_lo
	s_delay_alu instid0(VALU_DEP_2)
	v_cmpx_le_u32_e64 s18, v4
	s_xor_b32 s3, exec_lo, s3
	s_cbranch_execz .LBB398_16
; %bb.13:
	s_mov_b32 s17, exec_lo
	v_cmpx_gt_u64_e64 s[12:13], v[4:5]
	s_cbranch_execz .LBB398_15
; %bb.14:
	v_sub_nc_u64_e64 v[6:7], v[0:1], s[18:19]
	s_delay_alu instid0(VALU_DEP_1) | instskip(NEXT) | instid1(VALU_DEP_1)
	v_lshlrev_b64_e32 v[6:7], 1, v[6:7]
	v_add_nc_u64_e32 v[8:9], s[4:5], v[6:7]
	v_add_nc_u64_e32 v[6:7], s[10:11], v[6:7]
	global_load_u16 v3, v[8:9], off offset:1024
	global_load_u16 v5, v[6:7], off offset:1024
	s_wait_loadcnt 0x0
	v_perm_b32 v3, v5, v3, 0x5040100
	ds_store_b32 v20, v3 offset:2048
.LBB398_15:
	s_or_b32 exec_lo, exec_lo, s17
.LBB398_16:
	s_and_not1_saveexec_b32 s3, s3
	s_cbranch_execz .LBB398_18
; %bb.17:
	s_clause 0x1
	global_load_u16 v3, v0, s[6:7] offset:1024 scale_offset
	global_load_u16 v5, v0, s[8:9] offset:1024 scale_offset
	s_wait_loadcnt 0x0
	v_perm_b32 v3, v5, v3, 0x5040100
	ds_store_b32 v20, v3 offset:2048
.LBB398_18:
	;; [unrolled: 36-line block ×8, first 2 shown]
	s_or_b32 exec_lo, exec_lo, s3
	v_or_b32_e32 v18, 0x900, v0
	v_mov_b32_e32 v19, 0
	s_mov_b32 s3, exec_lo
	s_delay_alu instid0(VALU_DEP_2)
	v_cmpx_le_u32_e64 s18, v18
	s_xor_b32 s3, exec_lo, s3
	s_cbranch_execz .LBB398_58
; %bb.55:
	v_cmp_gt_u64_e32 vcc_lo, s[12:13], v[18:19]
	s_and_saveexec_b32 s12, vcc_lo
	s_cbranch_execz .LBB398_57
; %bb.56:
	v_sub_nc_u64_e64 v[22:23], v[0:1], s[18:19]
	s_delay_alu instid0(VALU_DEP_1) | instskip(NEXT) | instid1(VALU_DEP_1)
	v_lshlrev_b64_e32 v[22:23], 1, v[22:23]
	v_add_nc_u64_e32 v[24:25], s[4:5], v[22:23]
	v_add_nc_u64_e32 v[22:23], s[10:11], v[22:23]
	global_load_u16 v1, v[24:25], off offset:4608
	global_load_u16 v3, v[22:23], off offset:4608
	s_wait_loadcnt 0x0
	v_perm_b32 v1, v3, v1, 0x5040100
	ds_store_b32 v20, v1 offset:9216
.LBB398_57:
	s_or_b32 exec_lo, exec_lo, s12
                                        ; implicit-def: $vgpr20
.LBB398_58:
	s_or_saveexec_b32 s3, s3
	s_load_b64 s[10:11], s[0:1], 0x38
	s_xor_b32 exec_lo, exec_lo, s3
	s_cbranch_execz .LBB398_60
; %bb.59:
	s_clause 0x1
	global_load_u16 v1, v0, s[6:7] offset:4608 scale_offset
	global_load_u16 v3, v0, s[8:9] offset:4608 scale_offset
	s_wait_loadcnt 0x0
	v_perm_b32 v1, v3, v1, 0x5040100
	ds_store_b32 v20, v1 offset:9216
.LBB398_60:
	s_or_b32 exec_lo, exec_lo, s3
	v_mul_u32_u24_e32 v3, 10, v0
	s_wait_xcnt 0x0
	s_mov_b32 s0, exec_lo
	s_wait_dscnt 0x0
	s_barrier_signal -1
	s_barrier_wait -1
	v_sub_nc_u32_e64 v11, v3, s2 clamp
	v_min_u32_e32 v5, s18, v3
	v_lshlrev_b32_e32 v1, 2, v3
	s_delay_alu instid0(VALU_DEP_2)
	v_cmpx_lt_u32_e64 v11, v5
	s_cbranch_execz .LBB398_64
; %bb.61:
	s_delay_alu instid0(VALU_DEP_2)
	v_lshl_add_u32 v7, s18, 2, v1
	s_mov_b32 s1, 0
.LBB398_62:                             ; =>This Inner Loop Header: Depth=1
	v_add_nc_u32_e32 v9, v5, v11
	s_delay_alu instid0(VALU_DEP_1) | instskip(NEXT) | instid1(VALU_DEP_1)
	v_lshrrev_b32_e32 v9, 1, v9
	v_not_b32_e32 v13, v9
	v_dual_lshlrev_b32 v15, 2, v9 :: v_dual_add_nc_u32 v17, 1, v9
	s_delay_alu instid0(VALU_DEP_2)
	v_lshl_add_u32 v13, v13, 2, v7
	ds_load_b32 v15, v15
	ds_load_b32 v13, v13
	s_wait_dscnt 0x0
	v_cmp_gt_u16_e32 vcc_lo, v13, v15
	v_cndmask_b32_e32 v11, v17, v11, vcc_lo
	v_cndmask_b32_e32 v5, v5, v9, vcc_lo
	s_delay_alu instid0(VALU_DEP_1) | instskip(SKIP_1) | instid1(SALU_CYCLE_1)
	v_cmp_ge_u32_e32 vcc_lo, v11, v5
	s_or_b32 s1, vcc_lo, s1
	s_and_not1_b32 exec_lo, exec_lo, s1
	s_cbranch_execnz .LBB398_62
; %bb.63:
	s_or_b32 exec_lo, exec_lo, s1
.LBB398_64:
	s_delay_alu instid0(SALU_CYCLE_1) | instskip(SKIP_4) | instid1(VALU_DEP_3)
	s_or_b32 exec_lo, exec_lo, s0
	v_dual_mov_b32 v20, 0 :: v_dual_add_nc_u32 v3, s18, v3
	v_mov_b32_e32 v21, 0
	s_add_co_i32 s12, s2, s18
	v_cmp_ge_u32_e32 vcc_lo, s18, v11
	v_dual_mov_b32 v22, 0 :: v_dual_sub_nc_u32 v13, v3, v11
	v_dual_mov_b32 v23, 0 :: v_dual_mov_b32 v24, 0
	v_mov_b32_e32 v25, 0
	s_delay_alu instid0(VALU_DEP_3) | instskip(SKIP_3) | instid1(SALU_CYCLE_1)
	v_cmp_ge_u32_e64 s0, s12, v13
	v_dual_mov_b32 v26, 0 :: v_dual_mov_b32 v27, 0
	v_dual_mov_b32 v28, 0 :: v_dual_mov_b32 v29, 0
	s_or_b32 s0, vcc_lo, s0
	s_and_saveexec_b32 s9, s0
	s_cbranch_execz .LBB398_70
; %bb.65:
	v_cmp_gt_u32_e32 vcc_lo, s18, v11
	v_dual_mov_b32 v5, 0 :: v_dual_mov_b32 v7, 0
	v_mov_b32_e32 v3, 0
	s_and_saveexec_b32 s0, vcc_lo
	s_cbranch_execz .LBB398_67
; %bb.66:
	v_lshlrev_b32_e32 v3, 2, v11
	ds_load_b32 v7, v3
	s_wait_dscnt 0x0
	v_lshrrev_b32_e32 v3, 16, v7
.LBB398_67:
	s_or_b32 exec_lo, exec_lo, s0
	v_cmp_le_u32_e64 s0, s12, v13
	v_mov_b32_e32 v9, 0
	s_mov_b32 s2, exec_lo
	v_cmpx_gt_u32_e64 s12, v13
	s_cbranch_execz .LBB398_69
; %bb.68:
	v_lshlrev_b32_e32 v5, 2, v13
	ds_load_b32 v5, v5
	s_wait_dscnt 0x0
	v_lshrrev_b32_e32 v9, 16, v5
.LBB398_69:
	s_or_b32 exec_lo, exec_lo, s2
	v_cmp_le_u16_e64 s1, v5, v7
	s_delay_alu instid0(VALU_DEP_2) | instskip(SKIP_1) | instid1(SALU_CYCLE_1)
	v_dual_lshlrev_b32 v38, 16, v3 :: v_dual_lshlrev_b32 v39, 16, v9
	s_and_b32 s1, vcc_lo, s1
	s_or_b32 vcc_lo, s0, s1
	s_delay_alu instid0(SALU_CYCLE_1) | instskip(NEXT) | instid1(VALU_DEP_1)
	v_dual_mov_b32 v15, s18 :: v_dual_cndmask_b32 v17, v13, v11, vcc_lo
	v_dual_cndmask_b32 v19, s12, v15, vcc_lo :: v_dual_add_nc_u32 v17, 1, v17
	s_delay_alu instid0(VALU_DEP_1) | instskip(SKIP_1) | instid1(VALU_DEP_2)
	v_add_min_u32_e64 v19, v19, -1, v17
	v_cndmask_b32_e32 v11, v11, v17, vcc_lo
	v_dual_cndmask_b32 v13, v17, v13, vcc_lo :: v_dual_lshlrev_b32 v19, 2, v19
	s_delay_alu instid0(VALU_DEP_2) | instskip(NEXT) | instid1(VALU_DEP_2)
	v_cmp_gt_u32_e64 s0, s18, v11
	v_cmp_le_u32_e64 s2, s12, v13
	ds_load_b32 v19, v19
	s_wait_dscnt 0x0
	v_cndmask_b32_e32 v20, v19, v5, vcc_lo
	v_cndmask_b32_e32 v21, v7, v19, vcc_lo
	v_and_b32_e32 v5, 0xffff, v5
	v_and_b32_e32 v7, 0xffff, v7
	s_delay_alu instid0(VALU_DEP_3) | instskip(NEXT) | instid1(VALU_DEP_3)
	v_cmp_le_u16_e64 s1, v20, v21
	v_or_b32_e32 v5, v39, v5
	s_and_b32 s0, s0, s1
	s_delay_alu instid0(SALU_CYCLE_1) | instskip(NEXT) | instid1(SALU_CYCLE_1)
	s_or_b32 s0, s2, s0
	v_cndmask_b32_e64 v17, v13, v11, s0
	s_delay_alu instid0(VALU_DEP_1) | instskip(NEXT) | instid1(VALU_DEP_1)
	v_dual_cndmask_b32 v22, s12, v15, s0 :: v_dual_add_nc_u32 v17, 1, v17
	v_add_min_u32_e64 v22, v22, -1, v17
	v_cndmask_b32_e64 v11, v11, v17, s0
	s_delay_alu instid0(VALU_DEP_2) | instskip(NEXT) | instid1(VALU_DEP_2)
	v_dual_cndmask_b32 v13, v17, v13, s0 :: v_dual_lshlrev_b32 v22, 2, v22
	v_cmp_gt_u32_e64 s1, s18, v11
	s_delay_alu instid0(VALU_DEP_2) | instskip(SKIP_4) | instid1(VALU_DEP_2)
	v_cmp_le_u32_e64 s3, s12, v13
	ds_load_b32 v22, v22
	s_wait_dscnt 0x0
	v_dual_cndmask_b32 v23, v22, v20, s0 :: v_dual_cndmask_b32 v24, v21, v22, s0
	v_lshrrev_b32_e32 v22, 16, v22
	v_cmp_le_u16_e64 s2, v23, v24
	s_and_b32 s1, s1, s2
	s_delay_alu instid0(SALU_CYCLE_1) | instskip(NEXT) | instid1(SALU_CYCLE_1)
	s_or_b32 s1, s3, s1
	v_cndmask_b32_e64 v17, v13, v11, s1
	s_delay_alu instid0(VALU_DEP_1) | instskip(NEXT) | instid1(VALU_DEP_1)
	v_dual_cndmask_b32 v25, s12, v15, s1 :: v_dual_add_nc_u32 v17, 1, v17
	v_add_min_u32_e64 v25, v25, -1, v17
	s_delay_alu instid0(VALU_DEP_1)
	v_lshlrev_b32_e32 v25, 2, v25
	ds_load_b32 v25, v25
	s_wait_dscnt 0x0
	v_dual_cndmask_b32 v11, v11, v17, s1 :: v_dual_cndmask_b32 v26, v25, v23, s1
	v_cndmask_b32_e64 v13, v17, v13, s1
	v_cndmask_b32_e64 v27, v24, v25, s1
	s_delay_alu instid0(VALU_DEP_3) | instskip(NEXT) | instid1(VALU_DEP_3)
	v_cmp_gt_u32_e64 s2, s18, v11
	v_cmp_le_u32_e64 s4, s12, v13
	s_delay_alu instid0(VALU_DEP_3) | instskip(SKIP_1) | instid1(SALU_CYCLE_1)
	v_cmp_le_u16_e64 s3, v26, v27
	s_and_b32 s2, s2, s3
	s_or_b32 s2, s4, s2
	s_delay_alu instid0(SALU_CYCLE_1) | instskip(NEXT) | instid1(VALU_DEP_1)
	v_cndmask_b32_e64 v17, v13, v11, s2
	v_dual_cndmask_b32 v28, s12, v15, s2 :: v_dual_add_nc_u32 v17, 1, v17
	s_delay_alu instid0(VALU_DEP_1) | instskip(NEXT) | instid1(VALU_DEP_1)
	v_add_min_u32_e64 v28, v28, -1, v17
	v_dual_cndmask_b32 v11, v11, v17, s2 :: v_dual_lshlrev_b32 v28, 2, v28
	s_delay_alu instid0(VALU_DEP_1) | instskip(SKIP_4) | instid1(VALU_DEP_2)
	v_cmp_gt_u32_e64 s3, s18, v11
	ds_load_b32 v28, v28
	s_wait_dscnt 0x0
	v_dual_cndmask_b32 v29, v28, v26, s2 :: v_dual_cndmask_b32 v30, v27, v28, s2
	v_cndmask_b32_e64 v13, v17, v13, s2
	v_cmp_le_u16_e64 s4, v29, v30
	s_delay_alu instid0(VALU_DEP_2) | instskip(SKIP_1) | instid1(SALU_CYCLE_1)
	v_cmp_le_u32_e64 s5, s12, v13
	s_and_b32 s3, s3, s4
	s_or_b32 s3, s5, s3
	s_delay_alu instid0(SALU_CYCLE_1) | instskip(NEXT) | instid1(VALU_DEP_1)
	v_cndmask_b32_e64 v17, v13, v11, s3
	v_dual_cndmask_b32 v31, s12, v15, s3 :: v_dual_add_nc_u32 v17, 1, v17
	s_delay_alu instid0(VALU_DEP_1) | instskip(SKIP_1) | instid1(VALU_DEP_2)
	v_add_min_u32_e64 v31, v31, -1, v17
	v_cndmask_b32_e64 v11, v11, v17, s3
	v_dual_cndmask_b32 v13, v17, v13, s3 :: v_dual_lshlrev_b32 v31, 2, v31
	s_delay_alu instid0(VALU_DEP_2) | instskip(NEXT) | instid1(VALU_DEP_2)
	v_cmp_gt_u32_e64 s4, s18, v11
	v_cmp_le_u32_e64 s6, s12, v13
	ds_load_b32 v31, v31
	s_wait_dscnt 0x0
	v_dual_cndmask_b32 v32, v31, v29, s3 :: v_dual_cndmask_b32 v33, v30, v31, s3
	s_delay_alu instid0(VALU_DEP_1) | instskip(SKIP_1) | instid1(SALU_CYCLE_1)
	v_cmp_le_u16_e64 s5, v32, v33
	s_and_b32 s4, s4, s5
	s_or_b32 s4, s6, s4
	s_delay_alu instid0(SALU_CYCLE_1) | instskip(NEXT) | instid1(VALU_DEP_1)
	v_cndmask_b32_e64 v17, v13, v11, s4
	v_dual_cndmask_b32 v34, s12, v15, s4 :: v_dual_add_nc_u32 v17, 1, v17
	s_delay_alu instid0(VALU_DEP_1) | instskip(NEXT) | instid1(VALU_DEP_1)
	v_add_min_u32_e64 v34, v34, -1, v17
	v_dual_cndmask_b32 v13, v17, v13, s4 :: v_dual_lshlrev_b32 v34, 2, v34
	s_delay_alu instid0(VALU_DEP_1) | instskip(SKIP_4) | instid1(VALU_DEP_2)
	v_cmp_le_u32_e64 s7, s12, v13
	ds_load_b32 v34, v34
	s_wait_dscnt 0x0
	v_dual_cndmask_b32 v11, v11, v17, s4 :: v_dual_cndmask_b32 v35, v34, v32, s4
	v_cndmask_b32_e64 v36, v33, v34, s4
	v_cmp_gt_u32_e64 s5, s18, v11
	s_delay_alu instid0(VALU_DEP_2) | instskip(SKIP_1) | instid1(SALU_CYCLE_1)
	v_cmp_le_u16_e64 s6, v35, v36
	s_and_b32 s5, s5, s6
	s_or_b32 s5, s7, s5
	s_delay_alu instid0(SALU_CYCLE_1) | instskip(NEXT) | instid1(VALU_DEP_1)
	v_cndmask_b32_e64 v17, v13, v11, s5
	v_dual_cndmask_b32 v37, s12, v15, s5 :: v_dual_add_nc_u32 v17, 1, v17
	v_or_b32_e32 v7, v38, v7
	s_delay_alu instid0(VALU_DEP_2) | instskip(NEXT) | instid1(VALU_DEP_3)
	v_dual_lshrrev_b32 v19, 16, v19 :: v_dual_cndmask_b32 v13, v17, v13, s5
	v_add_min_u32_e64 v37, v37, -1, v17
	v_cndmask_b32_e64 v11, v11, v17, s5
	v_and_b32_e32 v17, 0xffff, v21
	s_delay_alu instid0(VALU_DEP_4) | instskip(NEXT) | instid1(VALU_DEP_4)
	v_cmp_le_u32_e64 s8, s12, v13
	v_lshlrev_b32_e32 v37, 2, v37
	s_delay_alu instid0(VALU_DEP_4) | instskip(SKIP_3) | instid1(VALU_DEP_1)
	v_cmp_gt_u32_e64 s6, s18, v11
	ds_load_b32 v37, v37
	s_wait_dscnt 0x0
	v_dual_cndmask_b32 v38, v37, v35, s5 :: v_dual_cndmask_b32 v40, v36, v37, s5
	v_cmp_le_u16_e64 s7, v38, v40
	s_and_b32 s6, s6, s7
	s_delay_alu instid0(SALU_CYCLE_1) | instskip(SKIP_4) | instid1(VALU_DEP_4)
	s_or_b32 s6, s8, s6
	v_cndmask_b32_e32 v9, v19, v9, vcc_lo
	v_cndmask_b32_e32 v3, v3, v19, vcc_lo
	v_and_b32_e32 v19, 0xffff, v20
	v_cndmask_b32_e64 v20, v13, v11, s6
	v_dual_cndmask_b32 v41, s12, v15, s6 :: v_dual_lshlrev_b32 v39, 16, v9
	s_delay_alu instid0(VALU_DEP_4) | instskip(NEXT) | instid1(VALU_DEP_3)
	v_dual_lshlrev_b32 v21, 16, v3 :: v_dual_cndmask_b32 v3, v3, v22, s0
	v_dual_add_nc_u32 v42, 1, v20 :: v_dual_cndmask_b32 v20, v5, v7, vcc_lo
	v_cndmask_b32_e64 v9, v22, v9, s0
	s_delay_alu instid0(VALU_DEP_3) | instskip(SKIP_1) | instid1(VALU_DEP_4)
	v_or_b32_e32 v5, v21, v17
	v_dual_lshrrev_b32 v21, 16, v25 :: v_dual_bitop2_b32 v7, v39, v19 bitop3:0x54
	v_add_min_u32_e64 v17, v41, -1, v42
	v_and_b32_e32 v22, 0xffff, v23
	v_lshlrev_b32_e32 v23, 16, v3
	v_and_b32_e32 v19, 0xffff, v24
	v_dual_lshlrev_b32 v24, 16, v9 :: v_dual_cndmask_b32 v9, v21, v9, s1
	v_lshlrev_b32_e32 v17, 2, v17
	v_cndmask_b32_e64 v3, v3, v21, s1
	v_and_b32_e32 v21, 0xffff, v27
	v_and_b32_e32 v25, 0xffff, v26
	v_dual_lshrrev_b32 v23, 16, v28 :: v_dual_bitop2_b32 v19, v23, v19 bitop3:0x54
	ds_load_b32 v17, v17
	v_dual_lshlrev_b32 v26, 16, v3 :: v_dual_bitop2_b32 v22, v24, v22 bitop3:0x54
	v_dual_lshlrev_b32 v27, 16, v9 :: v_dual_cndmask_b32 v3, v3, v23, s2
	s_delay_alu instid0(VALU_DEP_2) | instskip(NEXT) | instid1(VALU_DEP_3)
	v_dual_cndmask_b32 v11, v11, v42, s6 :: v_dual_cndmask_b32 v22, v22, v19, s1
	v_or_b32_e32 v24, v26, v21
	s_delay_alu instid0(VALU_DEP_3) | instskip(SKIP_3) | instid1(VALU_DEP_4)
	v_or_b32_e32 v25, v27, v25
	v_cndmask_b32_e64 v21, v7, v5, s0
	v_dual_cndmask_b32 v5, v23, v9, s2 :: v_dual_lshlrev_b32 v19, 16, v3
	v_and_b32_e32 v7, 0xffff, v30
	v_dual_cndmask_b32 v23, v25, v24, s2 :: v_dual_cndmask_b32 v13, v42, v13, s6
	s_delay_alu instid0(VALU_DEP_3) | instskip(SKIP_1) | instid1(VALU_DEP_4)
	v_lshlrev_b32_e32 v24, 16, v5
	v_cmp_gt_u32_e32 vcc_lo, s18, v11
	v_or_b32_e32 v7, v19, v7
	v_and_b32_e32 v9, 0xffff, v29
	v_cmp_le_u32_e64 s1, s12, v13
	s_wait_dscnt 0x0
	v_dual_cndmask_b32 v27, v17, v38, s6 :: v_dual_cndmask_b32 v28, v40, v17, s6
	s_delay_alu instid0(VALU_DEP_3) | instskip(SKIP_2) | instid1(VALU_DEP_4)
	v_dual_lshrrev_b32 v19, 16, v31 :: v_dual_bitop2_b32 v9, v24, v9 bitop3:0x54
	v_lshrrev_b32_e32 v26, 16, v34
	v_and_b32_e32 v25, 0xffff, v32
	v_cmp_le_u16_e64 s0, v27, v28
	s_delay_alu instid0(VALU_DEP_4) | instskip(SKIP_2) | instid1(SALU_CYCLE_1)
	v_cndmask_b32_e64 v3, v3, v19, s3
	v_and_b32_e32 v31, 0xffff, v35
	s_and_b32 s0, vcc_lo, s0
	s_or_b32 vcc_lo, s1, s0
	s_delay_alu instid0(SALU_CYCLE_1) | instskip(SKIP_3) | instid1(VALU_DEP_4)
	v_dual_cndmask_b32 v5, v19, v5, s3 :: v_dual_cndmask_b32 v24, v13, v11, vcc_lo
	v_lshlrev_b32_e32 v29, 16, v3
	v_cndmask_b32_e32 v15, s12, v15, vcc_lo
	v_and_b32_e32 v19, 0xffff, v33
	v_dual_add_nc_u32 v30, 1, v24 :: v_dual_lshlrev_b32 v24, 16, v5
	s_delay_alu instid0(VALU_DEP_2) | instskip(SKIP_1) | instid1(VALU_DEP_3)
	v_dual_cndmask_b32 v3, v3, v26, s4 :: v_dual_bitop2_b32 v19, v29, v19 bitop3:0x54
	v_cndmask_b32_e64 v5, v26, v5, s4
	v_add_min_u32_e64 v15, v15, -1, v30
	v_and_b32_e32 v26, 0xffff, v36
	s_delay_alu instid0(VALU_DEP_4) | instskip(NEXT) | instid1(VALU_DEP_4)
	v_dual_lshlrev_b32 v29, 16, v3 :: v_dual_bitop2_b32 v25, v24, v25 bitop3:0x54
	v_dual_cndmask_b32 v24, v9, v7, s3 :: v_dual_lshlrev_b32 v32, 16, v5
	s_delay_alu instid0(VALU_DEP_2) | instskip(NEXT) | instid1(VALU_DEP_3)
	v_dual_lshlrev_b32 v15, 2, v15 :: v_dual_bitop2_b32 v26, v29, v26 bitop3:0x54
	v_dual_lshrrev_b32 v29, 16, v37 :: v_dual_cndmask_b32 v25, v25, v19, s4
	v_lshrrev_b32_e32 v7, 16, v17
	ds_load_b32 v15, v15
	v_dual_cndmask_b32 v3, v3, v29, s5 :: v_dual_bitop2_b32 v31, v32, v31 bitop3:0x54
	v_cndmask_b32_e64 v5, v29, v5, s5
	v_and_b32_e32 v9, 0xffff, v40
	v_and_b32_e32 v17, 0xffff, v38
	s_delay_alu instid0(VALU_DEP_4) | instskip(SKIP_4) | instid1(VALU_DEP_3)
	v_cndmask_b32_e64 v26, v31, v26, s5
	v_cndmask_b32_e64 v19, v3, v7, s6
	v_dual_lshlrev_b32 v3, 16, v3 :: v_dual_cndmask_b32 v7, v7, v5, s6
	v_lshlrev_b32_e32 v5, 16, v5
	v_and_b32_e32 v29, 0xffff, v28
	v_dual_lshlrev_b32 v31, 16, v19 :: v_dual_bitop2_b32 v3, v3, v9 bitop3:0x54
	v_and_b32_e32 v32, 0xffff, v27
	s_delay_alu instid0(VALU_DEP_4) | instskip(NEXT) | instid1(VALU_DEP_3)
	v_dual_lshlrev_b32 v33, 16, v7 :: v_dual_bitop2_b32 v5, v5, v17 bitop3:0x54
	v_or_b32_e32 v9, v31, v29
	v_dual_cndmask_b32 v13, v30, v13, vcc_lo :: v_dual_cndmask_b32 v11, v11, v30, vcc_lo
	s_wait_dscnt 0x0
	s_delay_alu instid0(VALU_DEP_3) | instskip(SKIP_3) | instid1(VALU_DEP_4)
	v_dual_lshrrev_b32 v17, 16, v15 :: v_dual_bitop2_b32 v29, v33, v32 bitop3:0x54
	v_cndmask_b32_e32 v28, v28, v15, vcc_lo
	v_cndmask_b32_e32 v15, v15, v27, vcc_lo
	v_cmp_gt_u32_e64 s0, s18, v11
	v_dual_cndmask_b32 v19, v19, v17, vcc_lo :: v_dual_cndmask_b32 v7, v17, v7, vcc_lo
	s_delay_alu instid0(VALU_DEP_4) | instskip(NEXT) | instid1(VALU_DEP_4)
	v_and_b32_e32 v17, 0xffff, v28
	v_cmp_le_u16_e64 s1, v15, v28
	v_cndmask_b32_e32 v28, v29, v9, vcc_lo
	v_and_b32_e32 v27, 0xffff, v15
	v_lshlrev_b32_e32 v19, 16, v19
	v_lshlrev_b32_e32 v7, 16, v7
	v_cmp_le_u32_e64 s2, s12, v13
	s_and_b32 s0, s0, s1
	v_or_b32_e32 v11, v19, v17
	v_or_b32_e32 v7, v7, v27
	s_or_b32 vcc_lo, s2, s0
	v_cndmask_b32_e64 v27, v5, v3, s6
	s_delay_alu instid0(VALU_DEP_2)
	v_cndmask_b32_e32 v29, v7, v11, vcc_lo
.LBB398_70:
	s_or_b32 exec_lo, exec_lo, s9
	v_mul_i32_i24_e32 v3, 0xffffffdc, v0
	s_mov_b32 s17, 0
	s_sub_co_i32 s4, s22, s16
	s_lshl_b64 s[2:3], s[16:17], 1
	s_cmp_gt_u32 s4, 0x9ff
	v_add_nc_u32_e32 v3, v1, v3
	s_add_nc_u64 s[0:1], s[14:15], s[2:3]
	s_wait_kmcnt 0x0
	s_add_nc_u64 s[2:3], s[10:11], s[2:3]
	s_barrier_signal -1
	s_barrier_wait -1
	ds_store_2addr_b64 v1, v[20:21], v[22:23] offset1:1
	ds_store_2addr_b64 v1, v[24:25], v[26:27] offset0:2 offset1:3
	ds_store_b64 v1, v[28:29] offset:32
	s_wait_dscnt 0x0
	s_cbranch_scc0 .LBB398_72
; %bb.71:
	s_barrier_signal -1
	s_barrier_wait -1
	ds_load_2addr_stride64_b32 v[22:23], v3 offset1:4
	ds_load_2addr_stride64_b32 v[24:25], v3 offset0:8 offset1:12
	ds_load_2addr_stride64_b32 v[26:27], v3 offset0:16 offset1:20
	;; [unrolled: 1-line block ×4, first 2 shown]
	s_mov_b32 s17, -1
	s_wait_dscnt 0x4
	s_clause 0x3
	global_store_b16 v0, v22, s[0:1] scale_offset
	global_store_d16_hi_b16 v0, v22, s[2:3] scale_offset
	global_store_b16 v0, v23, s[0:1] offset:512 scale_offset
	global_store_d16_hi_b16 v0, v23, s[2:3] offset:512 scale_offset
	s_wait_dscnt 0x3
	s_clause 0x3
	global_store_b16 v0, v24, s[0:1] offset:1024 scale_offset
	global_store_d16_hi_b16 v0, v24, s[2:3] offset:1024 scale_offset
	global_store_b16 v0, v25, s[0:1] offset:1536 scale_offset
	global_store_d16_hi_b16 v0, v25, s[2:3] offset:1536 scale_offset
	s_wait_dscnt 0x2
	s_clause 0x3
	global_store_b16 v0, v26, s[0:1] offset:2048 scale_offset
	global_store_d16_hi_b16 v0, v26, s[2:3] offset:2048 scale_offset
	;; [unrolled: 6-line block ×4, first 2 shown]
	s_cbranch_execz .LBB398_73
	s_branch .LBB398_84
.LBB398_72:
                                        ; implicit-def: $vgpr21
.LBB398_73:
	s_barrier_signal -1
	s_barrier_wait -1
	s_wait_storecnt 0x0
	ds_load_2addr_stride64_b32 v[32:33], v3 offset0:4 offset1:8
	ds_load_2addr_stride64_b32 v[30:31], v3 offset0:12 offset1:16
	s_wait_xcnt 0x2
	ds_load_2addr_stride64_b32 v[28:29], v3 offset0:20 offset1:24
	ds_load_2addr_stride64_b32 v[22:23], v3 offset0:28 offset1:32
	ds_load_b32 v21, v3 offset:9216
	v_dual_mov_b32 v27, 0 :: v_dual_lshlrev_b32 v26, 1, v0
	s_mov_b32 s5, exec_lo
	s_delay_alu instid0(VALU_DEP_1)
	v_add_nc_u64_e32 v[24:25], s[0:1], v[26:27]
	v_add_nc_u64_e32 v[26:27], s[2:3], v[26:27]
	s_wait_xcnt 0x0
	v_cmpx_gt_u32_e64 s4, v0
	s_cbranch_execnz .LBB398_87
; %bb.74:
	s_or_b32 exec_lo, exec_lo, s5
	s_delay_alu instid0(SALU_CYCLE_1)
	s_mov_b32 s5, exec_lo
	v_cmpx_gt_u32_e64 s4, v2
	s_cbranch_execnz .LBB398_88
.LBB398_75:
	s_or_b32 exec_lo, exec_lo, s5
	s_delay_alu instid0(SALU_CYCLE_1)
	s_mov_b32 s5, exec_lo
	v_cmpx_gt_u32_e64 s4, v4
	s_cbranch_execnz .LBB398_89
.LBB398_76:
	s_or_b32 exec_lo, exec_lo, s5
	s_delay_alu instid0(SALU_CYCLE_1)
	s_mov_b32 s5, exec_lo
	v_cmpx_gt_u32_e64 s4, v6
	s_cbranch_execnz .LBB398_90
.LBB398_77:
	s_or_b32 exec_lo, exec_lo, s5
	s_delay_alu instid0(SALU_CYCLE_1)
	s_mov_b32 s5, exec_lo
	v_cmpx_gt_u32_e64 s4, v8
	s_cbranch_execnz .LBB398_91
.LBB398_78:
	s_or_b32 exec_lo, exec_lo, s5
	s_delay_alu instid0(SALU_CYCLE_1)
	s_mov_b32 s5, exec_lo
	v_cmpx_gt_u32_e64 s4, v10
	s_cbranch_execnz .LBB398_92
.LBB398_79:
	s_or_b32 exec_lo, exec_lo, s5
	s_delay_alu instid0(SALU_CYCLE_1)
	s_mov_b32 s5, exec_lo
	v_cmpx_gt_u32_e64 s4, v12
	s_cbranch_execnz .LBB398_93
.LBB398_80:
	s_or_b32 exec_lo, exec_lo, s5
	s_delay_alu instid0(SALU_CYCLE_1)
	s_mov_b32 s5, exec_lo
	v_cmpx_gt_u32_e64 s4, v14
	s_cbranch_execnz .LBB398_94
.LBB398_81:
	s_or_b32 exec_lo, exec_lo, s5
	s_delay_alu instid0(SALU_CYCLE_1)
	s_mov_b32 s5, exec_lo
	v_cmpx_gt_u32_e64 s4, v16
	s_cbranch_execz .LBB398_83
.LBB398_82:
	s_wait_dscnt 0x1
	global_store_b16 v[24:25], v23, off offset:4096
	global_store_d16_hi_b16 v[26:27], v23, off offset:4096
.LBB398_83:
	s_wait_xcnt 0x0
	s_or_b32 exec_lo, exec_lo, s5
	v_cmp_gt_u32_e64 s17, s4, v18
.LBB398_84:
	s_wait_xcnt 0x0
	s_delay_alu instid0(VALU_DEP_1)
	s_and_saveexec_b32 s4, s17
	s_cbranch_execnz .LBB398_86
; %bb.85:
	s_endpgm
.LBB398_86:
	s_wait_dscnt 0x0
	s_clause 0x1
	global_store_b16 v0, v21, s[0:1] offset:4608 scale_offset
	global_store_d16_hi_b16 v0, v21, s[2:3] offset:4608 scale_offset
	s_endpgm
.LBB398_87:
	ds_load_b32 v1, v3
	s_wait_dscnt 0x0
	global_store_b16 v[24:25], v1, off
	global_store_d16_hi_b16 v[26:27], v1, off
	s_wait_xcnt 0x0
	s_or_b32 exec_lo, exec_lo, s5
	s_delay_alu instid0(SALU_CYCLE_1)
	s_mov_b32 s5, exec_lo
	v_cmpx_gt_u32_e64 s4, v2
	s_cbranch_execz .LBB398_75
.LBB398_88:
	s_wait_dscnt 0x4
	global_store_b16 v[24:25], v32, off offset:512
	global_store_d16_hi_b16 v[26:27], v32, off offset:512
	s_wait_xcnt 0x0
	s_or_b32 exec_lo, exec_lo, s5
	s_delay_alu instid0(SALU_CYCLE_1)
	s_mov_b32 s5, exec_lo
	v_cmpx_gt_u32_e64 s4, v4
	s_cbranch_execz .LBB398_76
.LBB398_89:
	s_wait_dscnt 0x4
	global_store_b16 v[24:25], v33, off offset:1024
	global_store_d16_hi_b16 v[26:27], v33, off offset:1024
	s_wait_xcnt 0x0
	s_or_b32 exec_lo, exec_lo, s5
	s_delay_alu instid0(SALU_CYCLE_1)
	s_mov_b32 s5, exec_lo
	v_cmpx_gt_u32_e64 s4, v6
	s_cbranch_execz .LBB398_77
.LBB398_90:
	s_wait_dscnt 0x3
	global_store_b16 v[24:25], v30, off offset:1536
	global_store_d16_hi_b16 v[26:27], v30, off offset:1536
	s_wait_xcnt 0x0
	s_or_b32 exec_lo, exec_lo, s5
	s_delay_alu instid0(SALU_CYCLE_1)
	s_mov_b32 s5, exec_lo
	v_cmpx_gt_u32_e64 s4, v8
	s_cbranch_execz .LBB398_78
.LBB398_91:
	s_wait_dscnt 0x3
	global_store_b16 v[24:25], v31, off offset:2048
	global_store_d16_hi_b16 v[26:27], v31, off offset:2048
	s_wait_xcnt 0x0
	s_or_b32 exec_lo, exec_lo, s5
	s_delay_alu instid0(SALU_CYCLE_1)
	s_mov_b32 s5, exec_lo
	v_cmpx_gt_u32_e64 s4, v10
	s_cbranch_execz .LBB398_79
.LBB398_92:
	s_wait_dscnt 0x2
	global_store_b16 v[24:25], v28, off offset:2560
	global_store_d16_hi_b16 v[26:27], v28, off offset:2560
	s_wait_xcnt 0x0
	s_or_b32 exec_lo, exec_lo, s5
	s_delay_alu instid0(SALU_CYCLE_1)
	s_mov_b32 s5, exec_lo
	v_cmpx_gt_u32_e64 s4, v12
	s_cbranch_execz .LBB398_80
.LBB398_93:
	s_wait_dscnt 0x2
	global_store_b16 v[24:25], v29, off offset:3072
	global_store_d16_hi_b16 v[26:27], v29, off offset:3072
	s_wait_xcnt 0x0
	s_or_b32 exec_lo, exec_lo, s5
	s_delay_alu instid0(SALU_CYCLE_1)
	s_mov_b32 s5, exec_lo
	v_cmpx_gt_u32_e64 s4, v14
	s_cbranch_execz .LBB398_81
.LBB398_94:
	s_wait_dscnt 0x1
	global_store_b16 v[24:25], v22, off offset:3584
	global_store_d16_hi_b16 v[26:27], v22, off offset:3584
	s_wait_xcnt 0x0
	s_or_b32 exec_lo, exec_lo, s5
	s_delay_alu instid0(SALU_CYCLE_1)
	s_mov_b32 s5, exec_lo
	v_cmpx_gt_u32_e64 s4, v16
	s_cbranch_execnz .LBB398_82
	s_branch .LBB398_83
	.section	.rodata,"a",@progbits
	.p2align	6, 0x0
	.amdhsa_kernel _ZN7rocprim17ROCPRIM_400000_NS6detail17trampoline_kernelINS0_14default_configENS1_21merge_config_selectorINS0_5tupleIJttEEENS0_10empty_typeEEEZNS1_10merge_implIS3_NS0_12zip_iteratorINS5_IJN6thrust23THRUST_200600_302600_NS6detail15normal_iteratorINSC_10device_ptrIKtEEEESI_EEEEESK_NSA_INS5_IJNSE_INSF_ItEEEESM_EEEEEPS7_SP_SP_NSC_11hip_rocprim7__merge17predicate_wrapperIttNSC_7greaterItEEEEEE10hipError_tPvRmT0_T1_T2_T3_T4_T5_mmT6_P12ihipStream_tbEUlT_E0_NS1_11comp_targetILNS1_3genE0ELNS1_11target_archE4294967295ELNS1_3gpuE0ELNS1_3repE0EEENS1_30default_config_static_selectorELNS0_4arch9wavefront6targetE0EEEvS10_
		.amdhsa_group_segment_fixed_size 10256
		.amdhsa_private_segment_fixed_size 0
		.amdhsa_kernarg_size 112
		.amdhsa_user_sgpr_count 2
		.amdhsa_user_sgpr_dispatch_ptr 0
		.amdhsa_user_sgpr_queue_ptr 0
		.amdhsa_user_sgpr_kernarg_segment_ptr 1
		.amdhsa_user_sgpr_dispatch_id 0
		.amdhsa_user_sgpr_kernarg_preload_length 0
		.amdhsa_user_sgpr_kernarg_preload_offset 0
		.amdhsa_user_sgpr_private_segment_size 0
		.amdhsa_wavefront_size32 1
		.amdhsa_uses_dynamic_stack 0
		.amdhsa_enable_private_segment 0
		.amdhsa_system_sgpr_workgroup_id_x 1
		.amdhsa_system_sgpr_workgroup_id_y 0
		.amdhsa_system_sgpr_workgroup_id_z 0
		.amdhsa_system_sgpr_workgroup_info 0
		.amdhsa_system_vgpr_workitem_id 0
		.amdhsa_next_free_vgpr 43
		.amdhsa_next_free_sgpr 26
		.amdhsa_named_barrier_count 0
		.amdhsa_reserve_vcc 1
		.amdhsa_float_round_mode_32 0
		.amdhsa_float_round_mode_16_64 0
		.amdhsa_float_denorm_mode_32 3
		.amdhsa_float_denorm_mode_16_64 3
		.amdhsa_fp16_overflow 0
		.amdhsa_memory_ordered 1
		.amdhsa_forward_progress 1
		.amdhsa_inst_pref_size 43
		.amdhsa_round_robin_scheduling 0
		.amdhsa_exception_fp_ieee_invalid_op 0
		.amdhsa_exception_fp_denorm_src 0
		.amdhsa_exception_fp_ieee_div_zero 0
		.amdhsa_exception_fp_ieee_overflow 0
		.amdhsa_exception_fp_ieee_underflow 0
		.amdhsa_exception_fp_ieee_inexact 0
		.amdhsa_exception_int_div_zero 0
	.end_amdhsa_kernel
	.section	.text._ZN7rocprim17ROCPRIM_400000_NS6detail17trampoline_kernelINS0_14default_configENS1_21merge_config_selectorINS0_5tupleIJttEEENS0_10empty_typeEEEZNS1_10merge_implIS3_NS0_12zip_iteratorINS5_IJN6thrust23THRUST_200600_302600_NS6detail15normal_iteratorINSC_10device_ptrIKtEEEESI_EEEEESK_NSA_INS5_IJNSE_INSF_ItEEEESM_EEEEEPS7_SP_SP_NSC_11hip_rocprim7__merge17predicate_wrapperIttNSC_7greaterItEEEEEE10hipError_tPvRmT0_T1_T2_T3_T4_T5_mmT6_P12ihipStream_tbEUlT_E0_NS1_11comp_targetILNS1_3genE0ELNS1_11target_archE4294967295ELNS1_3gpuE0ELNS1_3repE0EEENS1_30default_config_static_selectorELNS0_4arch9wavefront6targetE0EEEvS10_,"axG",@progbits,_ZN7rocprim17ROCPRIM_400000_NS6detail17trampoline_kernelINS0_14default_configENS1_21merge_config_selectorINS0_5tupleIJttEEENS0_10empty_typeEEEZNS1_10merge_implIS3_NS0_12zip_iteratorINS5_IJN6thrust23THRUST_200600_302600_NS6detail15normal_iteratorINSC_10device_ptrIKtEEEESI_EEEEESK_NSA_INS5_IJNSE_INSF_ItEEEESM_EEEEEPS7_SP_SP_NSC_11hip_rocprim7__merge17predicate_wrapperIttNSC_7greaterItEEEEEE10hipError_tPvRmT0_T1_T2_T3_T4_T5_mmT6_P12ihipStream_tbEUlT_E0_NS1_11comp_targetILNS1_3genE0ELNS1_11target_archE4294967295ELNS1_3gpuE0ELNS1_3repE0EEENS1_30default_config_static_selectorELNS0_4arch9wavefront6targetE0EEEvS10_,comdat
.Lfunc_end398:
	.size	_ZN7rocprim17ROCPRIM_400000_NS6detail17trampoline_kernelINS0_14default_configENS1_21merge_config_selectorINS0_5tupleIJttEEENS0_10empty_typeEEEZNS1_10merge_implIS3_NS0_12zip_iteratorINS5_IJN6thrust23THRUST_200600_302600_NS6detail15normal_iteratorINSC_10device_ptrIKtEEEESI_EEEEESK_NSA_INS5_IJNSE_INSF_ItEEEESM_EEEEEPS7_SP_SP_NSC_11hip_rocprim7__merge17predicate_wrapperIttNSC_7greaterItEEEEEE10hipError_tPvRmT0_T1_T2_T3_T4_T5_mmT6_P12ihipStream_tbEUlT_E0_NS1_11comp_targetILNS1_3genE0ELNS1_11target_archE4294967295ELNS1_3gpuE0ELNS1_3repE0EEENS1_30default_config_static_selectorELNS0_4arch9wavefront6targetE0EEEvS10_, .Lfunc_end398-_ZN7rocprim17ROCPRIM_400000_NS6detail17trampoline_kernelINS0_14default_configENS1_21merge_config_selectorINS0_5tupleIJttEEENS0_10empty_typeEEEZNS1_10merge_implIS3_NS0_12zip_iteratorINS5_IJN6thrust23THRUST_200600_302600_NS6detail15normal_iteratorINSC_10device_ptrIKtEEEESI_EEEEESK_NSA_INS5_IJNSE_INSF_ItEEEESM_EEEEEPS7_SP_SP_NSC_11hip_rocprim7__merge17predicate_wrapperIttNSC_7greaterItEEEEEE10hipError_tPvRmT0_T1_T2_T3_T4_T5_mmT6_P12ihipStream_tbEUlT_E0_NS1_11comp_targetILNS1_3genE0ELNS1_11target_archE4294967295ELNS1_3gpuE0ELNS1_3repE0EEENS1_30default_config_static_selectorELNS0_4arch9wavefront6targetE0EEEvS10_
                                        ; -- End function
	.set _ZN7rocprim17ROCPRIM_400000_NS6detail17trampoline_kernelINS0_14default_configENS1_21merge_config_selectorINS0_5tupleIJttEEENS0_10empty_typeEEEZNS1_10merge_implIS3_NS0_12zip_iteratorINS5_IJN6thrust23THRUST_200600_302600_NS6detail15normal_iteratorINSC_10device_ptrIKtEEEESI_EEEEESK_NSA_INS5_IJNSE_INSF_ItEEEESM_EEEEEPS7_SP_SP_NSC_11hip_rocprim7__merge17predicate_wrapperIttNSC_7greaterItEEEEEE10hipError_tPvRmT0_T1_T2_T3_T4_T5_mmT6_P12ihipStream_tbEUlT_E0_NS1_11comp_targetILNS1_3genE0ELNS1_11target_archE4294967295ELNS1_3gpuE0ELNS1_3repE0EEENS1_30default_config_static_selectorELNS0_4arch9wavefront6targetE0EEEvS10_.num_vgpr, 43
	.set _ZN7rocprim17ROCPRIM_400000_NS6detail17trampoline_kernelINS0_14default_configENS1_21merge_config_selectorINS0_5tupleIJttEEENS0_10empty_typeEEEZNS1_10merge_implIS3_NS0_12zip_iteratorINS5_IJN6thrust23THRUST_200600_302600_NS6detail15normal_iteratorINSC_10device_ptrIKtEEEESI_EEEEESK_NSA_INS5_IJNSE_INSF_ItEEEESM_EEEEEPS7_SP_SP_NSC_11hip_rocprim7__merge17predicate_wrapperIttNSC_7greaterItEEEEEE10hipError_tPvRmT0_T1_T2_T3_T4_T5_mmT6_P12ihipStream_tbEUlT_E0_NS1_11comp_targetILNS1_3genE0ELNS1_11target_archE4294967295ELNS1_3gpuE0ELNS1_3repE0EEENS1_30default_config_static_selectorELNS0_4arch9wavefront6targetE0EEEvS10_.num_agpr, 0
	.set _ZN7rocprim17ROCPRIM_400000_NS6detail17trampoline_kernelINS0_14default_configENS1_21merge_config_selectorINS0_5tupleIJttEEENS0_10empty_typeEEEZNS1_10merge_implIS3_NS0_12zip_iteratorINS5_IJN6thrust23THRUST_200600_302600_NS6detail15normal_iteratorINSC_10device_ptrIKtEEEESI_EEEEESK_NSA_INS5_IJNSE_INSF_ItEEEESM_EEEEEPS7_SP_SP_NSC_11hip_rocprim7__merge17predicate_wrapperIttNSC_7greaterItEEEEEE10hipError_tPvRmT0_T1_T2_T3_T4_T5_mmT6_P12ihipStream_tbEUlT_E0_NS1_11comp_targetILNS1_3genE0ELNS1_11target_archE4294967295ELNS1_3gpuE0ELNS1_3repE0EEENS1_30default_config_static_selectorELNS0_4arch9wavefront6targetE0EEEvS10_.numbered_sgpr, 26
	.set _ZN7rocprim17ROCPRIM_400000_NS6detail17trampoline_kernelINS0_14default_configENS1_21merge_config_selectorINS0_5tupleIJttEEENS0_10empty_typeEEEZNS1_10merge_implIS3_NS0_12zip_iteratorINS5_IJN6thrust23THRUST_200600_302600_NS6detail15normal_iteratorINSC_10device_ptrIKtEEEESI_EEEEESK_NSA_INS5_IJNSE_INSF_ItEEEESM_EEEEEPS7_SP_SP_NSC_11hip_rocprim7__merge17predicate_wrapperIttNSC_7greaterItEEEEEE10hipError_tPvRmT0_T1_T2_T3_T4_T5_mmT6_P12ihipStream_tbEUlT_E0_NS1_11comp_targetILNS1_3genE0ELNS1_11target_archE4294967295ELNS1_3gpuE0ELNS1_3repE0EEENS1_30default_config_static_selectorELNS0_4arch9wavefront6targetE0EEEvS10_.num_named_barrier, 0
	.set _ZN7rocprim17ROCPRIM_400000_NS6detail17trampoline_kernelINS0_14default_configENS1_21merge_config_selectorINS0_5tupleIJttEEENS0_10empty_typeEEEZNS1_10merge_implIS3_NS0_12zip_iteratorINS5_IJN6thrust23THRUST_200600_302600_NS6detail15normal_iteratorINSC_10device_ptrIKtEEEESI_EEEEESK_NSA_INS5_IJNSE_INSF_ItEEEESM_EEEEEPS7_SP_SP_NSC_11hip_rocprim7__merge17predicate_wrapperIttNSC_7greaterItEEEEEE10hipError_tPvRmT0_T1_T2_T3_T4_T5_mmT6_P12ihipStream_tbEUlT_E0_NS1_11comp_targetILNS1_3genE0ELNS1_11target_archE4294967295ELNS1_3gpuE0ELNS1_3repE0EEENS1_30default_config_static_selectorELNS0_4arch9wavefront6targetE0EEEvS10_.private_seg_size, 0
	.set _ZN7rocprim17ROCPRIM_400000_NS6detail17trampoline_kernelINS0_14default_configENS1_21merge_config_selectorINS0_5tupleIJttEEENS0_10empty_typeEEEZNS1_10merge_implIS3_NS0_12zip_iteratorINS5_IJN6thrust23THRUST_200600_302600_NS6detail15normal_iteratorINSC_10device_ptrIKtEEEESI_EEEEESK_NSA_INS5_IJNSE_INSF_ItEEEESM_EEEEEPS7_SP_SP_NSC_11hip_rocprim7__merge17predicate_wrapperIttNSC_7greaterItEEEEEE10hipError_tPvRmT0_T1_T2_T3_T4_T5_mmT6_P12ihipStream_tbEUlT_E0_NS1_11comp_targetILNS1_3genE0ELNS1_11target_archE4294967295ELNS1_3gpuE0ELNS1_3repE0EEENS1_30default_config_static_selectorELNS0_4arch9wavefront6targetE0EEEvS10_.uses_vcc, 1
	.set _ZN7rocprim17ROCPRIM_400000_NS6detail17trampoline_kernelINS0_14default_configENS1_21merge_config_selectorINS0_5tupleIJttEEENS0_10empty_typeEEEZNS1_10merge_implIS3_NS0_12zip_iteratorINS5_IJN6thrust23THRUST_200600_302600_NS6detail15normal_iteratorINSC_10device_ptrIKtEEEESI_EEEEESK_NSA_INS5_IJNSE_INSF_ItEEEESM_EEEEEPS7_SP_SP_NSC_11hip_rocprim7__merge17predicate_wrapperIttNSC_7greaterItEEEEEE10hipError_tPvRmT0_T1_T2_T3_T4_T5_mmT6_P12ihipStream_tbEUlT_E0_NS1_11comp_targetILNS1_3genE0ELNS1_11target_archE4294967295ELNS1_3gpuE0ELNS1_3repE0EEENS1_30default_config_static_selectorELNS0_4arch9wavefront6targetE0EEEvS10_.uses_flat_scratch, 0
	.set _ZN7rocprim17ROCPRIM_400000_NS6detail17trampoline_kernelINS0_14default_configENS1_21merge_config_selectorINS0_5tupleIJttEEENS0_10empty_typeEEEZNS1_10merge_implIS3_NS0_12zip_iteratorINS5_IJN6thrust23THRUST_200600_302600_NS6detail15normal_iteratorINSC_10device_ptrIKtEEEESI_EEEEESK_NSA_INS5_IJNSE_INSF_ItEEEESM_EEEEEPS7_SP_SP_NSC_11hip_rocprim7__merge17predicate_wrapperIttNSC_7greaterItEEEEEE10hipError_tPvRmT0_T1_T2_T3_T4_T5_mmT6_P12ihipStream_tbEUlT_E0_NS1_11comp_targetILNS1_3genE0ELNS1_11target_archE4294967295ELNS1_3gpuE0ELNS1_3repE0EEENS1_30default_config_static_selectorELNS0_4arch9wavefront6targetE0EEEvS10_.has_dyn_sized_stack, 0
	.set _ZN7rocprim17ROCPRIM_400000_NS6detail17trampoline_kernelINS0_14default_configENS1_21merge_config_selectorINS0_5tupleIJttEEENS0_10empty_typeEEEZNS1_10merge_implIS3_NS0_12zip_iteratorINS5_IJN6thrust23THRUST_200600_302600_NS6detail15normal_iteratorINSC_10device_ptrIKtEEEESI_EEEEESK_NSA_INS5_IJNSE_INSF_ItEEEESM_EEEEEPS7_SP_SP_NSC_11hip_rocprim7__merge17predicate_wrapperIttNSC_7greaterItEEEEEE10hipError_tPvRmT0_T1_T2_T3_T4_T5_mmT6_P12ihipStream_tbEUlT_E0_NS1_11comp_targetILNS1_3genE0ELNS1_11target_archE4294967295ELNS1_3gpuE0ELNS1_3repE0EEENS1_30default_config_static_selectorELNS0_4arch9wavefront6targetE0EEEvS10_.has_recursion, 0
	.set _ZN7rocprim17ROCPRIM_400000_NS6detail17trampoline_kernelINS0_14default_configENS1_21merge_config_selectorINS0_5tupleIJttEEENS0_10empty_typeEEEZNS1_10merge_implIS3_NS0_12zip_iteratorINS5_IJN6thrust23THRUST_200600_302600_NS6detail15normal_iteratorINSC_10device_ptrIKtEEEESI_EEEEESK_NSA_INS5_IJNSE_INSF_ItEEEESM_EEEEEPS7_SP_SP_NSC_11hip_rocprim7__merge17predicate_wrapperIttNSC_7greaterItEEEEEE10hipError_tPvRmT0_T1_T2_T3_T4_T5_mmT6_P12ihipStream_tbEUlT_E0_NS1_11comp_targetILNS1_3genE0ELNS1_11target_archE4294967295ELNS1_3gpuE0ELNS1_3repE0EEENS1_30default_config_static_selectorELNS0_4arch9wavefront6targetE0EEEvS10_.has_indirect_call, 0
	.section	.AMDGPU.csdata,"",@progbits
; Kernel info:
; codeLenInByte = 5456
; TotalNumSgprs: 28
; NumVgprs: 43
; ScratchSize: 0
; MemoryBound: 0
; FloatMode: 240
; IeeeMode: 1
; LDSByteSize: 10256 bytes/workgroup (compile time only)
; SGPRBlocks: 0
; VGPRBlocks: 2
; NumSGPRsForWavesPerEU: 28
; NumVGPRsForWavesPerEU: 43
; NamedBarCnt: 0
; Occupancy: 16
; WaveLimiterHint : 1
; COMPUTE_PGM_RSRC2:SCRATCH_EN: 0
; COMPUTE_PGM_RSRC2:USER_SGPR: 2
; COMPUTE_PGM_RSRC2:TRAP_HANDLER: 0
; COMPUTE_PGM_RSRC2:TGID_X_EN: 1
; COMPUTE_PGM_RSRC2:TGID_Y_EN: 0
; COMPUTE_PGM_RSRC2:TGID_Z_EN: 0
; COMPUTE_PGM_RSRC2:TIDIG_COMP_CNT: 0
	.section	.text._ZN7rocprim17ROCPRIM_400000_NS6detail17trampoline_kernelINS0_14default_configENS1_21merge_config_selectorINS0_5tupleIJttEEENS0_10empty_typeEEEZNS1_10merge_implIS3_NS0_12zip_iteratorINS5_IJN6thrust23THRUST_200600_302600_NS6detail15normal_iteratorINSC_10device_ptrIKtEEEESI_EEEEESK_NSA_INS5_IJNSE_INSF_ItEEEESM_EEEEEPS7_SP_SP_NSC_11hip_rocprim7__merge17predicate_wrapperIttNSC_7greaterItEEEEEE10hipError_tPvRmT0_T1_T2_T3_T4_T5_mmT6_P12ihipStream_tbEUlT_E0_NS1_11comp_targetILNS1_3genE5ELNS1_11target_archE942ELNS1_3gpuE9ELNS1_3repE0EEENS1_30default_config_static_selectorELNS0_4arch9wavefront6targetE0EEEvS10_,"axG",@progbits,_ZN7rocprim17ROCPRIM_400000_NS6detail17trampoline_kernelINS0_14default_configENS1_21merge_config_selectorINS0_5tupleIJttEEENS0_10empty_typeEEEZNS1_10merge_implIS3_NS0_12zip_iteratorINS5_IJN6thrust23THRUST_200600_302600_NS6detail15normal_iteratorINSC_10device_ptrIKtEEEESI_EEEEESK_NSA_INS5_IJNSE_INSF_ItEEEESM_EEEEEPS7_SP_SP_NSC_11hip_rocprim7__merge17predicate_wrapperIttNSC_7greaterItEEEEEE10hipError_tPvRmT0_T1_T2_T3_T4_T5_mmT6_P12ihipStream_tbEUlT_E0_NS1_11comp_targetILNS1_3genE5ELNS1_11target_archE942ELNS1_3gpuE9ELNS1_3repE0EEENS1_30default_config_static_selectorELNS0_4arch9wavefront6targetE0EEEvS10_,comdat
	.protected	_ZN7rocprim17ROCPRIM_400000_NS6detail17trampoline_kernelINS0_14default_configENS1_21merge_config_selectorINS0_5tupleIJttEEENS0_10empty_typeEEEZNS1_10merge_implIS3_NS0_12zip_iteratorINS5_IJN6thrust23THRUST_200600_302600_NS6detail15normal_iteratorINSC_10device_ptrIKtEEEESI_EEEEESK_NSA_INS5_IJNSE_INSF_ItEEEESM_EEEEEPS7_SP_SP_NSC_11hip_rocprim7__merge17predicate_wrapperIttNSC_7greaterItEEEEEE10hipError_tPvRmT0_T1_T2_T3_T4_T5_mmT6_P12ihipStream_tbEUlT_E0_NS1_11comp_targetILNS1_3genE5ELNS1_11target_archE942ELNS1_3gpuE9ELNS1_3repE0EEENS1_30default_config_static_selectorELNS0_4arch9wavefront6targetE0EEEvS10_ ; -- Begin function _ZN7rocprim17ROCPRIM_400000_NS6detail17trampoline_kernelINS0_14default_configENS1_21merge_config_selectorINS0_5tupleIJttEEENS0_10empty_typeEEEZNS1_10merge_implIS3_NS0_12zip_iteratorINS5_IJN6thrust23THRUST_200600_302600_NS6detail15normal_iteratorINSC_10device_ptrIKtEEEESI_EEEEESK_NSA_INS5_IJNSE_INSF_ItEEEESM_EEEEEPS7_SP_SP_NSC_11hip_rocprim7__merge17predicate_wrapperIttNSC_7greaterItEEEEEE10hipError_tPvRmT0_T1_T2_T3_T4_T5_mmT6_P12ihipStream_tbEUlT_E0_NS1_11comp_targetILNS1_3genE5ELNS1_11target_archE942ELNS1_3gpuE9ELNS1_3repE0EEENS1_30default_config_static_selectorELNS0_4arch9wavefront6targetE0EEEvS10_
	.globl	_ZN7rocprim17ROCPRIM_400000_NS6detail17trampoline_kernelINS0_14default_configENS1_21merge_config_selectorINS0_5tupleIJttEEENS0_10empty_typeEEEZNS1_10merge_implIS3_NS0_12zip_iteratorINS5_IJN6thrust23THRUST_200600_302600_NS6detail15normal_iteratorINSC_10device_ptrIKtEEEESI_EEEEESK_NSA_INS5_IJNSE_INSF_ItEEEESM_EEEEEPS7_SP_SP_NSC_11hip_rocprim7__merge17predicate_wrapperIttNSC_7greaterItEEEEEE10hipError_tPvRmT0_T1_T2_T3_T4_T5_mmT6_P12ihipStream_tbEUlT_E0_NS1_11comp_targetILNS1_3genE5ELNS1_11target_archE942ELNS1_3gpuE9ELNS1_3repE0EEENS1_30default_config_static_selectorELNS0_4arch9wavefront6targetE0EEEvS10_
	.p2align	8
	.type	_ZN7rocprim17ROCPRIM_400000_NS6detail17trampoline_kernelINS0_14default_configENS1_21merge_config_selectorINS0_5tupleIJttEEENS0_10empty_typeEEEZNS1_10merge_implIS3_NS0_12zip_iteratorINS5_IJN6thrust23THRUST_200600_302600_NS6detail15normal_iteratorINSC_10device_ptrIKtEEEESI_EEEEESK_NSA_INS5_IJNSE_INSF_ItEEEESM_EEEEEPS7_SP_SP_NSC_11hip_rocprim7__merge17predicate_wrapperIttNSC_7greaterItEEEEEE10hipError_tPvRmT0_T1_T2_T3_T4_T5_mmT6_P12ihipStream_tbEUlT_E0_NS1_11comp_targetILNS1_3genE5ELNS1_11target_archE942ELNS1_3gpuE9ELNS1_3repE0EEENS1_30default_config_static_selectorELNS0_4arch9wavefront6targetE0EEEvS10_,@function
_ZN7rocprim17ROCPRIM_400000_NS6detail17trampoline_kernelINS0_14default_configENS1_21merge_config_selectorINS0_5tupleIJttEEENS0_10empty_typeEEEZNS1_10merge_implIS3_NS0_12zip_iteratorINS5_IJN6thrust23THRUST_200600_302600_NS6detail15normal_iteratorINSC_10device_ptrIKtEEEESI_EEEEESK_NSA_INS5_IJNSE_INSF_ItEEEESM_EEEEEPS7_SP_SP_NSC_11hip_rocprim7__merge17predicate_wrapperIttNSC_7greaterItEEEEEE10hipError_tPvRmT0_T1_T2_T3_T4_T5_mmT6_P12ihipStream_tbEUlT_E0_NS1_11comp_targetILNS1_3genE5ELNS1_11target_archE942ELNS1_3gpuE9ELNS1_3repE0EEENS1_30default_config_static_selectorELNS0_4arch9wavefront6targetE0EEEvS10_: ; @_ZN7rocprim17ROCPRIM_400000_NS6detail17trampoline_kernelINS0_14default_configENS1_21merge_config_selectorINS0_5tupleIJttEEENS0_10empty_typeEEEZNS1_10merge_implIS3_NS0_12zip_iteratorINS5_IJN6thrust23THRUST_200600_302600_NS6detail15normal_iteratorINSC_10device_ptrIKtEEEESI_EEEEESK_NSA_INS5_IJNSE_INSF_ItEEEESM_EEEEEPS7_SP_SP_NSC_11hip_rocprim7__merge17predicate_wrapperIttNSC_7greaterItEEEEEE10hipError_tPvRmT0_T1_T2_T3_T4_T5_mmT6_P12ihipStream_tbEUlT_E0_NS1_11comp_targetILNS1_3genE5ELNS1_11target_archE942ELNS1_3gpuE9ELNS1_3repE0EEENS1_30default_config_static_selectorELNS0_4arch9wavefront6targetE0EEEvS10_
; %bb.0:
	.section	.rodata,"a",@progbits
	.p2align	6, 0x0
	.amdhsa_kernel _ZN7rocprim17ROCPRIM_400000_NS6detail17trampoline_kernelINS0_14default_configENS1_21merge_config_selectorINS0_5tupleIJttEEENS0_10empty_typeEEEZNS1_10merge_implIS3_NS0_12zip_iteratorINS5_IJN6thrust23THRUST_200600_302600_NS6detail15normal_iteratorINSC_10device_ptrIKtEEEESI_EEEEESK_NSA_INS5_IJNSE_INSF_ItEEEESM_EEEEEPS7_SP_SP_NSC_11hip_rocprim7__merge17predicate_wrapperIttNSC_7greaterItEEEEEE10hipError_tPvRmT0_T1_T2_T3_T4_T5_mmT6_P12ihipStream_tbEUlT_E0_NS1_11comp_targetILNS1_3genE5ELNS1_11target_archE942ELNS1_3gpuE9ELNS1_3repE0EEENS1_30default_config_static_selectorELNS0_4arch9wavefront6targetE0EEEvS10_
		.amdhsa_group_segment_fixed_size 0
		.amdhsa_private_segment_fixed_size 0
		.amdhsa_kernarg_size 112
		.amdhsa_user_sgpr_count 2
		.amdhsa_user_sgpr_dispatch_ptr 0
		.amdhsa_user_sgpr_queue_ptr 0
		.amdhsa_user_sgpr_kernarg_segment_ptr 1
		.amdhsa_user_sgpr_dispatch_id 0
		.amdhsa_user_sgpr_kernarg_preload_length 0
		.amdhsa_user_sgpr_kernarg_preload_offset 0
		.amdhsa_user_sgpr_private_segment_size 0
		.amdhsa_wavefront_size32 1
		.amdhsa_uses_dynamic_stack 0
		.amdhsa_enable_private_segment 0
		.amdhsa_system_sgpr_workgroup_id_x 1
		.amdhsa_system_sgpr_workgroup_id_y 0
		.amdhsa_system_sgpr_workgroup_id_z 0
		.amdhsa_system_sgpr_workgroup_info 0
		.amdhsa_system_vgpr_workitem_id 0
		.amdhsa_next_free_vgpr 1
		.amdhsa_next_free_sgpr 1
		.amdhsa_named_barrier_count 0
		.amdhsa_reserve_vcc 0
		.amdhsa_float_round_mode_32 0
		.amdhsa_float_round_mode_16_64 0
		.amdhsa_float_denorm_mode_32 3
		.amdhsa_float_denorm_mode_16_64 3
		.amdhsa_fp16_overflow 0
		.amdhsa_memory_ordered 1
		.amdhsa_forward_progress 1
		.amdhsa_inst_pref_size 0
		.amdhsa_round_robin_scheduling 0
		.amdhsa_exception_fp_ieee_invalid_op 0
		.amdhsa_exception_fp_denorm_src 0
		.amdhsa_exception_fp_ieee_div_zero 0
		.amdhsa_exception_fp_ieee_overflow 0
		.amdhsa_exception_fp_ieee_underflow 0
		.amdhsa_exception_fp_ieee_inexact 0
		.amdhsa_exception_int_div_zero 0
	.end_amdhsa_kernel
	.section	.text._ZN7rocprim17ROCPRIM_400000_NS6detail17trampoline_kernelINS0_14default_configENS1_21merge_config_selectorINS0_5tupleIJttEEENS0_10empty_typeEEEZNS1_10merge_implIS3_NS0_12zip_iteratorINS5_IJN6thrust23THRUST_200600_302600_NS6detail15normal_iteratorINSC_10device_ptrIKtEEEESI_EEEEESK_NSA_INS5_IJNSE_INSF_ItEEEESM_EEEEEPS7_SP_SP_NSC_11hip_rocprim7__merge17predicate_wrapperIttNSC_7greaterItEEEEEE10hipError_tPvRmT0_T1_T2_T3_T4_T5_mmT6_P12ihipStream_tbEUlT_E0_NS1_11comp_targetILNS1_3genE5ELNS1_11target_archE942ELNS1_3gpuE9ELNS1_3repE0EEENS1_30default_config_static_selectorELNS0_4arch9wavefront6targetE0EEEvS10_,"axG",@progbits,_ZN7rocprim17ROCPRIM_400000_NS6detail17trampoline_kernelINS0_14default_configENS1_21merge_config_selectorINS0_5tupleIJttEEENS0_10empty_typeEEEZNS1_10merge_implIS3_NS0_12zip_iteratorINS5_IJN6thrust23THRUST_200600_302600_NS6detail15normal_iteratorINSC_10device_ptrIKtEEEESI_EEEEESK_NSA_INS5_IJNSE_INSF_ItEEEESM_EEEEEPS7_SP_SP_NSC_11hip_rocprim7__merge17predicate_wrapperIttNSC_7greaterItEEEEEE10hipError_tPvRmT0_T1_T2_T3_T4_T5_mmT6_P12ihipStream_tbEUlT_E0_NS1_11comp_targetILNS1_3genE5ELNS1_11target_archE942ELNS1_3gpuE9ELNS1_3repE0EEENS1_30default_config_static_selectorELNS0_4arch9wavefront6targetE0EEEvS10_,comdat
.Lfunc_end399:
	.size	_ZN7rocprim17ROCPRIM_400000_NS6detail17trampoline_kernelINS0_14default_configENS1_21merge_config_selectorINS0_5tupleIJttEEENS0_10empty_typeEEEZNS1_10merge_implIS3_NS0_12zip_iteratorINS5_IJN6thrust23THRUST_200600_302600_NS6detail15normal_iteratorINSC_10device_ptrIKtEEEESI_EEEEESK_NSA_INS5_IJNSE_INSF_ItEEEESM_EEEEEPS7_SP_SP_NSC_11hip_rocprim7__merge17predicate_wrapperIttNSC_7greaterItEEEEEE10hipError_tPvRmT0_T1_T2_T3_T4_T5_mmT6_P12ihipStream_tbEUlT_E0_NS1_11comp_targetILNS1_3genE5ELNS1_11target_archE942ELNS1_3gpuE9ELNS1_3repE0EEENS1_30default_config_static_selectorELNS0_4arch9wavefront6targetE0EEEvS10_, .Lfunc_end399-_ZN7rocprim17ROCPRIM_400000_NS6detail17trampoline_kernelINS0_14default_configENS1_21merge_config_selectorINS0_5tupleIJttEEENS0_10empty_typeEEEZNS1_10merge_implIS3_NS0_12zip_iteratorINS5_IJN6thrust23THRUST_200600_302600_NS6detail15normal_iteratorINSC_10device_ptrIKtEEEESI_EEEEESK_NSA_INS5_IJNSE_INSF_ItEEEESM_EEEEEPS7_SP_SP_NSC_11hip_rocprim7__merge17predicate_wrapperIttNSC_7greaterItEEEEEE10hipError_tPvRmT0_T1_T2_T3_T4_T5_mmT6_P12ihipStream_tbEUlT_E0_NS1_11comp_targetILNS1_3genE5ELNS1_11target_archE942ELNS1_3gpuE9ELNS1_3repE0EEENS1_30default_config_static_selectorELNS0_4arch9wavefront6targetE0EEEvS10_
                                        ; -- End function
	.set _ZN7rocprim17ROCPRIM_400000_NS6detail17trampoline_kernelINS0_14default_configENS1_21merge_config_selectorINS0_5tupleIJttEEENS0_10empty_typeEEEZNS1_10merge_implIS3_NS0_12zip_iteratorINS5_IJN6thrust23THRUST_200600_302600_NS6detail15normal_iteratorINSC_10device_ptrIKtEEEESI_EEEEESK_NSA_INS5_IJNSE_INSF_ItEEEESM_EEEEEPS7_SP_SP_NSC_11hip_rocprim7__merge17predicate_wrapperIttNSC_7greaterItEEEEEE10hipError_tPvRmT0_T1_T2_T3_T4_T5_mmT6_P12ihipStream_tbEUlT_E0_NS1_11comp_targetILNS1_3genE5ELNS1_11target_archE942ELNS1_3gpuE9ELNS1_3repE0EEENS1_30default_config_static_selectorELNS0_4arch9wavefront6targetE0EEEvS10_.num_vgpr, 0
	.set _ZN7rocprim17ROCPRIM_400000_NS6detail17trampoline_kernelINS0_14default_configENS1_21merge_config_selectorINS0_5tupleIJttEEENS0_10empty_typeEEEZNS1_10merge_implIS3_NS0_12zip_iteratorINS5_IJN6thrust23THRUST_200600_302600_NS6detail15normal_iteratorINSC_10device_ptrIKtEEEESI_EEEEESK_NSA_INS5_IJNSE_INSF_ItEEEESM_EEEEEPS7_SP_SP_NSC_11hip_rocprim7__merge17predicate_wrapperIttNSC_7greaterItEEEEEE10hipError_tPvRmT0_T1_T2_T3_T4_T5_mmT6_P12ihipStream_tbEUlT_E0_NS1_11comp_targetILNS1_3genE5ELNS1_11target_archE942ELNS1_3gpuE9ELNS1_3repE0EEENS1_30default_config_static_selectorELNS0_4arch9wavefront6targetE0EEEvS10_.num_agpr, 0
	.set _ZN7rocprim17ROCPRIM_400000_NS6detail17trampoline_kernelINS0_14default_configENS1_21merge_config_selectorINS0_5tupleIJttEEENS0_10empty_typeEEEZNS1_10merge_implIS3_NS0_12zip_iteratorINS5_IJN6thrust23THRUST_200600_302600_NS6detail15normal_iteratorINSC_10device_ptrIKtEEEESI_EEEEESK_NSA_INS5_IJNSE_INSF_ItEEEESM_EEEEEPS7_SP_SP_NSC_11hip_rocprim7__merge17predicate_wrapperIttNSC_7greaterItEEEEEE10hipError_tPvRmT0_T1_T2_T3_T4_T5_mmT6_P12ihipStream_tbEUlT_E0_NS1_11comp_targetILNS1_3genE5ELNS1_11target_archE942ELNS1_3gpuE9ELNS1_3repE0EEENS1_30default_config_static_selectorELNS0_4arch9wavefront6targetE0EEEvS10_.numbered_sgpr, 0
	.set _ZN7rocprim17ROCPRIM_400000_NS6detail17trampoline_kernelINS0_14default_configENS1_21merge_config_selectorINS0_5tupleIJttEEENS0_10empty_typeEEEZNS1_10merge_implIS3_NS0_12zip_iteratorINS5_IJN6thrust23THRUST_200600_302600_NS6detail15normal_iteratorINSC_10device_ptrIKtEEEESI_EEEEESK_NSA_INS5_IJNSE_INSF_ItEEEESM_EEEEEPS7_SP_SP_NSC_11hip_rocprim7__merge17predicate_wrapperIttNSC_7greaterItEEEEEE10hipError_tPvRmT0_T1_T2_T3_T4_T5_mmT6_P12ihipStream_tbEUlT_E0_NS1_11comp_targetILNS1_3genE5ELNS1_11target_archE942ELNS1_3gpuE9ELNS1_3repE0EEENS1_30default_config_static_selectorELNS0_4arch9wavefront6targetE0EEEvS10_.num_named_barrier, 0
	.set _ZN7rocprim17ROCPRIM_400000_NS6detail17trampoline_kernelINS0_14default_configENS1_21merge_config_selectorINS0_5tupleIJttEEENS0_10empty_typeEEEZNS1_10merge_implIS3_NS0_12zip_iteratorINS5_IJN6thrust23THRUST_200600_302600_NS6detail15normal_iteratorINSC_10device_ptrIKtEEEESI_EEEEESK_NSA_INS5_IJNSE_INSF_ItEEEESM_EEEEEPS7_SP_SP_NSC_11hip_rocprim7__merge17predicate_wrapperIttNSC_7greaterItEEEEEE10hipError_tPvRmT0_T1_T2_T3_T4_T5_mmT6_P12ihipStream_tbEUlT_E0_NS1_11comp_targetILNS1_3genE5ELNS1_11target_archE942ELNS1_3gpuE9ELNS1_3repE0EEENS1_30default_config_static_selectorELNS0_4arch9wavefront6targetE0EEEvS10_.private_seg_size, 0
	.set _ZN7rocprim17ROCPRIM_400000_NS6detail17trampoline_kernelINS0_14default_configENS1_21merge_config_selectorINS0_5tupleIJttEEENS0_10empty_typeEEEZNS1_10merge_implIS3_NS0_12zip_iteratorINS5_IJN6thrust23THRUST_200600_302600_NS6detail15normal_iteratorINSC_10device_ptrIKtEEEESI_EEEEESK_NSA_INS5_IJNSE_INSF_ItEEEESM_EEEEEPS7_SP_SP_NSC_11hip_rocprim7__merge17predicate_wrapperIttNSC_7greaterItEEEEEE10hipError_tPvRmT0_T1_T2_T3_T4_T5_mmT6_P12ihipStream_tbEUlT_E0_NS1_11comp_targetILNS1_3genE5ELNS1_11target_archE942ELNS1_3gpuE9ELNS1_3repE0EEENS1_30default_config_static_selectorELNS0_4arch9wavefront6targetE0EEEvS10_.uses_vcc, 0
	.set _ZN7rocprim17ROCPRIM_400000_NS6detail17trampoline_kernelINS0_14default_configENS1_21merge_config_selectorINS0_5tupleIJttEEENS0_10empty_typeEEEZNS1_10merge_implIS3_NS0_12zip_iteratorINS5_IJN6thrust23THRUST_200600_302600_NS6detail15normal_iteratorINSC_10device_ptrIKtEEEESI_EEEEESK_NSA_INS5_IJNSE_INSF_ItEEEESM_EEEEEPS7_SP_SP_NSC_11hip_rocprim7__merge17predicate_wrapperIttNSC_7greaterItEEEEEE10hipError_tPvRmT0_T1_T2_T3_T4_T5_mmT6_P12ihipStream_tbEUlT_E0_NS1_11comp_targetILNS1_3genE5ELNS1_11target_archE942ELNS1_3gpuE9ELNS1_3repE0EEENS1_30default_config_static_selectorELNS0_4arch9wavefront6targetE0EEEvS10_.uses_flat_scratch, 0
	.set _ZN7rocprim17ROCPRIM_400000_NS6detail17trampoline_kernelINS0_14default_configENS1_21merge_config_selectorINS0_5tupleIJttEEENS0_10empty_typeEEEZNS1_10merge_implIS3_NS0_12zip_iteratorINS5_IJN6thrust23THRUST_200600_302600_NS6detail15normal_iteratorINSC_10device_ptrIKtEEEESI_EEEEESK_NSA_INS5_IJNSE_INSF_ItEEEESM_EEEEEPS7_SP_SP_NSC_11hip_rocprim7__merge17predicate_wrapperIttNSC_7greaterItEEEEEE10hipError_tPvRmT0_T1_T2_T3_T4_T5_mmT6_P12ihipStream_tbEUlT_E0_NS1_11comp_targetILNS1_3genE5ELNS1_11target_archE942ELNS1_3gpuE9ELNS1_3repE0EEENS1_30default_config_static_selectorELNS0_4arch9wavefront6targetE0EEEvS10_.has_dyn_sized_stack, 0
	.set _ZN7rocprim17ROCPRIM_400000_NS6detail17trampoline_kernelINS0_14default_configENS1_21merge_config_selectorINS0_5tupleIJttEEENS0_10empty_typeEEEZNS1_10merge_implIS3_NS0_12zip_iteratorINS5_IJN6thrust23THRUST_200600_302600_NS6detail15normal_iteratorINSC_10device_ptrIKtEEEESI_EEEEESK_NSA_INS5_IJNSE_INSF_ItEEEESM_EEEEEPS7_SP_SP_NSC_11hip_rocprim7__merge17predicate_wrapperIttNSC_7greaterItEEEEEE10hipError_tPvRmT0_T1_T2_T3_T4_T5_mmT6_P12ihipStream_tbEUlT_E0_NS1_11comp_targetILNS1_3genE5ELNS1_11target_archE942ELNS1_3gpuE9ELNS1_3repE0EEENS1_30default_config_static_selectorELNS0_4arch9wavefront6targetE0EEEvS10_.has_recursion, 0
	.set _ZN7rocprim17ROCPRIM_400000_NS6detail17trampoline_kernelINS0_14default_configENS1_21merge_config_selectorINS0_5tupleIJttEEENS0_10empty_typeEEEZNS1_10merge_implIS3_NS0_12zip_iteratorINS5_IJN6thrust23THRUST_200600_302600_NS6detail15normal_iteratorINSC_10device_ptrIKtEEEESI_EEEEESK_NSA_INS5_IJNSE_INSF_ItEEEESM_EEEEEPS7_SP_SP_NSC_11hip_rocprim7__merge17predicate_wrapperIttNSC_7greaterItEEEEEE10hipError_tPvRmT0_T1_T2_T3_T4_T5_mmT6_P12ihipStream_tbEUlT_E0_NS1_11comp_targetILNS1_3genE5ELNS1_11target_archE942ELNS1_3gpuE9ELNS1_3repE0EEENS1_30default_config_static_selectorELNS0_4arch9wavefront6targetE0EEEvS10_.has_indirect_call, 0
	.section	.AMDGPU.csdata,"",@progbits
; Kernel info:
; codeLenInByte = 0
; TotalNumSgprs: 0
; NumVgprs: 0
; ScratchSize: 0
; MemoryBound: 0
; FloatMode: 240
; IeeeMode: 1
; LDSByteSize: 0 bytes/workgroup (compile time only)
; SGPRBlocks: 0
; VGPRBlocks: 0
; NumSGPRsForWavesPerEU: 1
; NumVGPRsForWavesPerEU: 1
; NamedBarCnt: 0
; Occupancy: 16
; WaveLimiterHint : 0
; COMPUTE_PGM_RSRC2:SCRATCH_EN: 0
; COMPUTE_PGM_RSRC2:USER_SGPR: 2
; COMPUTE_PGM_RSRC2:TRAP_HANDLER: 0
; COMPUTE_PGM_RSRC2:TGID_X_EN: 1
; COMPUTE_PGM_RSRC2:TGID_Y_EN: 0
; COMPUTE_PGM_RSRC2:TGID_Z_EN: 0
; COMPUTE_PGM_RSRC2:TIDIG_COMP_CNT: 0
	.section	.text._ZN7rocprim17ROCPRIM_400000_NS6detail17trampoline_kernelINS0_14default_configENS1_21merge_config_selectorINS0_5tupleIJttEEENS0_10empty_typeEEEZNS1_10merge_implIS3_NS0_12zip_iteratorINS5_IJN6thrust23THRUST_200600_302600_NS6detail15normal_iteratorINSC_10device_ptrIKtEEEESI_EEEEESK_NSA_INS5_IJNSE_INSF_ItEEEESM_EEEEEPS7_SP_SP_NSC_11hip_rocprim7__merge17predicate_wrapperIttNSC_7greaterItEEEEEE10hipError_tPvRmT0_T1_T2_T3_T4_T5_mmT6_P12ihipStream_tbEUlT_E0_NS1_11comp_targetILNS1_3genE4ELNS1_11target_archE910ELNS1_3gpuE8ELNS1_3repE0EEENS1_30default_config_static_selectorELNS0_4arch9wavefront6targetE0EEEvS10_,"axG",@progbits,_ZN7rocprim17ROCPRIM_400000_NS6detail17trampoline_kernelINS0_14default_configENS1_21merge_config_selectorINS0_5tupleIJttEEENS0_10empty_typeEEEZNS1_10merge_implIS3_NS0_12zip_iteratorINS5_IJN6thrust23THRUST_200600_302600_NS6detail15normal_iteratorINSC_10device_ptrIKtEEEESI_EEEEESK_NSA_INS5_IJNSE_INSF_ItEEEESM_EEEEEPS7_SP_SP_NSC_11hip_rocprim7__merge17predicate_wrapperIttNSC_7greaterItEEEEEE10hipError_tPvRmT0_T1_T2_T3_T4_T5_mmT6_P12ihipStream_tbEUlT_E0_NS1_11comp_targetILNS1_3genE4ELNS1_11target_archE910ELNS1_3gpuE8ELNS1_3repE0EEENS1_30default_config_static_selectorELNS0_4arch9wavefront6targetE0EEEvS10_,comdat
	.protected	_ZN7rocprim17ROCPRIM_400000_NS6detail17trampoline_kernelINS0_14default_configENS1_21merge_config_selectorINS0_5tupleIJttEEENS0_10empty_typeEEEZNS1_10merge_implIS3_NS0_12zip_iteratorINS5_IJN6thrust23THRUST_200600_302600_NS6detail15normal_iteratorINSC_10device_ptrIKtEEEESI_EEEEESK_NSA_INS5_IJNSE_INSF_ItEEEESM_EEEEEPS7_SP_SP_NSC_11hip_rocprim7__merge17predicate_wrapperIttNSC_7greaterItEEEEEE10hipError_tPvRmT0_T1_T2_T3_T4_T5_mmT6_P12ihipStream_tbEUlT_E0_NS1_11comp_targetILNS1_3genE4ELNS1_11target_archE910ELNS1_3gpuE8ELNS1_3repE0EEENS1_30default_config_static_selectorELNS0_4arch9wavefront6targetE0EEEvS10_ ; -- Begin function _ZN7rocprim17ROCPRIM_400000_NS6detail17trampoline_kernelINS0_14default_configENS1_21merge_config_selectorINS0_5tupleIJttEEENS0_10empty_typeEEEZNS1_10merge_implIS3_NS0_12zip_iteratorINS5_IJN6thrust23THRUST_200600_302600_NS6detail15normal_iteratorINSC_10device_ptrIKtEEEESI_EEEEESK_NSA_INS5_IJNSE_INSF_ItEEEESM_EEEEEPS7_SP_SP_NSC_11hip_rocprim7__merge17predicate_wrapperIttNSC_7greaterItEEEEEE10hipError_tPvRmT0_T1_T2_T3_T4_T5_mmT6_P12ihipStream_tbEUlT_E0_NS1_11comp_targetILNS1_3genE4ELNS1_11target_archE910ELNS1_3gpuE8ELNS1_3repE0EEENS1_30default_config_static_selectorELNS0_4arch9wavefront6targetE0EEEvS10_
	.globl	_ZN7rocprim17ROCPRIM_400000_NS6detail17trampoline_kernelINS0_14default_configENS1_21merge_config_selectorINS0_5tupleIJttEEENS0_10empty_typeEEEZNS1_10merge_implIS3_NS0_12zip_iteratorINS5_IJN6thrust23THRUST_200600_302600_NS6detail15normal_iteratorINSC_10device_ptrIKtEEEESI_EEEEESK_NSA_INS5_IJNSE_INSF_ItEEEESM_EEEEEPS7_SP_SP_NSC_11hip_rocprim7__merge17predicate_wrapperIttNSC_7greaterItEEEEEE10hipError_tPvRmT0_T1_T2_T3_T4_T5_mmT6_P12ihipStream_tbEUlT_E0_NS1_11comp_targetILNS1_3genE4ELNS1_11target_archE910ELNS1_3gpuE8ELNS1_3repE0EEENS1_30default_config_static_selectorELNS0_4arch9wavefront6targetE0EEEvS10_
	.p2align	8
	.type	_ZN7rocprim17ROCPRIM_400000_NS6detail17trampoline_kernelINS0_14default_configENS1_21merge_config_selectorINS0_5tupleIJttEEENS0_10empty_typeEEEZNS1_10merge_implIS3_NS0_12zip_iteratorINS5_IJN6thrust23THRUST_200600_302600_NS6detail15normal_iteratorINSC_10device_ptrIKtEEEESI_EEEEESK_NSA_INS5_IJNSE_INSF_ItEEEESM_EEEEEPS7_SP_SP_NSC_11hip_rocprim7__merge17predicate_wrapperIttNSC_7greaterItEEEEEE10hipError_tPvRmT0_T1_T2_T3_T4_T5_mmT6_P12ihipStream_tbEUlT_E0_NS1_11comp_targetILNS1_3genE4ELNS1_11target_archE910ELNS1_3gpuE8ELNS1_3repE0EEENS1_30default_config_static_selectorELNS0_4arch9wavefront6targetE0EEEvS10_,@function
_ZN7rocprim17ROCPRIM_400000_NS6detail17trampoline_kernelINS0_14default_configENS1_21merge_config_selectorINS0_5tupleIJttEEENS0_10empty_typeEEEZNS1_10merge_implIS3_NS0_12zip_iteratorINS5_IJN6thrust23THRUST_200600_302600_NS6detail15normal_iteratorINSC_10device_ptrIKtEEEESI_EEEEESK_NSA_INS5_IJNSE_INSF_ItEEEESM_EEEEEPS7_SP_SP_NSC_11hip_rocprim7__merge17predicate_wrapperIttNSC_7greaterItEEEEEE10hipError_tPvRmT0_T1_T2_T3_T4_T5_mmT6_P12ihipStream_tbEUlT_E0_NS1_11comp_targetILNS1_3genE4ELNS1_11target_archE910ELNS1_3gpuE8ELNS1_3repE0EEENS1_30default_config_static_selectorELNS0_4arch9wavefront6targetE0EEEvS10_: ; @_ZN7rocprim17ROCPRIM_400000_NS6detail17trampoline_kernelINS0_14default_configENS1_21merge_config_selectorINS0_5tupleIJttEEENS0_10empty_typeEEEZNS1_10merge_implIS3_NS0_12zip_iteratorINS5_IJN6thrust23THRUST_200600_302600_NS6detail15normal_iteratorINSC_10device_ptrIKtEEEESI_EEEEESK_NSA_INS5_IJNSE_INSF_ItEEEESM_EEEEEPS7_SP_SP_NSC_11hip_rocprim7__merge17predicate_wrapperIttNSC_7greaterItEEEEEE10hipError_tPvRmT0_T1_T2_T3_T4_T5_mmT6_P12ihipStream_tbEUlT_E0_NS1_11comp_targetILNS1_3genE4ELNS1_11target_archE910ELNS1_3gpuE8ELNS1_3repE0EEENS1_30default_config_static_selectorELNS0_4arch9wavefront6targetE0EEEvS10_
; %bb.0:
	.section	.rodata,"a",@progbits
	.p2align	6, 0x0
	.amdhsa_kernel _ZN7rocprim17ROCPRIM_400000_NS6detail17trampoline_kernelINS0_14default_configENS1_21merge_config_selectorINS0_5tupleIJttEEENS0_10empty_typeEEEZNS1_10merge_implIS3_NS0_12zip_iteratorINS5_IJN6thrust23THRUST_200600_302600_NS6detail15normal_iteratorINSC_10device_ptrIKtEEEESI_EEEEESK_NSA_INS5_IJNSE_INSF_ItEEEESM_EEEEEPS7_SP_SP_NSC_11hip_rocprim7__merge17predicate_wrapperIttNSC_7greaterItEEEEEE10hipError_tPvRmT0_T1_T2_T3_T4_T5_mmT6_P12ihipStream_tbEUlT_E0_NS1_11comp_targetILNS1_3genE4ELNS1_11target_archE910ELNS1_3gpuE8ELNS1_3repE0EEENS1_30default_config_static_selectorELNS0_4arch9wavefront6targetE0EEEvS10_
		.amdhsa_group_segment_fixed_size 0
		.amdhsa_private_segment_fixed_size 0
		.amdhsa_kernarg_size 112
		.amdhsa_user_sgpr_count 2
		.amdhsa_user_sgpr_dispatch_ptr 0
		.amdhsa_user_sgpr_queue_ptr 0
		.amdhsa_user_sgpr_kernarg_segment_ptr 1
		.amdhsa_user_sgpr_dispatch_id 0
		.amdhsa_user_sgpr_kernarg_preload_length 0
		.amdhsa_user_sgpr_kernarg_preload_offset 0
		.amdhsa_user_sgpr_private_segment_size 0
		.amdhsa_wavefront_size32 1
		.amdhsa_uses_dynamic_stack 0
		.amdhsa_enable_private_segment 0
		.amdhsa_system_sgpr_workgroup_id_x 1
		.amdhsa_system_sgpr_workgroup_id_y 0
		.amdhsa_system_sgpr_workgroup_id_z 0
		.amdhsa_system_sgpr_workgroup_info 0
		.amdhsa_system_vgpr_workitem_id 0
		.amdhsa_next_free_vgpr 1
		.amdhsa_next_free_sgpr 1
		.amdhsa_named_barrier_count 0
		.amdhsa_reserve_vcc 0
		.amdhsa_float_round_mode_32 0
		.amdhsa_float_round_mode_16_64 0
		.amdhsa_float_denorm_mode_32 3
		.amdhsa_float_denorm_mode_16_64 3
		.amdhsa_fp16_overflow 0
		.amdhsa_memory_ordered 1
		.amdhsa_forward_progress 1
		.amdhsa_inst_pref_size 0
		.amdhsa_round_robin_scheduling 0
		.amdhsa_exception_fp_ieee_invalid_op 0
		.amdhsa_exception_fp_denorm_src 0
		.amdhsa_exception_fp_ieee_div_zero 0
		.amdhsa_exception_fp_ieee_overflow 0
		.amdhsa_exception_fp_ieee_underflow 0
		.amdhsa_exception_fp_ieee_inexact 0
		.amdhsa_exception_int_div_zero 0
	.end_amdhsa_kernel
	.section	.text._ZN7rocprim17ROCPRIM_400000_NS6detail17trampoline_kernelINS0_14default_configENS1_21merge_config_selectorINS0_5tupleIJttEEENS0_10empty_typeEEEZNS1_10merge_implIS3_NS0_12zip_iteratorINS5_IJN6thrust23THRUST_200600_302600_NS6detail15normal_iteratorINSC_10device_ptrIKtEEEESI_EEEEESK_NSA_INS5_IJNSE_INSF_ItEEEESM_EEEEEPS7_SP_SP_NSC_11hip_rocprim7__merge17predicate_wrapperIttNSC_7greaterItEEEEEE10hipError_tPvRmT0_T1_T2_T3_T4_T5_mmT6_P12ihipStream_tbEUlT_E0_NS1_11comp_targetILNS1_3genE4ELNS1_11target_archE910ELNS1_3gpuE8ELNS1_3repE0EEENS1_30default_config_static_selectorELNS0_4arch9wavefront6targetE0EEEvS10_,"axG",@progbits,_ZN7rocprim17ROCPRIM_400000_NS6detail17trampoline_kernelINS0_14default_configENS1_21merge_config_selectorINS0_5tupleIJttEEENS0_10empty_typeEEEZNS1_10merge_implIS3_NS0_12zip_iteratorINS5_IJN6thrust23THRUST_200600_302600_NS6detail15normal_iteratorINSC_10device_ptrIKtEEEESI_EEEEESK_NSA_INS5_IJNSE_INSF_ItEEEESM_EEEEEPS7_SP_SP_NSC_11hip_rocprim7__merge17predicate_wrapperIttNSC_7greaterItEEEEEE10hipError_tPvRmT0_T1_T2_T3_T4_T5_mmT6_P12ihipStream_tbEUlT_E0_NS1_11comp_targetILNS1_3genE4ELNS1_11target_archE910ELNS1_3gpuE8ELNS1_3repE0EEENS1_30default_config_static_selectorELNS0_4arch9wavefront6targetE0EEEvS10_,comdat
.Lfunc_end400:
	.size	_ZN7rocprim17ROCPRIM_400000_NS6detail17trampoline_kernelINS0_14default_configENS1_21merge_config_selectorINS0_5tupleIJttEEENS0_10empty_typeEEEZNS1_10merge_implIS3_NS0_12zip_iteratorINS5_IJN6thrust23THRUST_200600_302600_NS6detail15normal_iteratorINSC_10device_ptrIKtEEEESI_EEEEESK_NSA_INS5_IJNSE_INSF_ItEEEESM_EEEEEPS7_SP_SP_NSC_11hip_rocprim7__merge17predicate_wrapperIttNSC_7greaterItEEEEEE10hipError_tPvRmT0_T1_T2_T3_T4_T5_mmT6_P12ihipStream_tbEUlT_E0_NS1_11comp_targetILNS1_3genE4ELNS1_11target_archE910ELNS1_3gpuE8ELNS1_3repE0EEENS1_30default_config_static_selectorELNS0_4arch9wavefront6targetE0EEEvS10_, .Lfunc_end400-_ZN7rocprim17ROCPRIM_400000_NS6detail17trampoline_kernelINS0_14default_configENS1_21merge_config_selectorINS0_5tupleIJttEEENS0_10empty_typeEEEZNS1_10merge_implIS3_NS0_12zip_iteratorINS5_IJN6thrust23THRUST_200600_302600_NS6detail15normal_iteratorINSC_10device_ptrIKtEEEESI_EEEEESK_NSA_INS5_IJNSE_INSF_ItEEEESM_EEEEEPS7_SP_SP_NSC_11hip_rocprim7__merge17predicate_wrapperIttNSC_7greaterItEEEEEE10hipError_tPvRmT0_T1_T2_T3_T4_T5_mmT6_P12ihipStream_tbEUlT_E0_NS1_11comp_targetILNS1_3genE4ELNS1_11target_archE910ELNS1_3gpuE8ELNS1_3repE0EEENS1_30default_config_static_selectorELNS0_4arch9wavefront6targetE0EEEvS10_
                                        ; -- End function
	.set _ZN7rocprim17ROCPRIM_400000_NS6detail17trampoline_kernelINS0_14default_configENS1_21merge_config_selectorINS0_5tupleIJttEEENS0_10empty_typeEEEZNS1_10merge_implIS3_NS0_12zip_iteratorINS5_IJN6thrust23THRUST_200600_302600_NS6detail15normal_iteratorINSC_10device_ptrIKtEEEESI_EEEEESK_NSA_INS5_IJNSE_INSF_ItEEEESM_EEEEEPS7_SP_SP_NSC_11hip_rocprim7__merge17predicate_wrapperIttNSC_7greaterItEEEEEE10hipError_tPvRmT0_T1_T2_T3_T4_T5_mmT6_P12ihipStream_tbEUlT_E0_NS1_11comp_targetILNS1_3genE4ELNS1_11target_archE910ELNS1_3gpuE8ELNS1_3repE0EEENS1_30default_config_static_selectorELNS0_4arch9wavefront6targetE0EEEvS10_.num_vgpr, 0
	.set _ZN7rocprim17ROCPRIM_400000_NS6detail17trampoline_kernelINS0_14default_configENS1_21merge_config_selectorINS0_5tupleIJttEEENS0_10empty_typeEEEZNS1_10merge_implIS3_NS0_12zip_iteratorINS5_IJN6thrust23THRUST_200600_302600_NS6detail15normal_iteratorINSC_10device_ptrIKtEEEESI_EEEEESK_NSA_INS5_IJNSE_INSF_ItEEEESM_EEEEEPS7_SP_SP_NSC_11hip_rocprim7__merge17predicate_wrapperIttNSC_7greaterItEEEEEE10hipError_tPvRmT0_T1_T2_T3_T4_T5_mmT6_P12ihipStream_tbEUlT_E0_NS1_11comp_targetILNS1_3genE4ELNS1_11target_archE910ELNS1_3gpuE8ELNS1_3repE0EEENS1_30default_config_static_selectorELNS0_4arch9wavefront6targetE0EEEvS10_.num_agpr, 0
	.set _ZN7rocprim17ROCPRIM_400000_NS6detail17trampoline_kernelINS0_14default_configENS1_21merge_config_selectorINS0_5tupleIJttEEENS0_10empty_typeEEEZNS1_10merge_implIS3_NS0_12zip_iteratorINS5_IJN6thrust23THRUST_200600_302600_NS6detail15normal_iteratorINSC_10device_ptrIKtEEEESI_EEEEESK_NSA_INS5_IJNSE_INSF_ItEEEESM_EEEEEPS7_SP_SP_NSC_11hip_rocprim7__merge17predicate_wrapperIttNSC_7greaterItEEEEEE10hipError_tPvRmT0_T1_T2_T3_T4_T5_mmT6_P12ihipStream_tbEUlT_E0_NS1_11comp_targetILNS1_3genE4ELNS1_11target_archE910ELNS1_3gpuE8ELNS1_3repE0EEENS1_30default_config_static_selectorELNS0_4arch9wavefront6targetE0EEEvS10_.numbered_sgpr, 0
	.set _ZN7rocprim17ROCPRIM_400000_NS6detail17trampoline_kernelINS0_14default_configENS1_21merge_config_selectorINS0_5tupleIJttEEENS0_10empty_typeEEEZNS1_10merge_implIS3_NS0_12zip_iteratorINS5_IJN6thrust23THRUST_200600_302600_NS6detail15normal_iteratorINSC_10device_ptrIKtEEEESI_EEEEESK_NSA_INS5_IJNSE_INSF_ItEEEESM_EEEEEPS7_SP_SP_NSC_11hip_rocprim7__merge17predicate_wrapperIttNSC_7greaterItEEEEEE10hipError_tPvRmT0_T1_T2_T3_T4_T5_mmT6_P12ihipStream_tbEUlT_E0_NS1_11comp_targetILNS1_3genE4ELNS1_11target_archE910ELNS1_3gpuE8ELNS1_3repE0EEENS1_30default_config_static_selectorELNS0_4arch9wavefront6targetE0EEEvS10_.num_named_barrier, 0
	.set _ZN7rocprim17ROCPRIM_400000_NS6detail17trampoline_kernelINS0_14default_configENS1_21merge_config_selectorINS0_5tupleIJttEEENS0_10empty_typeEEEZNS1_10merge_implIS3_NS0_12zip_iteratorINS5_IJN6thrust23THRUST_200600_302600_NS6detail15normal_iteratorINSC_10device_ptrIKtEEEESI_EEEEESK_NSA_INS5_IJNSE_INSF_ItEEEESM_EEEEEPS7_SP_SP_NSC_11hip_rocprim7__merge17predicate_wrapperIttNSC_7greaterItEEEEEE10hipError_tPvRmT0_T1_T2_T3_T4_T5_mmT6_P12ihipStream_tbEUlT_E0_NS1_11comp_targetILNS1_3genE4ELNS1_11target_archE910ELNS1_3gpuE8ELNS1_3repE0EEENS1_30default_config_static_selectorELNS0_4arch9wavefront6targetE0EEEvS10_.private_seg_size, 0
	.set _ZN7rocprim17ROCPRIM_400000_NS6detail17trampoline_kernelINS0_14default_configENS1_21merge_config_selectorINS0_5tupleIJttEEENS0_10empty_typeEEEZNS1_10merge_implIS3_NS0_12zip_iteratorINS5_IJN6thrust23THRUST_200600_302600_NS6detail15normal_iteratorINSC_10device_ptrIKtEEEESI_EEEEESK_NSA_INS5_IJNSE_INSF_ItEEEESM_EEEEEPS7_SP_SP_NSC_11hip_rocprim7__merge17predicate_wrapperIttNSC_7greaterItEEEEEE10hipError_tPvRmT0_T1_T2_T3_T4_T5_mmT6_P12ihipStream_tbEUlT_E0_NS1_11comp_targetILNS1_3genE4ELNS1_11target_archE910ELNS1_3gpuE8ELNS1_3repE0EEENS1_30default_config_static_selectorELNS0_4arch9wavefront6targetE0EEEvS10_.uses_vcc, 0
	.set _ZN7rocprim17ROCPRIM_400000_NS6detail17trampoline_kernelINS0_14default_configENS1_21merge_config_selectorINS0_5tupleIJttEEENS0_10empty_typeEEEZNS1_10merge_implIS3_NS0_12zip_iteratorINS5_IJN6thrust23THRUST_200600_302600_NS6detail15normal_iteratorINSC_10device_ptrIKtEEEESI_EEEEESK_NSA_INS5_IJNSE_INSF_ItEEEESM_EEEEEPS7_SP_SP_NSC_11hip_rocprim7__merge17predicate_wrapperIttNSC_7greaterItEEEEEE10hipError_tPvRmT0_T1_T2_T3_T4_T5_mmT6_P12ihipStream_tbEUlT_E0_NS1_11comp_targetILNS1_3genE4ELNS1_11target_archE910ELNS1_3gpuE8ELNS1_3repE0EEENS1_30default_config_static_selectorELNS0_4arch9wavefront6targetE0EEEvS10_.uses_flat_scratch, 0
	.set _ZN7rocprim17ROCPRIM_400000_NS6detail17trampoline_kernelINS0_14default_configENS1_21merge_config_selectorINS0_5tupleIJttEEENS0_10empty_typeEEEZNS1_10merge_implIS3_NS0_12zip_iteratorINS5_IJN6thrust23THRUST_200600_302600_NS6detail15normal_iteratorINSC_10device_ptrIKtEEEESI_EEEEESK_NSA_INS5_IJNSE_INSF_ItEEEESM_EEEEEPS7_SP_SP_NSC_11hip_rocprim7__merge17predicate_wrapperIttNSC_7greaterItEEEEEE10hipError_tPvRmT0_T1_T2_T3_T4_T5_mmT6_P12ihipStream_tbEUlT_E0_NS1_11comp_targetILNS1_3genE4ELNS1_11target_archE910ELNS1_3gpuE8ELNS1_3repE0EEENS1_30default_config_static_selectorELNS0_4arch9wavefront6targetE0EEEvS10_.has_dyn_sized_stack, 0
	.set _ZN7rocprim17ROCPRIM_400000_NS6detail17trampoline_kernelINS0_14default_configENS1_21merge_config_selectorINS0_5tupleIJttEEENS0_10empty_typeEEEZNS1_10merge_implIS3_NS0_12zip_iteratorINS5_IJN6thrust23THRUST_200600_302600_NS6detail15normal_iteratorINSC_10device_ptrIKtEEEESI_EEEEESK_NSA_INS5_IJNSE_INSF_ItEEEESM_EEEEEPS7_SP_SP_NSC_11hip_rocprim7__merge17predicate_wrapperIttNSC_7greaterItEEEEEE10hipError_tPvRmT0_T1_T2_T3_T4_T5_mmT6_P12ihipStream_tbEUlT_E0_NS1_11comp_targetILNS1_3genE4ELNS1_11target_archE910ELNS1_3gpuE8ELNS1_3repE0EEENS1_30default_config_static_selectorELNS0_4arch9wavefront6targetE0EEEvS10_.has_recursion, 0
	.set _ZN7rocprim17ROCPRIM_400000_NS6detail17trampoline_kernelINS0_14default_configENS1_21merge_config_selectorINS0_5tupleIJttEEENS0_10empty_typeEEEZNS1_10merge_implIS3_NS0_12zip_iteratorINS5_IJN6thrust23THRUST_200600_302600_NS6detail15normal_iteratorINSC_10device_ptrIKtEEEESI_EEEEESK_NSA_INS5_IJNSE_INSF_ItEEEESM_EEEEEPS7_SP_SP_NSC_11hip_rocprim7__merge17predicate_wrapperIttNSC_7greaterItEEEEEE10hipError_tPvRmT0_T1_T2_T3_T4_T5_mmT6_P12ihipStream_tbEUlT_E0_NS1_11comp_targetILNS1_3genE4ELNS1_11target_archE910ELNS1_3gpuE8ELNS1_3repE0EEENS1_30default_config_static_selectorELNS0_4arch9wavefront6targetE0EEEvS10_.has_indirect_call, 0
	.section	.AMDGPU.csdata,"",@progbits
; Kernel info:
; codeLenInByte = 0
; TotalNumSgprs: 0
; NumVgprs: 0
; ScratchSize: 0
; MemoryBound: 0
; FloatMode: 240
; IeeeMode: 1
; LDSByteSize: 0 bytes/workgroup (compile time only)
; SGPRBlocks: 0
; VGPRBlocks: 0
; NumSGPRsForWavesPerEU: 1
; NumVGPRsForWavesPerEU: 1
; NamedBarCnt: 0
; Occupancy: 16
; WaveLimiterHint : 0
; COMPUTE_PGM_RSRC2:SCRATCH_EN: 0
; COMPUTE_PGM_RSRC2:USER_SGPR: 2
; COMPUTE_PGM_RSRC2:TRAP_HANDLER: 0
; COMPUTE_PGM_RSRC2:TGID_X_EN: 1
; COMPUTE_PGM_RSRC2:TGID_Y_EN: 0
; COMPUTE_PGM_RSRC2:TGID_Z_EN: 0
; COMPUTE_PGM_RSRC2:TIDIG_COMP_CNT: 0
	.section	.text._ZN7rocprim17ROCPRIM_400000_NS6detail17trampoline_kernelINS0_14default_configENS1_21merge_config_selectorINS0_5tupleIJttEEENS0_10empty_typeEEEZNS1_10merge_implIS3_NS0_12zip_iteratorINS5_IJN6thrust23THRUST_200600_302600_NS6detail15normal_iteratorINSC_10device_ptrIKtEEEESI_EEEEESK_NSA_INS5_IJNSE_INSF_ItEEEESM_EEEEEPS7_SP_SP_NSC_11hip_rocprim7__merge17predicate_wrapperIttNSC_7greaterItEEEEEE10hipError_tPvRmT0_T1_T2_T3_T4_T5_mmT6_P12ihipStream_tbEUlT_E0_NS1_11comp_targetILNS1_3genE3ELNS1_11target_archE908ELNS1_3gpuE7ELNS1_3repE0EEENS1_30default_config_static_selectorELNS0_4arch9wavefront6targetE0EEEvS10_,"axG",@progbits,_ZN7rocprim17ROCPRIM_400000_NS6detail17trampoline_kernelINS0_14default_configENS1_21merge_config_selectorINS0_5tupleIJttEEENS0_10empty_typeEEEZNS1_10merge_implIS3_NS0_12zip_iteratorINS5_IJN6thrust23THRUST_200600_302600_NS6detail15normal_iteratorINSC_10device_ptrIKtEEEESI_EEEEESK_NSA_INS5_IJNSE_INSF_ItEEEESM_EEEEEPS7_SP_SP_NSC_11hip_rocprim7__merge17predicate_wrapperIttNSC_7greaterItEEEEEE10hipError_tPvRmT0_T1_T2_T3_T4_T5_mmT6_P12ihipStream_tbEUlT_E0_NS1_11comp_targetILNS1_3genE3ELNS1_11target_archE908ELNS1_3gpuE7ELNS1_3repE0EEENS1_30default_config_static_selectorELNS0_4arch9wavefront6targetE0EEEvS10_,comdat
	.protected	_ZN7rocprim17ROCPRIM_400000_NS6detail17trampoline_kernelINS0_14default_configENS1_21merge_config_selectorINS0_5tupleIJttEEENS0_10empty_typeEEEZNS1_10merge_implIS3_NS0_12zip_iteratorINS5_IJN6thrust23THRUST_200600_302600_NS6detail15normal_iteratorINSC_10device_ptrIKtEEEESI_EEEEESK_NSA_INS5_IJNSE_INSF_ItEEEESM_EEEEEPS7_SP_SP_NSC_11hip_rocprim7__merge17predicate_wrapperIttNSC_7greaterItEEEEEE10hipError_tPvRmT0_T1_T2_T3_T4_T5_mmT6_P12ihipStream_tbEUlT_E0_NS1_11comp_targetILNS1_3genE3ELNS1_11target_archE908ELNS1_3gpuE7ELNS1_3repE0EEENS1_30default_config_static_selectorELNS0_4arch9wavefront6targetE0EEEvS10_ ; -- Begin function _ZN7rocprim17ROCPRIM_400000_NS6detail17trampoline_kernelINS0_14default_configENS1_21merge_config_selectorINS0_5tupleIJttEEENS0_10empty_typeEEEZNS1_10merge_implIS3_NS0_12zip_iteratorINS5_IJN6thrust23THRUST_200600_302600_NS6detail15normal_iteratorINSC_10device_ptrIKtEEEESI_EEEEESK_NSA_INS5_IJNSE_INSF_ItEEEESM_EEEEEPS7_SP_SP_NSC_11hip_rocprim7__merge17predicate_wrapperIttNSC_7greaterItEEEEEE10hipError_tPvRmT0_T1_T2_T3_T4_T5_mmT6_P12ihipStream_tbEUlT_E0_NS1_11comp_targetILNS1_3genE3ELNS1_11target_archE908ELNS1_3gpuE7ELNS1_3repE0EEENS1_30default_config_static_selectorELNS0_4arch9wavefront6targetE0EEEvS10_
	.globl	_ZN7rocprim17ROCPRIM_400000_NS6detail17trampoline_kernelINS0_14default_configENS1_21merge_config_selectorINS0_5tupleIJttEEENS0_10empty_typeEEEZNS1_10merge_implIS3_NS0_12zip_iteratorINS5_IJN6thrust23THRUST_200600_302600_NS6detail15normal_iteratorINSC_10device_ptrIKtEEEESI_EEEEESK_NSA_INS5_IJNSE_INSF_ItEEEESM_EEEEEPS7_SP_SP_NSC_11hip_rocprim7__merge17predicate_wrapperIttNSC_7greaterItEEEEEE10hipError_tPvRmT0_T1_T2_T3_T4_T5_mmT6_P12ihipStream_tbEUlT_E0_NS1_11comp_targetILNS1_3genE3ELNS1_11target_archE908ELNS1_3gpuE7ELNS1_3repE0EEENS1_30default_config_static_selectorELNS0_4arch9wavefront6targetE0EEEvS10_
	.p2align	8
	.type	_ZN7rocprim17ROCPRIM_400000_NS6detail17trampoline_kernelINS0_14default_configENS1_21merge_config_selectorINS0_5tupleIJttEEENS0_10empty_typeEEEZNS1_10merge_implIS3_NS0_12zip_iteratorINS5_IJN6thrust23THRUST_200600_302600_NS6detail15normal_iteratorINSC_10device_ptrIKtEEEESI_EEEEESK_NSA_INS5_IJNSE_INSF_ItEEEESM_EEEEEPS7_SP_SP_NSC_11hip_rocprim7__merge17predicate_wrapperIttNSC_7greaterItEEEEEE10hipError_tPvRmT0_T1_T2_T3_T4_T5_mmT6_P12ihipStream_tbEUlT_E0_NS1_11comp_targetILNS1_3genE3ELNS1_11target_archE908ELNS1_3gpuE7ELNS1_3repE0EEENS1_30default_config_static_selectorELNS0_4arch9wavefront6targetE0EEEvS10_,@function
_ZN7rocprim17ROCPRIM_400000_NS6detail17trampoline_kernelINS0_14default_configENS1_21merge_config_selectorINS0_5tupleIJttEEENS0_10empty_typeEEEZNS1_10merge_implIS3_NS0_12zip_iteratorINS5_IJN6thrust23THRUST_200600_302600_NS6detail15normal_iteratorINSC_10device_ptrIKtEEEESI_EEEEESK_NSA_INS5_IJNSE_INSF_ItEEEESM_EEEEEPS7_SP_SP_NSC_11hip_rocprim7__merge17predicate_wrapperIttNSC_7greaterItEEEEEE10hipError_tPvRmT0_T1_T2_T3_T4_T5_mmT6_P12ihipStream_tbEUlT_E0_NS1_11comp_targetILNS1_3genE3ELNS1_11target_archE908ELNS1_3gpuE7ELNS1_3repE0EEENS1_30default_config_static_selectorELNS0_4arch9wavefront6targetE0EEEvS10_: ; @_ZN7rocprim17ROCPRIM_400000_NS6detail17trampoline_kernelINS0_14default_configENS1_21merge_config_selectorINS0_5tupleIJttEEENS0_10empty_typeEEEZNS1_10merge_implIS3_NS0_12zip_iteratorINS5_IJN6thrust23THRUST_200600_302600_NS6detail15normal_iteratorINSC_10device_ptrIKtEEEESI_EEEEESK_NSA_INS5_IJNSE_INSF_ItEEEESM_EEEEEPS7_SP_SP_NSC_11hip_rocprim7__merge17predicate_wrapperIttNSC_7greaterItEEEEEE10hipError_tPvRmT0_T1_T2_T3_T4_T5_mmT6_P12ihipStream_tbEUlT_E0_NS1_11comp_targetILNS1_3genE3ELNS1_11target_archE908ELNS1_3gpuE7ELNS1_3repE0EEENS1_30default_config_static_selectorELNS0_4arch9wavefront6targetE0EEEvS10_
; %bb.0:
	.section	.rodata,"a",@progbits
	.p2align	6, 0x0
	.amdhsa_kernel _ZN7rocprim17ROCPRIM_400000_NS6detail17trampoline_kernelINS0_14default_configENS1_21merge_config_selectorINS0_5tupleIJttEEENS0_10empty_typeEEEZNS1_10merge_implIS3_NS0_12zip_iteratorINS5_IJN6thrust23THRUST_200600_302600_NS6detail15normal_iteratorINSC_10device_ptrIKtEEEESI_EEEEESK_NSA_INS5_IJNSE_INSF_ItEEEESM_EEEEEPS7_SP_SP_NSC_11hip_rocprim7__merge17predicate_wrapperIttNSC_7greaterItEEEEEE10hipError_tPvRmT0_T1_T2_T3_T4_T5_mmT6_P12ihipStream_tbEUlT_E0_NS1_11comp_targetILNS1_3genE3ELNS1_11target_archE908ELNS1_3gpuE7ELNS1_3repE0EEENS1_30default_config_static_selectorELNS0_4arch9wavefront6targetE0EEEvS10_
		.amdhsa_group_segment_fixed_size 0
		.amdhsa_private_segment_fixed_size 0
		.amdhsa_kernarg_size 112
		.amdhsa_user_sgpr_count 2
		.amdhsa_user_sgpr_dispatch_ptr 0
		.amdhsa_user_sgpr_queue_ptr 0
		.amdhsa_user_sgpr_kernarg_segment_ptr 1
		.amdhsa_user_sgpr_dispatch_id 0
		.amdhsa_user_sgpr_kernarg_preload_length 0
		.amdhsa_user_sgpr_kernarg_preload_offset 0
		.amdhsa_user_sgpr_private_segment_size 0
		.amdhsa_wavefront_size32 1
		.amdhsa_uses_dynamic_stack 0
		.amdhsa_enable_private_segment 0
		.amdhsa_system_sgpr_workgroup_id_x 1
		.amdhsa_system_sgpr_workgroup_id_y 0
		.amdhsa_system_sgpr_workgroup_id_z 0
		.amdhsa_system_sgpr_workgroup_info 0
		.amdhsa_system_vgpr_workitem_id 0
		.amdhsa_next_free_vgpr 1
		.amdhsa_next_free_sgpr 1
		.amdhsa_named_barrier_count 0
		.amdhsa_reserve_vcc 0
		.amdhsa_float_round_mode_32 0
		.amdhsa_float_round_mode_16_64 0
		.amdhsa_float_denorm_mode_32 3
		.amdhsa_float_denorm_mode_16_64 3
		.amdhsa_fp16_overflow 0
		.amdhsa_memory_ordered 1
		.amdhsa_forward_progress 1
		.amdhsa_inst_pref_size 0
		.amdhsa_round_robin_scheduling 0
		.amdhsa_exception_fp_ieee_invalid_op 0
		.amdhsa_exception_fp_denorm_src 0
		.amdhsa_exception_fp_ieee_div_zero 0
		.amdhsa_exception_fp_ieee_overflow 0
		.amdhsa_exception_fp_ieee_underflow 0
		.amdhsa_exception_fp_ieee_inexact 0
		.amdhsa_exception_int_div_zero 0
	.end_amdhsa_kernel
	.section	.text._ZN7rocprim17ROCPRIM_400000_NS6detail17trampoline_kernelINS0_14default_configENS1_21merge_config_selectorINS0_5tupleIJttEEENS0_10empty_typeEEEZNS1_10merge_implIS3_NS0_12zip_iteratorINS5_IJN6thrust23THRUST_200600_302600_NS6detail15normal_iteratorINSC_10device_ptrIKtEEEESI_EEEEESK_NSA_INS5_IJNSE_INSF_ItEEEESM_EEEEEPS7_SP_SP_NSC_11hip_rocprim7__merge17predicate_wrapperIttNSC_7greaterItEEEEEE10hipError_tPvRmT0_T1_T2_T3_T4_T5_mmT6_P12ihipStream_tbEUlT_E0_NS1_11comp_targetILNS1_3genE3ELNS1_11target_archE908ELNS1_3gpuE7ELNS1_3repE0EEENS1_30default_config_static_selectorELNS0_4arch9wavefront6targetE0EEEvS10_,"axG",@progbits,_ZN7rocprim17ROCPRIM_400000_NS6detail17trampoline_kernelINS0_14default_configENS1_21merge_config_selectorINS0_5tupleIJttEEENS0_10empty_typeEEEZNS1_10merge_implIS3_NS0_12zip_iteratorINS5_IJN6thrust23THRUST_200600_302600_NS6detail15normal_iteratorINSC_10device_ptrIKtEEEESI_EEEEESK_NSA_INS5_IJNSE_INSF_ItEEEESM_EEEEEPS7_SP_SP_NSC_11hip_rocprim7__merge17predicate_wrapperIttNSC_7greaterItEEEEEE10hipError_tPvRmT0_T1_T2_T3_T4_T5_mmT6_P12ihipStream_tbEUlT_E0_NS1_11comp_targetILNS1_3genE3ELNS1_11target_archE908ELNS1_3gpuE7ELNS1_3repE0EEENS1_30default_config_static_selectorELNS0_4arch9wavefront6targetE0EEEvS10_,comdat
.Lfunc_end401:
	.size	_ZN7rocprim17ROCPRIM_400000_NS6detail17trampoline_kernelINS0_14default_configENS1_21merge_config_selectorINS0_5tupleIJttEEENS0_10empty_typeEEEZNS1_10merge_implIS3_NS0_12zip_iteratorINS5_IJN6thrust23THRUST_200600_302600_NS6detail15normal_iteratorINSC_10device_ptrIKtEEEESI_EEEEESK_NSA_INS5_IJNSE_INSF_ItEEEESM_EEEEEPS7_SP_SP_NSC_11hip_rocprim7__merge17predicate_wrapperIttNSC_7greaterItEEEEEE10hipError_tPvRmT0_T1_T2_T3_T4_T5_mmT6_P12ihipStream_tbEUlT_E0_NS1_11comp_targetILNS1_3genE3ELNS1_11target_archE908ELNS1_3gpuE7ELNS1_3repE0EEENS1_30default_config_static_selectorELNS0_4arch9wavefront6targetE0EEEvS10_, .Lfunc_end401-_ZN7rocprim17ROCPRIM_400000_NS6detail17trampoline_kernelINS0_14default_configENS1_21merge_config_selectorINS0_5tupleIJttEEENS0_10empty_typeEEEZNS1_10merge_implIS3_NS0_12zip_iteratorINS5_IJN6thrust23THRUST_200600_302600_NS6detail15normal_iteratorINSC_10device_ptrIKtEEEESI_EEEEESK_NSA_INS5_IJNSE_INSF_ItEEEESM_EEEEEPS7_SP_SP_NSC_11hip_rocprim7__merge17predicate_wrapperIttNSC_7greaterItEEEEEE10hipError_tPvRmT0_T1_T2_T3_T4_T5_mmT6_P12ihipStream_tbEUlT_E0_NS1_11comp_targetILNS1_3genE3ELNS1_11target_archE908ELNS1_3gpuE7ELNS1_3repE0EEENS1_30default_config_static_selectorELNS0_4arch9wavefront6targetE0EEEvS10_
                                        ; -- End function
	.set _ZN7rocprim17ROCPRIM_400000_NS6detail17trampoline_kernelINS0_14default_configENS1_21merge_config_selectorINS0_5tupleIJttEEENS0_10empty_typeEEEZNS1_10merge_implIS3_NS0_12zip_iteratorINS5_IJN6thrust23THRUST_200600_302600_NS6detail15normal_iteratorINSC_10device_ptrIKtEEEESI_EEEEESK_NSA_INS5_IJNSE_INSF_ItEEEESM_EEEEEPS7_SP_SP_NSC_11hip_rocprim7__merge17predicate_wrapperIttNSC_7greaterItEEEEEE10hipError_tPvRmT0_T1_T2_T3_T4_T5_mmT6_P12ihipStream_tbEUlT_E0_NS1_11comp_targetILNS1_3genE3ELNS1_11target_archE908ELNS1_3gpuE7ELNS1_3repE0EEENS1_30default_config_static_selectorELNS0_4arch9wavefront6targetE0EEEvS10_.num_vgpr, 0
	.set _ZN7rocprim17ROCPRIM_400000_NS6detail17trampoline_kernelINS0_14default_configENS1_21merge_config_selectorINS0_5tupleIJttEEENS0_10empty_typeEEEZNS1_10merge_implIS3_NS0_12zip_iteratorINS5_IJN6thrust23THRUST_200600_302600_NS6detail15normal_iteratorINSC_10device_ptrIKtEEEESI_EEEEESK_NSA_INS5_IJNSE_INSF_ItEEEESM_EEEEEPS7_SP_SP_NSC_11hip_rocprim7__merge17predicate_wrapperIttNSC_7greaterItEEEEEE10hipError_tPvRmT0_T1_T2_T3_T4_T5_mmT6_P12ihipStream_tbEUlT_E0_NS1_11comp_targetILNS1_3genE3ELNS1_11target_archE908ELNS1_3gpuE7ELNS1_3repE0EEENS1_30default_config_static_selectorELNS0_4arch9wavefront6targetE0EEEvS10_.num_agpr, 0
	.set _ZN7rocprim17ROCPRIM_400000_NS6detail17trampoline_kernelINS0_14default_configENS1_21merge_config_selectorINS0_5tupleIJttEEENS0_10empty_typeEEEZNS1_10merge_implIS3_NS0_12zip_iteratorINS5_IJN6thrust23THRUST_200600_302600_NS6detail15normal_iteratorINSC_10device_ptrIKtEEEESI_EEEEESK_NSA_INS5_IJNSE_INSF_ItEEEESM_EEEEEPS7_SP_SP_NSC_11hip_rocprim7__merge17predicate_wrapperIttNSC_7greaterItEEEEEE10hipError_tPvRmT0_T1_T2_T3_T4_T5_mmT6_P12ihipStream_tbEUlT_E0_NS1_11comp_targetILNS1_3genE3ELNS1_11target_archE908ELNS1_3gpuE7ELNS1_3repE0EEENS1_30default_config_static_selectorELNS0_4arch9wavefront6targetE0EEEvS10_.numbered_sgpr, 0
	.set _ZN7rocprim17ROCPRIM_400000_NS6detail17trampoline_kernelINS0_14default_configENS1_21merge_config_selectorINS0_5tupleIJttEEENS0_10empty_typeEEEZNS1_10merge_implIS3_NS0_12zip_iteratorINS5_IJN6thrust23THRUST_200600_302600_NS6detail15normal_iteratorINSC_10device_ptrIKtEEEESI_EEEEESK_NSA_INS5_IJNSE_INSF_ItEEEESM_EEEEEPS7_SP_SP_NSC_11hip_rocprim7__merge17predicate_wrapperIttNSC_7greaterItEEEEEE10hipError_tPvRmT0_T1_T2_T3_T4_T5_mmT6_P12ihipStream_tbEUlT_E0_NS1_11comp_targetILNS1_3genE3ELNS1_11target_archE908ELNS1_3gpuE7ELNS1_3repE0EEENS1_30default_config_static_selectorELNS0_4arch9wavefront6targetE0EEEvS10_.num_named_barrier, 0
	.set _ZN7rocprim17ROCPRIM_400000_NS6detail17trampoline_kernelINS0_14default_configENS1_21merge_config_selectorINS0_5tupleIJttEEENS0_10empty_typeEEEZNS1_10merge_implIS3_NS0_12zip_iteratorINS5_IJN6thrust23THRUST_200600_302600_NS6detail15normal_iteratorINSC_10device_ptrIKtEEEESI_EEEEESK_NSA_INS5_IJNSE_INSF_ItEEEESM_EEEEEPS7_SP_SP_NSC_11hip_rocprim7__merge17predicate_wrapperIttNSC_7greaterItEEEEEE10hipError_tPvRmT0_T1_T2_T3_T4_T5_mmT6_P12ihipStream_tbEUlT_E0_NS1_11comp_targetILNS1_3genE3ELNS1_11target_archE908ELNS1_3gpuE7ELNS1_3repE0EEENS1_30default_config_static_selectorELNS0_4arch9wavefront6targetE0EEEvS10_.private_seg_size, 0
	.set _ZN7rocprim17ROCPRIM_400000_NS6detail17trampoline_kernelINS0_14default_configENS1_21merge_config_selectorINS0_5tupleIJttEEENS0_10empty_typeEEEZNS1_10merge_implIS3_NS0_12zip_iteratorINS5_IJN6thrust23THRUST_200600_302600_NS6detail15normal_iteratorINSC_10device_ptrIKtEEEESI_EEEEESK_NSA_INS5_IJNSE_INSF_ItEEEESM_EEEEEPS7_SP_SP_NSC_11hip_rocprim7__merge17predicate_wrapperIttNSC_7greaterItEEEEEE10hipError_tPvRmT0_T1_T2_T3_T4_T5_mmT6_P12ihipStream_tbEUlT_E0_NS1_11comp_targetILNS1_3genE3ELNS1_11target_archE908ELNS1_3gpuE7ELNS1_3repE0EEENS1_30default_config_static_selectorELNS0_4arch9wavefront6targetE0EEEvS10_.uses_vcc, 0
	.set _ZN7rocprim17ROCPRIM_400000_NS6detail17trampoline_kernelINS0_14default_configENS1_21merge_config_selectorINS0_5tupleIJttEEENS0_10empty_typeEEEZNS1_10merge_implIS3_NS0_12zip_iteratorINS5_IJN6thrust23THRUST_200600_302600_NS6detail15normal_iteratorINSC_10device_ptrIKtEEEESI_EEEEESK_NSA_INS5_IJNSE_INSF_ItEEEESM_EEEEEPS7_SP_SP_NSC_11hip_rocprim7__merge17predicate_wrapperIttNSC_7greaterItEEEEEE10hipError_tPvRmT0_T1_T2_T3_T4_T5_mmT6_P12ihipStream_tbEUlT_E0_NS1_11comp_targetILNS1_3genE3ELNS1_11target_archE908ELNS1_3gpuE7ELNS1_3repE0EEENS1_30default_config_static_selectorELNS0_4arch9wavefront6targetE0EEEvS10_.uses_flat_scratch, 0
	.set _ZN7rocprim17ROCPRIM_400000_NS6detail17trampoline_kernelINS0_14default_configENS1_21merge_config_selectorINS0_5tupleIJttEEENS0_10empty_typeEEEZNS1_10merge_implIS3_NS0_12zip_iteratorINS5_IJN6thrust23THRUST_200600_302600_NS6detail15normal_iteratorINSC_10device_ptrIKtEEEESI_EEEEESK_NSA_INS5_IJNSE_INSF_ItEEEESM_EEEEEPS7_SP_SP_NSC_11hip_rocprim7__merge17predicate_wrapperIttNSC_7greaterItEEEEEE10hipError_tPvRmT0_T1_T2_T3_T4_T5_mmT6_P12ihipStream_tbEUlT_E0_NS1_11comp_targetILNS1_3genE3ELNS1_11target_archE908ELNS1_3gpuE7ELNS1_3repE0EEENS1_30default_config_static_selectorELNS0_4arch9wavefront6targetE0EEEvS10_.has_dyn_sized_stack, 0
	.set _ZN7rocprim17ROCPRIM_400000_NS6detail17trampoline_kernelINS0_14default_configENS1_21merge_config_selectorINS0_5tupleIJttEEENS0_10empty_typeEEEZNS1_10merge_implIS3_NS0_12zip_iteratorINS5_IJN6thrust23THRUST_200600_302600_NS6detail15normal_iteratorINSC_10device_ptrIKtEEEESI_EEEEESK_NSA_INS5_IJNSE_INSF_ItEEEESM_EEEEEPS7_SP_SP_NSC_11hip_rocprim7__merge17predicate_wrapperIttNSC_7greaterItEEEEEE10hipError_tPvRmT0_T1_T2_T3_T4_T5_mmT6_P12ihipStream_tbEUlT_E0_NS1_11comp_targetILNS1_3genE3ELNS1_11target_archE908ELNS1_3gpuE7ELNS1_3repE0EEENS1_30default_config_static_selectorELNS0_4arch9wavefront6targetE0EEEvS10_.has_recursion, 0
	.set _ZN7rocprim17ROCPRIM_400000_NS6detail17trampoline_kernelINS0_14default_configENS1_21merge_config_selectorINS0_5tupleIJttEEENS0_10empty_typeEEEZNS1_10merge_implIS3_NS0_12zip_iteratorINS5_IJN6thrust23THRUST_200600_302600_NS6detail15normal_iteratorINSC_10device_ptrIKtEEEESI_EEEEESK_NSA_INS5_IJNSE_INSF_ItEEEESM_EEEEEPS7_SP_SP_NSC_11hip_rocprim7__merge17predicate_wrapperIttNSC_7greaterItEEEEEE10hipError_tPvRmT0_T1_T2_T3_T4_T5_mmT6_P12ihipStream_tbEUlT_E0_NS1_11comp_targetILNS1_3genE3ELNS1_11target_archE908ELNS1_3gpuE7ELNS1_3repE0EEENS1_30default_config_static_selectorELNS0_4arch9wavefront6targetE0EEEvS10_.has_indirect_call, 0
	.section	.AMDGPU.csdata,"",@progbits
; Kernel info:
; codeLenInByte = 0
; TotalNumSgprs: 0
; NumVgprs: 0
; ScratchSize: 0
; MemoryBound: 0
; FloatMode: 240
; IeeeMode: 1
; LDSByteSize: 0 bytes/workgroup (compile time only)
; SGPRBlocks: 0
; VGPRBlocks: 0
; NumSGPRsForWavesPerEU: 1
; NumVGPRsForWavesPerEU: 1
; NamedBarCnt: 0
; Occupancy: 16
; WaveLimiterHint : 0
; COMPUTE_PGM_RSRC2:SCRATCH_EN: 0
; COMPUTE_PGM_RSRC2:USER_SGPR: 2
; COMPUTE_PGM_RSRC2:TRAP_HANDLER: 0
; COMPUTE_PGM_RSRC2:TGID_X_EN: 1
; COMPUTE_PGM_RSRC2:TGID_Y_EN: 0
; COMPUTE_PGM_RSRC2:TGID_Z_EN: 0
; COMPUTE_PGM_RSRC2:TIDIG_COMP_CNT: 0
	.section	.text._ZN7rocprim17ROCPRIM_400000_NS6detail17trampoline_kernelINS0_14default_configENS1_21merge_config_selectorINS0_5tupleIJttEEENS0_10empty_typeEEEZNS1_10merge_implIS3_NS0_12zip_iteratorINS5_IJN6thrust23THRUST_200600_302600_NS6detail15normal_iteratorINSC_10device_ptrIKtEEEESI_EEEEESK_NSA_INS5_IJNSE_INSF_ItEEEESM_EEEEEPS7_SP_SP_NSC_11hip_rocprim7__merge17predicate_wrapperIttNSC_7greaterItEEEEEE10hipError_tPvRmT0_T1_T2_T3_T4_T5_mmT6_P12ihipStream_tbEUlT_E0_NS1_11comp_targetILNS1_3genE2ELNS1_11target_archE906ELNS1_3gpuE6ELNS1_3repE0EEENS1_30default_config_static_selectorELNS0_4arch9wavefront6targetE0EEEvS10_,"axG",@progbits,_ZN7rocprim17ROCPRIM_400000_NS6detail17trampoline_kernelINS0_14default_configENS1_21merge_config_selectorINS0_5tupleIJttEEENS0_10empty_typeEEEZNS1_10merge_implIS3_NS0_12zip_iteratorINS5_IJN6thrust23THRUST_200600_302600_NS6detail15normal_iteratorINSC_10device_ptrIKtEEEESI_EEEEESK_NSA_INS5_IJNSE_INSF_ItEEEESM_EEEEEPS7_SP_SP_NSC_11hip_rocprim7__merge17predicate_wrapperIttNSC_7greaterItEEEEEE10hipError_tPvRmT0_T1_T2_T3_T4_T5_mmT6_P12ihipStream_tbEUlT_E0_NS1_11comp_targetILNS1_3genE2ELNS1_11target_archE906ELNS1_3gpuE6ELNS1_3repE0EEENS1_30default_config_static_selectorELNS0_4arch9wavefront6targetE0EEEvS10_,comdat
	.protected	_ZN7rocprim17ROCPRIM_400000_NS6detail17trampoline_kernelINS0_14default_configENS1_21merge_config_selectorINS0_5tupleIJttEEENS0_10empty_typeEEEZNS1_10merge_implIS3_NS0_12zip_iteratorINS5_IJN6thrust23THRUST_200600_302600_NS6detail15normal_iteratorINSC_10device_ptrIKtEEEESI_EEEEESK_NSA_INS5_IJNSE_INSF_ItEEEESM_EEEEEPS7_SP_SP_NSC_11hip_rocprim7__merge17predicate_wrapperIttNSC_7greaterItEEEEEE10hipError_tPvRmT0_T1_T2_T3_T4_T5_mmT6_P12ihipStream_tbEUlT_E0_NS1_11comp_targetILNS1_3genE2ELNS1_11target_archE906ELNS1_3gpuE6ELNS1_3repE0EEENS1_30default_config_static_selectorELNS0_4arch9wavefront6targetE0EEEvS10_ ; -- Begin function _ZN7rocprim17ROCPRIM_400000_NS6detail17trampoline_kernelINS0_14default_configENS1_21merge_config_selectorINS0_5tupleIJttEEENS0_10empty_typeEEEZNS1_10merge_implIS3_NS0_12zip_iteratorINS5_IJN6thrust23THRUST_200600_302600_NS6detail15normal_iteratorINSC_10device_ptrIKtEEEESI_EEEEESK_NSA_INS5_IJNSE_INSF_ItEEEESM_EEEEEPS7_SP_SP_NSC_11hip_rocprim7__merge17predicate_wrapperIttNSC_7greaterItEEEEEE10hipError_tPvRmT0_T1_T2_T3_T4_T5_mmT6_P12ihipStream_tbEUlT_E0_NS1_11comp_targetILNS1_3genE2ELNS1_11target_archE906ELNS1_3gpuE6ELNS1_3repE0EEENS1_30default_config_static_selectorELNS0_4arch9wavefront6targetE0EEEvS10_
	.globl	_ZN7rocprim17ROCPRIM_400000_NS6detail17trampoline_kernelINS0_14default_configENS1_21merge_config_selectorINS0_5tupleIJttEEENS0_10empty_typeEEEZNS1_10merge_implIS3_NS0_12zip_iteratorINS5_IJN6thrust23THRUST_200600_302600_NS6detail15normal_iteratorINSC_10device_ptrIKtEEEESI_EEEEESK_NSA_INS5_IJNSE_INSF_ItEEEESM_EEEEEPS7_SP_SP_NSC_11hip_rocprim7__merge17predicate_wrapperIttNSC_7greaterItEEEEEE10hipError_tPvRmT0_T1_T2_T3_T4_T5_mmT6_P12ihipStream_tbEUlT_E0_NS1_11comp_targetILNS1_3genE2ELNS1_11target_archE906ELNS1_3gpuE6ELNS1_3repE0EEENS1_30default_config_static_selectorELNS0_4arch9wavefront6targetE0EEEvS10_
	.p2align	8
	.type	_ZN7rocprim17ROCPRIM_400000_NS6detail17trampoline_kernelINS0_14default_configENS1_21merge_config_selectorINS0_5tupleIJttEEENS0_10empty_typeEEEZNS1_10merge_implIS3_NS0_12zip_iteratorINS5_IJN6thrust23THRUST_200600_302600_NS6detail15normal_iteratorINSC_10device_ptrIKtEEEESI_EEEEESK_NSA_INS5_IJNSE_INSF_ItEEEESM_EEEEEPS7_SP_SP_NSC_11hip_rocprim7__merge17predicate_wrapperIttNSC_7greaterItEEEEEE10hipError_tPvRmT0_T1_T2_T3_T4_T5_mmT6_P12ihipStream_tbEUlT_E0_NS1_11comp_targetILNS1_3genE2ELNS1_11target_archE906ELNS1_3gpuE6ELNS1_3repE0EEENS1_30default_config_static_selectorELNS0_4arch9wavefront6targetE0EEEvS10_,@function
_ZN7rocprim17ROCPRIM_400000_NS6detail17trampoline_kernelINS0_14default_configENS1_21merge_config_selectorINS0_5tupleIJttEEENS0_10empty_typeEEEZNS1_10merge_implIS3_NS0_12zip_iteratorINS5_IJN6thrust23THRUST_200600_302600_NS6detail15normal_iteratorINSC_10device_ptrIKtEEEESI_EEEEESK_NSA_INS5_IJNSE_INSF_ItEEEESM_EEEEEPS7_SP_SP_NSC_11hip_rocprim7__merge17predicate_wrapperIttNSC_7greaterItEEEEEE10hipError_tPvRmT0_T1_T2_T3_T4_T5_mmT6_P12ihipStream_tbEUlT_E0_NS1_11comp_targetILNS1_3genE2ELNS1_11target_archE906ELNS1_3gpuE6ELNS1_3repE0EEENS1_30default_config_static_selectorELNS0_4arch9wavefront6targetE0EEEvS10_: ; @_ZN7rocprim17ROCPRIM_400000_NS6detail17trampoline_kernelINS0_14default_configENS1_21merge_config_selectorINS0_5tupleIJttEEENS0_10empty_typeEEEZNS1_10merge_implIS3_NS0_12zip_iteratorINS5_IJN6thrust23THRUST_200600_302600_NS6detail15normal_iteratorINSC_10device_ptrIKtEEEESI_EEEEESK_NSA_INS5_IJNSE_INSF_ItEEEESM_EEEEEPS7_SP_SP_NSC_11hip_rocprim7__merge17predicate_wrapperIttNSC_7greaterItEEEEEE10hipError_tPvRmT0_T1_T2_T3_T4_T5_mmT6_P12ihipStream_tbEUlT_E0_NS1_11comp_targetILNS1_3genE2ELNS1_11target_archE906ELNS1_3gpuE6ELNS1_3repE0EEENS1_30default_config_static_selectorELNS0_4arch9wavefront6targetE0EEEvS10_
; %bb.0:
	.section	.rodata,"a",@progbits
	.p2align	6, 0x0
	.amdhsa_kernel _ZN7rocprim17ROCPRIM_400000_NS6detail17trampoline_kernelINS0_14default_configENS1_21merge_config_selectorINS0_5tupleIJttEEENS0_10empty_typeEEEZNS1_10merge_implIS3_NS0_12zip_iteratorINS5_IJN6thrust23THRUST_200600_302600_NS6detail15normal_iteratorINSC_10device_ptrIKtEEEESI_EEEEESK_NSA_INS5_IJNSE_INSF_ItEEEESM_EEEEEPS7_SP_SP_NSC_11hip_rocprim7__merge17predicate_wrapperIttNSC_7greaterItEEEEEE10hipError_tPvRmT0_T1_T2_T3_T4_T5_mmT6_P12ihipStream_tbEUlT_E0_NS1_11comp_targetILNS1_3genE2ELNS1_11target_archE906ELNS1_3gpuE6ELNS1_3repE0EEENS1_30default_config_static_selectorELNS0_4arch9wavefront6targetE0EEEvS10_
		.amdhsa_group_segment_fixed_size 0
		.amdhsa_private_segment_fixed_size 0
		.amdhsa_kernarg_size 112
		.amdhsa_user_sgpr_count 2
		.amdhsa_user_sgpr_dispatch_ptr 0
		.amdhsa_user_sgpr_queue_ptr 0
		.amdhsa_user_sgpr_kernarg_segment_ptr 1
		.amdhsa_user_sgpr_dispatch_id 0
		.amdhsa_user_sgpr_kernarg_preload_length 0
		.amdhsa_user_sgpr_kernarg_preload_offset 0
		.amdhsa_user_sgpr_private_segment_size 0
		.amdhsa_wavefront_size32 1
		.amdhsa_uses_dynamic_stack 0
		.amdhsa_enable_private_segment 0
		.amdhsa_system_sgpr_workgroup_id_x 1
		.amdhsa_system_sgpr_workgroup_id_y 0
		.amdhsa_system_sgpr_workgroup_id_z 0
		.amdhsa_system_sgpr_workgroup_info 0
		.amdhsa_system_vgpr_workitem_id 0
		.amdhsa_next_free_vgpr 1
		.amdhsa_next_free_sgpr 1
		.amdhsa_named_barrier_count 0
		.amdhsa_reserve_vcc 0
		.amdhsa_float_round_mode_32 0
		.amdhsa_float_round_mode_16_64 0
		.amdhsa_float_denorm_mode_32 3
		.amdhsa_float_denorm_mode_16_64 3
		.amdhsa_fp16_overflow 0
		.amdhsa_memory_ordered 1
		.amdhsa_forward_progress 1
		.amdhsa_inst_pref_size 0
		.amdhsa_round_robin_scheduling 0
		.amdhsa_exception_fp_ieee_invalid_op 0
		.amdhsa_exception_fp_denorm_src 0
		.amdhsa_exception_fp_ieee_div_zero 0
		.amdhsa_exception_fp_ieee_overflow 0
		.amdhsa_exception_fp_ieee_underflow 0
		.amdhsa_exception_fp_ieee_inexact 0
		.amdhsa_exception_int_div_zero 0
	.end_amdhsa_kernel
	.section	.text._ZN7rocprim17ROCPRIM_400000_NS6detail17trampoline_kernelINS0_14default_configENS1_21merge_config_selectorINS0_5tupleIJttEEENS0_10empty_typeEEEZNS1_10merge_implIS3_NS0_12zip_iteratorINS5_IJN6thrust23THRUST_200600_302600_NS6detail15normal_iteratorINSC_10device_ptrIKtEEEESI_EEEEESK_NSA_INS5_IJNSE_INSF_ItEEEESM_EEEEEPS7_SP_SP_NSC_11hip_rocprim7__merge17predicate_wrapperIttNSC_7greaterItEEEEEE10hipError_tPvRmT0_T1_T2_T3_T4_T5_mmT6_P12ihipStream_tbEUlT_E0_NS1_11comp_targetILNS1_3genE2ELNS1_11target_archE906ELNS1_3gpuE6ELNS1_3repE0EEENS1_30default_config_static_selectorELNS0_4arch9wavefront6targetE0EEEvS10_,"axG",@progbits,_ZN7rocprim17ROCPRIM_400000_NS6detail17trampoline_kernelINS0_14default_configENS1_21merge_config_selectorINS0_5tupleIJttEEENS0_10empty_typeEEEZNS1_10merge_implIS3_NS0_12zip_iteratorINS5_IJN6thrust23THRUST_200600_302600_NS6detail15normal_iteratorINSC_10device_ptrIKtEEEESI_EEEEESK_NSA_INS5_IJNSE_INSF_ItEEEESM_EEEEEPS7_SP_SP_NSC_11hip_rocprim7__merge17predicate_wrapperIttNSC_7greaterItEEEEEE10hipError_tPvRmT0_T1_T2_T3_T4_T5_mmT6_P12ihipStream_tbEUlT_E0_NS1_11comp_targetILNS1_3genE2ELNS1_11target_archE906ELNS1_3gpuE6ELNS1_3repE0EEENS1_30default_config_static_selectorELNS0_4arch9wavefront6targetE0EEEvS10_,comdat
.Lfunc_end402:
	.size	_ZN7rocprim17ROCPRIM_400000_NS6detail17trampoline_kernelINS0_14default_configENS1_21merge_config_selectorINS0_5tupleIJttEEENS0_10empty_typeEEEZNS1_10merge_implIS3_NS0_12zip_iteratorINS5_IJN6thrust23THRUST_200600_302600_NS6detail15normal_iteratorINSC_10device_ptrIKtEEEESI_EEEEESK_NSA_INS5_IJNSE_INSF_ItEEEESM_EEEEEPS7_SP_SP_NSC_11hip_rocprim7__merge17predicate_wrapperIttNSC_7greaterItEEEEEE10hipError_tPvRmT0_T1_T2_T3_T4_T5_mmT6_P12ihipStream_tbEUlT_E0_NS1_11comp_targetILNS1_3genE2ELNS1_11target_archE906ELNS1_3gpuE6ELNS1_3repE0EEENS1_30default_config_static_selectorELNS0_4arch9wavefront6targetE0EEEvS10_, .Lfunc_end402-_ZN7rocprim17ROCPRIM_400000_NS6detail17trampoline_kernelINS0_14default_configENS1_21merge_config_selectorINS0_5tupleIJttEEENS0_10empty_typeEEEZNS1_10merge_implIS3_NS0_12zip_iteratorINS5_IJN6thrust23THRUST_200600_302600_NS6detail15normal_iteratorINSC_10device_ptrIKtEEEESI_EEEEESK_NSA_INS5_IJNSE_INSF_ItEEEESM_EEEEEPS7_SP_SP_NSC_11hip_rocprim7__merge17predicate_wrapperIttNSC_7greaterItEEEEEE10hipError_tPvRmT0_T1_T2_T3_T4_T5_mmT6_P12ihipStream_tbEUlT_E0_NS1_11comp_targetILNS1_3genE2ELNS1_11target_archE906ELNS1_3gpuE6ELNS1_3repE0EEENS1_30default_config_static_selectorELNS0_4arch9wavefront6targetE0EEEvS10_
                                        ; -- End function
	.set _ZN7rocprim17ROCPRIM_400000_NS6detail17trampoline_kernelINS0_14default_configENS1_21merge_config_selectorINS0_5tupleIJttEEENS0_10empty_typeEEEZNS1_10merge_implIS3_NS0_12zip_iteratorINS5_IJN6thrust23THRUST_200600_302600_NS6detail15normal_iteratorINSC_10device_ptrIKtEEEESI_EEEEESK_NSA_INS5_IJNSE_INSF_ItEEEESM_EEEEEPS7_SP_SP_NSC_11hip_rocprim7__merge17predicate_wrapperIttNSC_7greaterItEEEEEE10hipError_tPvRmT0_T1_T2_T3_T4_T5_mmT6_P12ihipStream_tbEUlT_E0_NS1_11comp_targetILNS1_3genE2ELNS1_11target_archE906ELNS1_3gpuE6ELNS1_3repE0EEENS1_30default_config_static_selectorELNS0_4arch9wavefront6targetE0EEEvS10_.num_vgpr, 0
	.set _ZN7rocprim17ROCPRIM_400000_NS6detail17trampoline_kernelINS0_14default_configENS1_21merge_config_selectorINS0_5tupleIJttEEENS0_10empty_typeEEEZNS1_10merge_implIS3_NS0_12zip_iteratorINS5_IJN6thrust23THRUST_200600_302600_NS6detail15normal_iteratorINSC_10device_ptrIKtEEEESI_EEEEESK_NSA_INS5_IJNSE_INSF_ItEEEESM_EEEEEPS7_SP_SP_NSC_11hip_rocprim7__merge17predicate_wrapperIttNSC_7greaterItEEEEEE10hipError_tPvRmT0_T1_T2_T3_T4_T5_mmT6_P12ihipStream_tbEUlT_E0_NS1_11comp_targetILNS1_3genE2ELNS1_11target_archE906ELNS1_3gpuE6ELNS1_3repE0EEENS1_30default_config_static_selectorELNS0_4arch9wavefront6targetE0EEEvS10_.num_agpr, 0
	.set _ZN7rocprim17ROCPRIM_400000_NS6detail17trampoline_kernelINS0_14default_configENS1_21merge_config_selectorINS0_5tupleIJttEEENS0_10empty_typeEEEZNS1_10merge_implIS3_NS0_12zip_iteratorINS5_IJN6thrust23THRUST_200600_302600_NS6detail15normal_iteratorINSC_10device_ptrIKtEEEESI_EEEEESK_NSA_INS5_IJNSE_INSF_ItEEEESM_EEEEEPS7_SP_SP_NSC_11hip_rocprim7__merge17predicate_wrapperIttNSC_7greaterItEEEEEE10hipError_tPvRmT0_T1_T2_T3_T4_T5_mmT6_P12ihipStream_tbEUlT_E0_NS1_11comp_targetILNS1_3genE2ELNS1_11target_archE906ELNS1_3gpuE6ELNS1_3repE0EEENS1_30default_config_static_selectorELNS0_4arch9wavefront6targetE0EEEvS10_.numbered_sgpr, 0
	.set _ZN7rocprim17ROCPRIM_400000_NS6detail17trampoline_kernelINS0_14default_configENS1_21merge_config_selectorINS0_5tupleIJttEEENS0_10empty_typeEEEZNS1_10merge_implIS3_NS0_12zip_iteratorINS5_IJN6thrust23THRUST_200600_302600_NS6detail15normal_iteratorINSC_10device_ptrIKtEEEESI_EEEEESK_NSA_INS5_IJNSE_INSF_ItEEEESM_EEEEEPS7_SP_SP_NSC_11hip_rocprim7__merge17predicate_wrapperIttNSC_7greaterItEEEEEE10hipError_tPvRmT0_T1_T2_T3_T4_T5_mmT6_P12ihipStream_tbEUlT_E0_NS1_11comp_targetILNS1_3genE2ELNS1_11target_archE906ELNS1_3gpuE6ELNS1_3repE0EEENS1_30default_config_static_selectorELNS0_4arch9wavefront6targetE0EEEvS10_.num_named_barrier, 0
	.set _ZN7rocprim17ROCPRIM_400000_NS6detail17trampoline_kernelINS0_14default_configENS1_21merge_config_selectorINS0_5tupleIJttEEENS0_10empty_typeEEEZNS1_10merge_implIS3_NS0_12zip_iteratorINS5_IJN6thrust23THRUST_200600_302600_NS6detail15normal_iteratorINSC_10device_ptrIKtEEEESI_EEEEESK_NSA_INS5_IJNSE_INSF_ItEEEESM_EEEEEPS7_SP_SP_NSC_11hip_rocprim7__merge17predicate_wrapperIttNSC_7greaterItEEEEEE10hipError_tPvRmT0_T1_T2_T3_T4_T5_mmT6_P12ihipStream_tbEUlT_E0_NS1_11comp_targetILNS1_3genE2ELNS1_11target_archE906ELNS1_3gpuE6ELNS1_3repE0EEENS1_30default_config_static_selectorELNS0_4arch9wavefront6targetE0EEEvS10_.private_seg_size, 0
	.set _ZN7rocprim17ROCPRIM_400000_NS6detail17trampoline_kernelINS0_14default_configENS1_21merge_config_selectorINS0_5tupleIJttEEENS0_10empty_typeEEEZNS1_10merge_implIS3_NS0_12zip_iteratorINS5_IJN6thrust23THRUST_200600_302600_NS6detail15normal_iteratorINSC_10device_ptrIKtEEEESI_EEEEESK_NSA_INS5_IJNSE_INSF_ItEEEESM_EEEEEPS7_SP_SP_NSC_11hip_rocprim7__merge17predicate_wrapperIttNSC_7greaterItEEEEEE10hipError_tPvRmT0_T1_T2_T3_T4_T5_mmT6_P12ihipStream_tbEUlT_E0_NS1_11comp_targetILNS1_3genE2ELNS1_11target_archE906ELNS1_3gpuE6ELNS1_3repE0EEENS1_30default_config_static_selectorELNS0_4arch9wavefront6targetE0EEEvS10_.uses_vcc, 0
	.set _ZN7rocprim17ROCPRIM_400000_NS6detail17trampoline_kernelINS0_14default_configENS1_21merge_config_selectorINS0_5tupleIJttEEENS0_10empty_typeEEEZNS1_10merge_implIS3_NS0_12zip_iteratorINS5_IJN6thrust23THRUST_200600_302600_NS6detail15normal_iteratorINSC_10device_ptrIKtEEEESI_EEEEESK_NSA_INS5_IJNSE_INSF_ItEEEESM_EEEEEPS7_SP_SP_NSC_11hip_rocprim7__merge17predicate_wrapperIttNSC_7greaterItEEEEEE10hipError_tPvRmT0_T1_T2_T3_T4_T5_mmT6_P12ihipStream_tbEUlT_E0_NS1_11comp_targetILNS1_3genE2ELNS1_11target_archE906ELNS1_3gpuE6ELNS1_3repE0EEENS1_30default_config_static_selectorELNS0_4arch9wavefront6targetE0EEEvS10_.uses_flat_scratch, 0
	.set _ZN7rocprim17ROCPRIM_400000_NS6detail17trampoline_kernelINS0_14default_configENS1_21merge_config_selectorINS0_5tupleIJttEEENS0_10empty_typeEEEZNS1_10merge_implIS3_NS0_12zip_iteratorINS5_IJN6thrust23THRUST_200600_302600_NS6detail15normal_iteratorINSC_10device_ptrIKtEEEESI_EEEEESK_NSA_INS5_IJNSE_INSF_ItEEEESM_EEEEEPS7_SP_SP_NSC_11hip_rocprim7__merge17predicate_wrapperIttNSC_7greaterItEEEEEE10hipError_tPvRmT0_T1_T2_T3_T4_T5_mmT6_P12ihipStream_tbEUlT_E0_NS1_11comp_targetILNS1_3genE2ELNS1_11target_archE906ELNS1_3gpuE6ELNS1_3repE0EEENS1_30default_config_static_selectorELNS0_4arch9wavefront6targetE0EEEvS10_.has_dyn_sized_stack, 0
	.set _ZN7rocprim17ROCPRIM_400000_NS6detail17trampoline_kernelINS0_14default_configENS1_21merge_config_selectorINS0_5tupleIJttEEENS0_10empty_typeEEEZNS1_10merge_implIS3_NS0_12zip_iteratorINS5_IJN6thrust23THRUST_200600_302600_NS6detail15normal_iteratorINSC_10device_ptrIKtEEEESI_EEEEESK_NSA_INS5_IJNSE_INSF_ItEEEESM_EEEEEPS7_SP_SP_NSC_11hip_rocprim7__merge17predicate_wrapperIttNSC_7greaterItEEEEEE10hipError_tPvRmT0_T1_T2_T3_T4_T5_mmT6_P12ihipStream_tbEUlT_E0_NS1_11comp_targetILNS1_3genE2ELNS1_11target_archE906ELNS1_3gpuE6ELNS1_3repE0EEENS1_30default_config_static_selectorELNS0_4arch9wavefront6targetE0EEEvS10_.has_recursion, 0
	.set _ZN7rocprim17ROCPRIM_400000_NS6detail17trampoline_kernelINS0_14default_configENS1_21merge_config_selectorINS0_5tupleIJttEEENS0_10empty_typeEEEZNS1_10merge_implIS3_NS0_12zip_iteratorINS5_IJN6thrust23THRUST_200600_302600_NS6detail15normal_iteratorINSC_10device_ptrIKtEEEESI_EEEEESK_NSA_INS5_IJNSE_INSF_ItEEEESM_EEEEEPS7_SP_SP_NSC_11hip_rocprim7__merge17predicate_wrapperIttNSC_7greaterItEEEEEE10hipError_tPvRmT0_T1_T2_T3_T4_T5_mmT6_P12ihipStream_tbEUlT_E0_NS1_11comp_targetILNS1_3genE2ELNS1_11target_archE906ELNS1_3gpuE6ELNS1_3repE0EEENS1_30default_config_static_selectorELNS0_4arch9wavefront6targetE0EEEvS10_.has_indirect_call, 0
	.section	.AMDGPU.csdata,"",@progbits
; Kernel info:
; codeLenInByte = 0
; TotalNumSgprs: 0
; NumVgprs: 0
; ScratchSize: 0
; MemoryBound: 0
; FloatMode: 240
; IeeeMode: 1
; LDSByteSize: 0 bytes/workgroup (compile time only)
; SGPRBlocks: 0
; VGPRBlocks: 0
; NumSGPRsForWavesPerEU: 1
; NumVGPRsForWavesPerEU: 1
; NamedBarCnt: 0
; Occupancy: 16
; WaveLimiterHint : 0
; COMPUTE_PGM_RSRC2:SCRATCH_EN: 0
; COMPUTE_PGM_RSRC2:USER_SGPR: 2
; COMPUTE_PGM_RSRC2:TRAP_HANDLER: 0
; COMPUTE_PGM_RSRC2:TGID_X_EN: 1
; COMPUTE_PGM_RSRC2:TGID_Y_EN: 0
; COMPUTE_PGM_RSRC2:TGID_Z_EN: 0
; COMPUTE_PGM_RSRC2:TIDIG_COMP_CNT: 0
	.section	.text._ZN7rocprim17ROCPRIM_400000_NS6detail17trampoline_kernelINS0_14default_configENS1_21merge_config_selectorINS0_5tupleIJttEEENS0_10empty_typeEEEZNS1_10merge_implIS3_NS0_12zip_iteratorINS5_IJN6thrust23THRUST_200600_302600_NS6detail15normal_iteratorINSC_10device_ptrIKtEEEESI_EEEEESK_NSA_INS5_IJNSE_INSF_ItEEEESM_EEEEEPS7_SP_SP_NSC_11hip_rocprim7__merge17predicate_wrapperIttNSC_7greaterItEEEEEE10hipError_tPvRmT0_T1_T2_T3_T4_T5_mmT6_P12ihipStream_tbEUlT_E0_NS1_11comp_targetILNS1_3genE10ELNS1_11target_archE1201ELNS1_3gpuE5ELNS1_3repE0EEENS1_30default_config_static_selectorELNS0_4arch9wavefront6targetE0EEEvS10_,"axG",@progbits,_ZN7rocprim17ROCPRIM_400000_NS6detail17trampoline_kernelINS0_14default_configENS1_21merge_config_selectorINS0_5tupleIJttEEENS0_10empty_typeEEEZNS1_10merge_implIS3_NS0_12zip_iteratorINS5_IJN6thrust23THRUST_200600_302600_NS6detail15normal_iteratorINSC_10device_ptrIKtEEEESI_EEEEESK_NSA_INS5_IJNSE_INSF_ItEEEESM_EEEEEPS7_SP_SP_NSC_11hip_rocprim7__merge17predicate_wrapperIttNSC_7greaterItEEEEEE10hipError_tPvRmT0_T1_T2_T3_T4_T5_mmT6_P12ihipStream_tbEUlT_E0_NS1_11comp_targetILNS1_3genE10ELNS1_11target_archE1201ELNS1_3gpuE5ELNS1_3repE0EEENS1_30default_config_static_selectorELNS0_4arch9wavefront6targetE0EEEvS10_,comdat
	.protected	_ZN7rocprim17ROCPRIM_400000_NS6detail17trampoline_kernelINS0_14default_configENS1_21merge_config_selectorINS0_5tupleIJttEEENS0_10empty_typeEEEZNS1_10merge_implIS3_NS0_12zip_iteratorINS5_IJN6thrust23THRUST_200600_302600_NS6detail15normal_iteratorINSC_10device_ptrIKtEEEESI_EEEEESK_NSA_INS5_IJNSE_INSF_ItEEEESM_EEEEEPS7_SP_SP_NSC_11hip_rocprim7__merge17predicate_wrapperIttNSC_7greaterItEEEEEE10hipError_tPvRmT0_T1_T2_T3_T4_T5_mmT6_P12ihipStream_tbEUlT_E0_NS1_11comp_targetILNS1_3genE10ELNS1_11target_archE1201ELNS1_3gpuE5ELNS1_3repE0EEENS1_30default_config_static_selectorELNS0_4arch9wavefront6targetE0EEEvS10_ ; -- Begin function _ZN7rocprim17ROCPRIM_400000_NS6detail17trampoline_kernelINS0_14default_configENS1_21merge_config_selectorINS0_5tupleIJttEEENS0_10empty_typeEEEZNS1_10merge_implIS3_NS0_12zip_iteratorINS5_IJN6thrust23THRUST_200600_302600_NS6detail15normal_iteratorINSC_10device_ptrIKtEEEESI_EEEEESK_NSA_INS5_IJNSE_INSF_ItEEEESM_EEEEEPS7_SP_SP_NSC_11hip_rocprim7__merge17predicate_wrapperIttNSC_7greaterItEEEEEE10hipError_tPvRmT0_T1_T2_T3_T4_T5_mmT6_P12ihipStream_tbEUlT_E0_NS1_11comp_targetILNS1_3genE10ELNS1_11target_archE1201ELNS1_3gpuE5ELNS1_3repE0EEENS1_30default_config_static_selectorELNS0_4arch9wavefront6targetE0EEEvS10_
	.globl	_ZN7rocprim17ROCPRIM_400000_NS6detail17trampoline_kernelINS0_14default_configENS1_21merge_config_selectorINS0_5tupleIJttEEENS0_10empty_typeEEEZNS1_10merge_implIS3_NS0_12zip_iteratorINS5_IJN6thrust23THRUST_200600_302600_NS6detail15normal_iteratorINSC_10device_ptrIKtEEEESI_EEEEESK_NSA_INS5_IJNSE_INSF_ItEEEESM_EEEEEPS7_SP_SP_NSC_11hip_rocprim7__merge17predicate_wrapperIttNSC_7greaterItEEEEEE10hipError_tPvRmT0_T1_T2_T3_T4_T5_mmT6_P12ihipStream_tbEUlT_E0_NS1_11comp_targetILNS1_3genE10ELNS1_11target_archE1201ELNS1_3gpuE5ELNS1_3repE0EEENS1_30default_config_static_selectorELNS0_4arch9wavefront6targetE0EEEvS10_
	.p2align	8
	.type	_ZN7rocprim17ROCPRIM_400000_NS6detail17trampoline_kernelINS0_14default_configENS1_21merge_config_selectorINS0_5tupleIJttEEENS0_10empty_typeEEEZNS1_10merge_implIS3_NS0_12zip_iteratorINS5_IJN6thrust23THRUST_200600_302600_NS6detail15normal_iteratorINSC_10device_ptrIKtEEEESI_EEEEESK_NSA_INS5_IJNSE_INSF_ItEEEESM_EEEEEPS7_SP_SP_NSC_11hip_rocprim7__merge17predicate_wrapperIttNSC_7greaterItEEEEEE10hipError_tPvRmT0_T1_T2_T3_T4_T5_mmT6_P12ihipStream_tbEUlT_E0_NS1_11comp_targetILNS1_3genE10ELNS1_11target_archE1201ELNS1_3gpuE5ELNS1_3repE0EEENS1_30default_config_static_selectorELNS0_4arch9wavefront6targetE0EEEvS10_,@function
_ZN7rocprim17ROCPRIM_400000_NS6detail17trampoline_kernelINS0_14default_configENS1_21merge_config_selectorINS0_5tupleIJttEEENS0_10empty_typeEEEZNS1_10merge_implIS3_NS0_12zip_iteratorINS5_IJN6thrust23THRUST_200600_302600_NS6detail15normal_iteratorINSC_10device_ptrIKtEEEESI_EEEEESK_NSA_INS5_IJNSE_INSF_ItEEEESM_EEEEEPS7_SP_SP_NSC_11hip_rocprim7__merge17predicate_wrapperIttNSC_7greaterItEEEEEE10hipError_tPvRmT0_T1_T2_T3_T4_T5_mmT6_P12ihipStream_tbEUlT_E0_NS1_11comp_targetILNS1_3genE10ELNS1_11target_archE1201ELNS1_3gpuE5ELNS1_3repE0EEENS1_30default_config_static_selectorELNS0_4arch9wavefront6targetE0EEEvS10_: ; @_ZN7rocprim17ROCPRIM_400000_NS6detail17trampoline_kernelINS0_14default_configENS1_21merge_config_selectorINS0_5tupleIJttEEENS0_10empty_typeEEEZNS1_10merge_implIS3_NS0_12zip_iteratorINS5_IJN6thrust23THRUST_200600_302600_NS6detail15normal_iteratorINSC_10device_ptrIKtEEEESI_EEEEESK_NSA_INS5_IJNSE_INSF_ItEEEESM_EEEEEPS7_SP_SP_NSC_11hip_rocprim7__merge17predicate_wrapperIttNSC_7greaterItEEEEEE10hipError_tPvRmT0_T1_T2_T3_T4_T5_mmT6_P12ihipStream_tbEUlT_E0_NS1_11comp_targetILNS1_3genE10ELNS1_11target_archE1201ELNS1_3gpuE5ELNS1_3repE0EEENS1_30default_config_static_selectorELNS0_4arch9wavefront6targetE0EEEvS10_
; %bb.0:
	.section	.rodata,"a",@progbits
	.p2align	6, 0x0
	.amdhsa_kernel _ZN7rocprim17ROCPRIM_400000_NS6detail17trampoline_kernelINS0_14default_configENS1_21merge_config_selectorINS0_5tupleIJttEEENS0_10empty_typeEEEZNS1_10merge_implIS3_NS0_12zip_iteratorINS5_IJN6thrust23THRUST_200600_302600_NS6detail15normal_iteratorINSC_10device_ptrIKtEEEESI_EEEEESK_NSA_INS5_IJNSE_INSF_ItEEEESM_EEEEEPS7_SP_SP_NSC_11hip_rocprim7__merge17predicate_wrapperIttNSC_7greaterItEEEEEE10hipError_tPvRmT0_T1_T2_T3_T4_T5_mmT6_P12ihipStream_tbEUlT_E0_NS1_11comp_targetILNS1_3genE10ELNS1_11target_archE1201ELNS1_3gpuE5ELNS1_3repE0EEENS1_30default_config_static_selectorELNS0_4arch9wavefront6targetE0EEEvS10_
		.amdhsa_group_segment_fixed_size 0
		.amdhsa_private_segment_fixed_size 0
		.amdhsa_kernarg_size 112
		.amdhsa_user_sgpr_count 2
		.amdhsa_user_sgpr_dispatch_ptr 0
		.amdhsa_user_sgpr_queue_ptr 0
		.amdhsa_user_sgpr_kernarg_segment_ptr 1
		.amdhsa_user_sgpr_dispatch_id 0
		.amdhsa_user_sgpr_kernarg_preload_length 0
		.amdhsa_user_sgpr_kernarg_preload_offset 0
		.amdhsa_user_sgpr_private_segment_size 0
		.amdhsa_wavefront_size32 1
		.amdhsa_uses_dynamic_stack 0
		.amdhsa_enable_private_segment 0
		.amdhsa_system_sgpr_workgroup_id_x 1
		.amdhsa_system_sgpr_workgroup_id_y 0
		.amdhsa_system_sgpr_workgroup_id_z 0
		.amdhsa_system_sgpr_workgroup_info 0
		.amdhsa_system_vgpr_workitem_id 0
		.amdhsa_next_free_vgpr 1
		.amdhsa_next_free_sgpr 1
		.amdhsa_named_barrier_count 0
		.amdhsa_reserve_vcc 0
		.amdhsa_float_round_mode_32 0
		.amdhsa_float_round_mode_16_64 0
		.amdhsa_float_denorm_mode_32 3
		.amdhsa_float_denorm_mode_16_64 3
		.amdhsa_fp16_overflow 0
		.amdhsa_memory_ordered 1
		.amdhsa_forward_progress 1
		.amdhsa_inst_pref_size 0
		.amdhsa_round_robin_scheduling 0
		.amdhsa_exception_fp_ieee_invalid_op 0
		.amdhsa_exception_fp_denorm_src 0
		.amdhsa_exception_fp_ieee_div_zero 0
		.amdhsa_exception_fp_ieee_overflow 0
		.amdhsa_exception_fp_ieee_underflow 0
		.amdhsa_exception_fp_ieee_inexact 0
		.amdhsa_exception_int_div_zero 0
	.end_amdhsa_kernel
	.section	.text._ZN7rocprim17ROCPRIM_400000_NS6detail17trampoline_kernelINS0_14default_configENS1_21merge_config_selectorINS0_5tupleIJttEEENS0_10empty_typeEEEZNS1_10merge_implIS3_NS0_12zip_iteratorINS5_IJN6thrust23THRUST_200600_302600_NS6detail15normal_iteratorINSC_10device_ptrIKtEEEESI_EEEEESK_NSA_INS5_IJNSE_INSF_ItEEEESM_EEEEEPS7_SP_SP_NSC_11hip_rocprim7__merge17predicate_wrapperIttNSC_7greaterItEEEEEE10hipError_tPvRmT0_T1_T2_T3_T4_T5_mmT6_P12ihipStream_tbEUlT_E0_NS1_11comp_targetILNS1_3genE10ELNS1_11target_archE1201ELNS1_3gpuE5ELNS1_3repE0EEENS1_30default_config_static_selectorELNS0_4arch9wavefront6targetE0EEEvS10_,"axG",@progbits,_ZN7rocprim17ROCPRIM_400000_NS6detail17trampoline_kernelINS0_14default_configENS1_21merge_config_selectorINS0_5tupleIJttEEENS0_10empty_typeEEEZNS1_10merge_implIS3_NS0_12zip_iteratorINS5_IJN6thrust23THRUST_200600_302600_NS6detail15normal_iteratorINSC_10device_ptrIKtEEEESI_EEEEESK_NSA_INS5_IJNSE_INSF_ItEEEESM_EEEEEPS7_SP_SP_NSC_11hip_rocprim7__merge17predicate_wrapperIttNSC_7greaterItEEEEEE10hipError_tPvRmT0_T1_T2_T3_T4_T5_mmT6_P12ihipStream_tbEUlT_E0_NS1_11comp_targetILNS1_3genE10ELNS1_11target_archE1201ELNS1_3gpuE5ELNS1_3repE0EEENS1_30default_config_static_selectorELNS0_4arch9wavefront6targetE0EEEvS10_,comdat
.Lfunc_end403:
	.size	_ZN7rocprim17ROCPRIM_400000_NS6detail17trampoline_kernelINS0_14default_configENS1_21merge_config_selectorINS0_5tupleIJttEEENS0_10empty_typeEEEZNS1_10merge_implIS3_NS0_12zip_iteratorINS5_IJN6thrust23THRUST_200600_302600_NS6detail15normal_iteratorINSC_10device_ptrIKtEEEESI_EEEEESK_NSA_INS5_IJNSE_INSF_ItEEEESM_EEEEEPS7_SP_SP_NSC_11hip_rocprim7__merge17predicate_wrapperIttNSC_7greaterItEEEEEE10hipError_tPvRmT0_T1_T2_T3_T4_T5_mmT6_P12ihipStream_tbEUlT_E0_NS1_11comp_targetILNS1_3genE10ELNS1_11target_archE1201ELNS1_3gpuE5ELNS1_3repE0EEENS1_30default_config_static_selectorELNS0_4arch9wavefront6targetE0EEEvS10_, .Lfunc_end403-_ZN7rocprim17ROCPRIM_400000_NS6detail17trampoline_kernelINS0_14default_configENS1_21merge_config_selectorINS0_5tupleIJttEEENS0_10empty_typeEEEZNS1_10merge_implIS3_NS0_12zip_iteratorINS5_IJN6thrust23THRUST_200600_302600_NS6detail15normal_iteratorINSC_10device_ptrIKtEEEESI_EEEEESK_NSA_INS5_IJNSE_INSF_ItEEEESM_EEEEEPS7_SP_SP_NSC_11hip_rocprim7__merge17predicate_wrapperIttNSC_7greaterItEEEEEE10hipError_tPvRmT0_T1_T2_T3_T4_T5_mmT6_P12ihipStream_tbEUlT_E0_NS1_11comp_targetILNS1_3genE10ELNS1_11target_archE1201ELNS1_3gpuE5ELNS1_3repE0EEENS1_30default_config_static_selectorELNS0_4arch9wavefront6targetE0EEEvS10_
                                        ; -- End function
	.set _ZN7rocprim17ROCPRIM_400000_NS6detail17trampoline_kernelINS0_14default_configENS1_21merge_config_selectorINS0_5tupleIJttEEENS0_10empty_typeEEEZNS1_10merge_implIS3_NS0_12zip_iteratorINS5_IJN6thrust23THRUST_200600_302600_NS6detail15normal_iteratorINSC_10device_ptrIKtEEEESI_EEEEESK_NSA_INS5_IJNSE_INSF_ItEEEESM_EEEEEPS7_SP_SP_NSC_11hip_rocprim7__merge17predicate_wrapperIttNSC_7greaterItEEEEEE10hipError_tPvRmT0_T1_T2_T3_T4_T5_mmT6_P12ihipStream_tbEUlT_E0_NS1_11comp_targetILNS1_3genE10ELNS1_11target_archE1201ELNS1_3gpuE5ELNS1_3repE0EEENS1_30default_config_static_selectorELNS0_4arch9wavefront6targetE0EEEvS10_.num_vgpr, 0
	.set _ZN7rocprim17ROCPRIM_400000_NS6detail17trampoline_kernelINS0_14default_configENS1_21merge_config_selectorINS0_5tupleIJttEEENS0_10empty_typeEEEZNS1_10merge_implIS3_NS0_12zip_iteratorINS5_IJN6thrust23THRUST_200600_302600_NS6detail15normal_iteratorINSC_10device_ptrIKtEEEESI_EEEEESK_NSA_INS5_IJNSE_INSF_ItEEEESM_EEEEEPS7_SP_SP_NSC_11hip_rocprim7__merge17predicate_wrapperIttNSC_7greaterItEEEEEE10hipError_tPvRmT0_T1_T2_T3_T4_T5_mmT6_P12ihipStream_tbEUlT_E0_NS1_11comp_targetILNS1_3genE10ELNS1_11target_archE1201ELNS1_3gpuE5ELNS1_3repE0EEENS1_30default_config_static_selectorELNS0_4arch9wavefront6targetE0EEEvS10_.num_agpr, 0
	.set _ZN7rocprim17ROCPRIM_400000_NS6detail17trampoline_kernelINS0_14default_configENS1_21merge_config_selectorINS0_5tupleIJttEEENS0_10empty_typeEEEZNS1_10merge_implIS3_NS0_12zip_iteratorINS5_IJN6thrust23THRUST_200600_302600_NS6detail15normal_iteratorINSC_10device_ptrIKtEEEESI_EEEEESK_NSA_INS5_IJNSE_INSF_ItEEEESM_EEEEEPS7_SP_SP_NSC_11hip_rocprim7__merge17predicate_wrapperIttNSC_7greaterItEEEEEE10hipError_tPvRmT0_T1_T2_T3_T4_T5_mmT6_P12ihipStream_tbEUlT_E0_NS1_11comp_targetILNS1_3genE10ELNS1_11target_archE1201ELNS1_3gpuE5ELNS1_3repE0EEENS1_30default_config_static_selectorELNS0_4arch9wavefront6targetE0EEEvS10_.numbered_sgpr, 0
	.set _ZN7rocprim17ROCPRIM_400000_NS6detail17trampoline_kernelINS0_14default_configENS1_21merge_config_selectorINS0_5tupleIJttEEENS0_10empty_typeEEEZNS1_10merge_implIS3_NS0_12zip_iteratorINS5_IJN6thrust23THRUST_200600_302600_NS6detail15normal_iteratorINSC_10device_ptrIKtEEEESI_EEEEESK_NSA_INS5_IJNSE_INSF_ItEEEESM_EEEEEPS7_SP_SP_NSC_11hip_rocprim7__merge17predicate_wrapperIttNSC_7greaterItEEEEEE10hipError_tPvRmT0_T1_T2_T3_T4_T5_mmT6_P12ihipStream_tbEUlT_E0_NS1_11comp_targetILNS1_3genE10ELNS1_11target_archE1201ELNS1_3gpuE5ELNS1_3repE0EEENS1_30default_config_static_selectorELNS0_4arch9wavefront6targetE0EEEvS10_.num_named_barrier, 0
	.set _ZN7rocprim17ROCPRIM_400000_NS6detail17trampoline_kernelINS0_14default_configENS1_21merge_config_selectorINS0_5tupleIJttEEENS0_10empty_typeEEEZNS1_10merge_implIS3_NS0_12zip_iteratorINS5_IJN6thrust23THRUST_200600_302600_NS6detail15normal_iteratorINSC_10device_ptrIKtEEEESI_EEEEESK_NSA_INS5_IJNSE_INSF_ItEEEESM_EEEEEPS7_SP_SP_NSC_11hip_rocprim7__merge17predicate_wrapperIttNSC_7greaterItEEEEEE10hipError_tPvRmT0_T1_T2_T3_T4_T5_mmT6_P12ihipStream_tbEUlT_E0_NS1_11comp_targetILNS1_3genE10ELNS1_11target_archE1201ELNS1_3gpuE5ELNS1_3repE0EEENS1_30default_config_static_selectorELNS0_4arch9wavefront6targetE0EEEvS10_.private_seg_size, 0
	.set _ZN7rocprim17ROCPRIM_400000_NS6detail17trampoline_kernelINS0_14default_configENS1_21merge_config_selectorINS0_5tupleIJttEEENS0_10empty_typeEEEZNS1_10merge_implIS3_NS0_12zip_iteratorINS5_IJN6thrust23THRUST_200600_302600_NS6detail15normal_iteratorINSC_10device_ptrIKtEEEESI_EEEEESK_NSA_INS5_IJNSE_INSF_ItEEEESM_EEEEEPS7_SP_SP_NSC_11hip_rocprim7__merge17predicate_wrapperIttNSC_7greaterItEEEEEE10hipError_tPvRmT0_T1_T2_T3_T4_T5_mmT6_P12ihipStream_tbEUlT_E0_NS1_11comp_targetILNS1_3genE10ELNS1_11target_archE1201ELNS1_3gpuE5ELNS1_3repE0EEENS1_30default_config_static_selectorELNS0_4arch9wavefront6targetE0EEEvS10_.uses_vcc, 0
	.set _ZN7rocprim17ROCPRIM_400000_NS6detail17trampoline_kernelINS0_14default_configENS1_21merge_config_selectorINS0_5tupleIJttEEENS0_10empty_typeEEEZNS1_10merge_implIS3_NS0_12zip_iteratorINS5_IJN6thrust23THRUST_200600_302600_NS6detail15normal_iteratorINSC_10device_ptrIKtEEEESI_EEEEESK_NSA_INS5_IJNSE_INSF_ItEEEESM_EEEEEPS7_SP_SP_NSC_11hip_rocprim7__merge17predicate_wrapperIttNSC_7greaterItEEEEEE10hipError_tPvRmT0_T1_T2_T3_T4_T5_mmT6_P12ihipStream_tbEUlT_E0_NS1_11comp_targetILNS1_3genE10ELNS1_11target_archE1201ELNS1_3gpuE5ELNS1_3repE0EEENS1_30default_config_static_selectorELNS0_4arch9wavefront6targetE0EEEvS10_.uses_flat_scratch, 0
	.set _ZN7rocprim17ROCPRIM_400000_NS6detail17trampoline_kernelINS0_14default_configENS1_21merge_config_selectorINS0_5tupleIJttEEENS0_10empty_typeEEEZNS1_10merge_implIS3_NS0_12zip_iteratorINS5_IJN6thrust23THRUST_200600_302600_NS6detail15normal_iteratorINSC_10device_ptrIKtEEEESI_EEEEESK_NSA_INS5_IJNSE_INSF_ItEEEESM_EEEEEPS7_SP_SP_NSC_11hip_rocprim7__merge17predicate_wrapperIttNSC_7greaterItEEEEEE10hipError_tPvRmT0_T1_T2_T3_T4_T5_mmT6_P12ihipStream_tbEUlT_E0_NS1_11comp_targetILNS1_3genE10ELNS1_11target_archE1201ELNS1_3gpuE5ELNS1_3repE0EEENS1_30default_config_static_selectorELNS0_4arch9wavefront6targetE0EEEvS10_.has_dyn_sized_stack, 0
	.set _ZN7rocprim17ROCPRIM_400000_NS6detail17trampoline_kernelINS0_14default_configENS1_21merge_config_selectorINS0_5tupleIJttEEENS0_10empty_typeEEEZNS1_10merge_implIS3_NS0_12zip_iteratorINS5_IJN6thrust23THRUST_200600_302600_NS6detail15normal_iteratorINSC_10device_ptrIKtEEEESI_EEEEESK_NSA_INS5_IJNSE_INSF_ItEEEESM_EEEEEPS7_SP_SP_NSC_11hip_rocprim7__merge17predicate_wrapperIttNSC_7greaterItEEEEEE10hipError_tPvRmT0_T1_T2_T3_T4_T5_mmT6_P12ihipStream_tbEUlT_E0_NS1_11comp_targetILNS1_3genE10ELNS1_11target_archE1201ELNS1_3gpuE5ELNS1_3repE0EEENS1_30default_config_static_selectorELNS0_4arch9wavefront6targetE0EEEvS10_.has_recursion, 0
	.set _ZN7rocprim17ROCPRIM_400000_NS6detail17trampoline_kernelINS0_14default_configENS1_21merge_config_selectorINS0_5tupleIJttEEENS0_10empty_typeEEEZNS1_10merge_implIS3_NS0_12zip_iteratorINS5_IJN6thrust23THRUST_200600_302600_NS6detail15normal_iteratorINSC_10device_ptrIKtEEEESI_EEEEESK_NSA_INS5_IJNSE_INSF_ItEEEESM_EEEEEPS7_SP_SP_NSC_11hip_rocprim7__merge17predicate_wrapperIttNSC_7greaterItEEEEEE10hipError_tPvRmT0_T1_T2_T3_T4_T5_mmT6_P12ihipStream_tbEUlT_E0_NS1_11comp_targetILNS1_3genE10ELNS1_11target_archE1201ELNS1_3gpuE5ELNS1_3repE0EEENS1_30default_config_static_selectorELNS0_4arch9wavefront6targetE0EEEvS10_.has_indirect_call, 0
	.section	.AMDGPU.csdata,"",@progbits
; Kernel info:
; codeLenInByte = 0
; TotalNumSgprs: 0
; NumVgprs: 0
; ScratchSize: 0
; MemoryBound: 0
; FloatMode: 240
; IeeeMode: 1
; LDSByteSize: 0 bytes/workgroup (compile time only)
; SGPRBlocks: 0
; VGPRBlocks: 0
; NumSGPRsForWavesPerEU: 1
; NumVGPRsForWavesPerEU: 1
; NamedBarCnt: 0
; Occupancy: 16
; WaveLimiterHint : 0
; COMPUTE_PGM_RSRC2:SCRATCH_EN: 0
; COMPUTE_PGM_RSRC2:USER_SGPR: 2
; COMPUTE_PGM_RSRC2:TRAP_HANDLER: 0
; COMPUTE_PGM_RSRC2:TGID_X_EN: 1
; COMPUTE_PGM_RSRC2:TGID_Y_EN: 0
; COMPUTE_PGM_RSRC2:TGID_Z_EN: 0
; COMPUTE_PGM_RSRC2:TIDIG_COMP_CNT: 0
	.section	.text._ZN7rocprim17ROCPRIM_400000_NS6detail17trampoline_kernelINS0_14default_configENS1_21merge_config_selectorINS0_5tupleIJttEEENS0_10empty_typeEEEZNS1_10merge_implIS3_NS0_12zip_iteratorINS5_IJN6thrust23THRUST_200600_302600_NS6detail15normal_iteratorINSC_10device_ptrIKtEEEESI_EEEEESK_NSA_INS5_IJNSE_INSF_ItEEEESM_EEEEEPS7_SP_SP_NSC_11hip_rocprim7__merge17predicate_wrapperIttNSC_7greaterItEEEEEE10hipError_tPvRmT0_T1_T2_T3_T4_T5_mmT6_P12ihipStream_tbEUlT_E0_NS1_11comp_targetILNS1_3genE10ELNS1_11target_archE1200ELNS1_3gpuE4ELNS1_3repE0EEENS1_30default_config_static_selectorELNS0_4arch9wavefront6targetE0EEEvS10_,"axG",@progbits,_ZN7rocprim17ROCPRIM_400000_NS6detail17trampoline_kernelINS0_14default_configENS1_21merge_config_selectorINS0_5tupleIJttEEENS0_10empty_typeEEEZNS1_10merge_implIS3_NS0_12zip_iteratorINS5_IJN6thrust23THRUST_200600_302600_NS6detail15normal_iteratorINSC_10device_ptrIKtEEEESI_EEEEESK_NSA_INS5_IJNSE_INSF_ItEEEESM_EEEEEPS7_SP_SP_NSC_11hip_rocprim7__merge17predicate_wrapperIttNSC_7greaterItEEEEEE10hipError_tPvRmT0_T1_T2_T3_T4_T5_mmT6_P12ihipStream_tbEUlT_E0_NS1_11comp_targetILNS1_3genE10ELNS1_11target_archE1200ELNS1_3gpuE4ELNS1_3repE0EEENS1_30default_config_static_selectorELNS0_4arch9wavefront6targetE0EEEvS10_,comdat
	.protected	_ZN7rocprim17ROCPRIM_400000_NS6detail17trampoline_kernelINS0_14default_configENS1_21merge_config_selectorINS0_5tupleIJttEEENS0_10empty_typeEEEZNS1_10merge_implIS3_NS0_12zip_iteratorINS5_IJN6thrust23THRUST_200600_302600_NS6detail15normal_iteratorINSC_10device_ptrIKtEEEESI_EEEEESK_NSA_INS5_IJNSE_INSF_ItEEEESM_EEEEEPS7_SP_SP_NSC_11hip_rocprim7__merge17predicate_wrapperIttNSC_7greaterItEEEEEE10hipError_tPvRmT0_T1_T2_T3_T4_T5_mmT6_P12ihipStream_tbEUlT_E0_NS1_11comp_targetILNS1_3genE10ELNS1_11target_archE1200ELNS1_3gpuE4ELNS1_3repE0EEENS1_30default_config_static_selectorELNS0_4arch9wavefront6targetE0EEEvS10_ ; -- Begin function _ZN7rocprim17ROCPRIM_400000_NS6detail17trampoline_kernelINS0_14default_configENS1_21merge_config_selectorINS0_5tupleIJttEEENS0_10empty_typeEEEZNS1_10merge_implIS3_NS0_12zip_iteratorINS5_IJN6thrust23THRUST_200600_302600_NS6detail15normal_iteratorINSC_10device_ptrIKtEEEESI_EEEEESK_NSA_INS5_IJNSE_INSF_ItEEEESM_EEEEEPS7_SP_SP_NSC_11hip_rocprim7__merge17predicate_wrapperIttNSC_7greaterItEEEEEE10hipError_tPvRmT0_T1_T2_T3_T4_T5_mmT6_P12ihipStream_tbEUlT_E0_NS1_11comp_targetILNS1_3genE10ELNS1_11target_archE1200ELNS1_3gpuE4ELNS1_3repE0EEENS1_30default_config_static_selectorELNS0_4arch9wavefront6targetE0EEEvS10_
	.globl	_ZN7rocprim17ROCPRIM_400000_NS6detail17trampoline_kernelINS0_14default_configENS1_21merge_config_selectorINS0_5tupleIJttEEENS0_10empty_typeEEEZNS1_10merge_implIS3_NS0_12zip_iteratorINS5_IJN6thrust23THRUST_200600_302600_NS6detail15normal_iteratorINSC_10device_ptrIKtEEEESI_EEEEESK_NSA_INS5_IJNSE_INSF_ItEEEESM_EEEEEPS7_SP_SP_NSC_11hip_rocprim7__merge17predicate_wrapperIttNSC_7greaterItEEEEEE10hipError_tPvRmT0_T1_T2_T3_T4_T5_mmT6_P12ihipStream_tbEUlT_E0_NS1_11comp_targetILNS1_3genE10ELNS1_11target_archE1200ELNS1_3gpuE4ELNS1_3repE0EEENS1_30default_config_static_selectorELNS0_4arch9wavefront6targetE0EEEvS10_
	.p2align	8
	.type	_ZN7rocprim17ROCPRIM_400000_NS6detail17trampoline_kernelINS0_14default_configENS1_21merge_config_selectorINS0_5tupleIJttEEENS0_10empty_typeEEEZNS1_10merge_implIS3_NS0_12zip_iteratorINS5_IJN6thrust23THRUST_200600_302600_NS6detail15normal_iteratorINSC_10device_ptrIKtEEEESI_EEEEESK_NSA_INS5_IJNSE_INSF_ItEEEESM_EEEEEPS7_SP_SP_NSC_11hip_rocprim7__merge17predicate_wrapperIttNSC_7greaterItEEEEEE10hipError_tPvRmT0_T1_T2_T3_T4_T5_mmT6_P12ihipStream_tbEUlT_E0_NS1_11comp_targetILNS1_3genE10ELNS1_11target_archE1200ELNS1_3gpuE4ELNS1_3repE0EEENS1_30default_config_static_selectorELNS0_4arch9wavefront6targetE0EEEvS10_,@function
_ZN7rocprim17ROCPRIM_400000_NS6detail17trampoline_kernelINS0_14default_configENS1_21merge_config_selectorINS0_5tupleIJttEEENS0_10empty_typeEEEZNS1_10merge_implIS3_NS0_12zip_iteratorINS5_IJN6thrust23THRUST_200600_302600_NS6detail15normal_iteratorINSC_10device_ptrIKtEEEESI_EEEEESK_NSA_INS5_IJNSE_INSF_ItEEEESM_EEEEEPS7_SP_SP_NSC_11hip_rocprim7__merge17predicate_wrapperIttNSC_7greaterItEEEEEE10hipError_tPvRmT0_T1_T2_T3_T4_T5_mmT6_P12ihipStream_tbEUlT_E0_NS1_11comp_targetILNS1_3genE10ELNS1_11target_archE1200ELNS1_3gpuE4ELNS1_3repE0EEENS1_30default_config_static_selectorELNS0_4arch9wavefront6targetE0EEEvS10_: ; @_ZN7rocprim17ROCPRIM_400000_NS6detail17trampoline_kernelINS0_14default_configENS1_21merge_config_selectorINS0_5tupleIJttEEENS0_10empty_typeEEEZNS1_10merge_implIS3_NS0_12zip_iteratorINS5_IJN6thrust23THRUST_200600_302600_NS6detail15normal_iteratorINSC_10device_ptrIKtEEEESI_EEEEESK_NSA_INS5_IJNSE_INSF_ItEEEESM_EEEEEPS7_SP_SP_NSC_11hip_rocprim7__merge17predicate_wrapperIttNSC_7greaterItEEEEEE10hipError_tPvRmT0_T1_T2_T3_T4_T5_mmT6_P12ihipStream_tbEUlT_E0_NS1_11comp_targetILNS1_3genE10ELNS1_11target_archE1200ELNS1_3gpuE4ELNS1_3repE0EEENS1_30default_config_static_selectorELNS0_4arch9wavefront6targetE0EEEvS10_
; %bb.0:
	.section	.rodata,"a",@progbits
	.p2align	6, 0x0
	.amdhsa_kernel _ZN7rocprim17ROCPRIM_400000_NS6detail17trampoline_kernelINS0_14default_configENS1_21merge_config_selectorINS0_5tupleIJttEEENS0_10empty_typeEEEZNS1_10merge_implIS3_NS0_12zip_iteratorINS5_IJN6thrust23THRUST_200600_302600_NS6detail15normal_iteratorINSC_10device_ptrIKtEEEESI_EEEEESK_NSA_INS5_IJNSE_INSF_ItEEEESM_EEEEEPS7_SP_SP_NSC_11hip_rocprim7__merge17predicate_wrapperIttNSC_7greaterItEEEEEE10hipError_tPvRmT0_T1_T2_T3_T4_T5_mmT6_P12ihipStream_tbEUlT_E0_NS1_11comp_targetILNS1_3genE10ELNS1_11target_archE1200ELNS1_3gpuE4ELNS1_3repE0EEENS1_30default_config_static_selectorELNS0_4arch9wavefront6targetE0EEEvS10_
		.amdhsa_group_segment_fixed_size 0
		.amdhsa_private_segment_fixed_size 0
		.amdhsa_kernarg_size 112
		.amdhsa_user_sgpr_count 2
		.amdhsa_user_sgpr_dispatch_ptr 0
		.amdhsa_user_sgpr_queue_ptr 0
		.amdhsa_user_sgpr_kernarg_segment_ptr 1
		.amdhsa_user_sgpr_dispatch_id 0
		.amdhsa_user_sgpr_kernarg_preload_length 0
		.amdhsa_user_sgpr_kernarg_preload_offset 0
		.amdhsa_user_sgpr_private_segment_size 0
		.amdhsa_wavefront_size32 1
		.amdhsa_uses_dynamic_stack 0
		.amdhsa_enable_private_segment 0
		.amdhsa_system_sgpr_workgroup_id_x 1
		.amdhsa_system_sgpr_workgroup_id_y 0
		.amdhsa_system_sgpr_workgroup_id_z 0
		.amdhsa_system_sgpr_workgroup_info 0
		.amdhsa_system_vgpr_workitem_id 0
		.amdhsa_next_free_vgpr 1
		.amdhsa_next_free_sgpr 1
		.amdhsa_named_barrier_count 0
		.amdhsa_reserve_vcc 0
		.amdhsa_float_round_mode_32 0
		.amdhsa_float_round_mode_16_64 0
		.amdhsa_float_denorm_mode_32 3
		.amdhsa_float_denorm_mode_16_64 3
		.amdhsa_fp16_overflow 0
		.amdhsa_memory_ordered 1
		.amdhsa_forward_progress 1
		.amdhsa_inst_pref_size 0
		.amdhsa_round_robin_scheduling 0
		.amdhsa_exception_fp_ieee_invalid_op 0
		.amdhsa_exception_fp_denorm_src 0
		.amdhsa_exception_fp_ieee_div_zero 0
		.amdhsa_exception_fp_ieee_overflow 0
		.amdhsa_exception_fp_ieee_underflow 0
		.amdhsa_exception_fp_ieee_inexact 0
		.amdhsa_exception_int_div_zero 0
	.end_amdhsa_kernel
	.section	.text._ZN7rocprim17ROCPRIM_400000_NS6detail17trampoline_kernelINS0_14default_configENS1_21merge_config_selectorINS0_5tupleIJttEEENS0_10empty_typeEEEZNS1_10merge_implIS3_NS0_12zip_iteratorINS5_IJN6thrust23THRUST_200600_302600_NS6detail15normal_iteratorINSC_10device_ptrIKtEEEESI_EEEEESK_NSA_INS5_IJNSE_INSF_ItEEEESM_EEEEEPS7_SP_SP_NSC_11hip_rocprim7__merge17predicate_wrapperIttNSC_7greaterItEEEEEE10hipError_tPvRmT0_T1_T2_T3_T4_T5_mmT6_P12ihipStream_tbEUlT_E0_NS1_11comp_targetILNS1_3genE10ELNS1_11target_archE1200ELNS1_3gpuE4ELNS1_3repE0EEENS1_30default_config_static_selectorELNS0_4arch9wavefront6targetE0EEEvS10_,"axG",@progbits,_ZN7rocprim17ROCPRIM_400000_NS6detail17trampoline_kernelINS0_14default_configENS1_21merge_config_selectorINS0_5tupleIJttEEENS0_10empty_typeEEEZNS1_10merge_implIS3_NS0_12zip_iteratorINS5_IJN6thrust23THRUST_200600_302600_NS6detail15normal_iteratorINSC_10device_ptrIKtEEEESI_EEEEESK_NSA_INS5_IJNSE_INSF_ItEEEESM_EEEEEPS7_SP_SP_NSC_11hip_rocprim7__merge17predicate_wrapperIttNSC_7greaterItEEEEEE10hipError_tPvRmT0_T1_T2_T3_T4_T5_mmT6_P12ihipStream_tbEUlT_E0_NS1_11comp_targetILNS1_3genE10ELNS1_11target_archE1200ELNS1_3gpuE4ELNS1_3repE0EEENS1_30default_config_static_selectorELNS0_4arch9wavefront6targetE0EEEvS10_,comdat
.Lfunc_end404:
	.size	_ZN7rocprim17ROCPRIM_400000_NS6detail17trampoline_kernelINS0_14default_configENS1_21merge_config_selectorINS0_5tupleIJttEEENS0_10empty_typeEEEZNS1_10merge_implIS3_NS0_12zip_iteratorINS5_IJN6thrust23THRUST_200600_302600_NS6detail15normal_iteratorINSC_10device_ptrIKtEEEESI_EEEEESK_NSA_INS5_IJNSE_INSF_ItEEEESM_EEEEEPS7_SP_SP_NSC_11hip_rocprim7__merge17predicate_wrapperIttNSC_7greaterItEEEEEE10hipError_tPvRmT0_T1_T2_T3_T4_T5_mmT6_P12ihipStream_tbEUlT_E0_NS1_11comp_targetILNS1_3genE10ELNS1_11target_archE1200ELNS1_3gpuE4ELNS1_3repE0EEENS1_30default_config_static_selectorELNS0_4arch9wavefront6targetE0EEEvS10_, .Lfunc_end404-_ZN7rocprim17ROCPRIM_400000_NS6detail17trampoline_kernelINS0_14default_configENS1_21merge_config_selectorINS0_5tupleIJttEEENS0_10empty_typeEEEZNS1_10merge_implIS3_NS0_12zip_iteratorINS5_IJN6thrust23THRUST_200600_302600_NS6detail15normal_iteratorINSC_10device_ptrIKtEEEESI_EEEEESK_NSA_INS5_IJNSE_INSF_ItEEEESM_EEEEEPS7_SP_SP_NSC_11hip_rocprim7__merge17predicate_wrapperIttNSC_7greaterItEEEEEE10hipError_tPvRmT0_T1_T2_T3_T4_T5_mmT6_P12ihipStream_tbEUlT_E0_NS1_11comp_targetILNS1_3genE10ELNS1_11target_archE1200ELNS1_3gpuE4ELNS1_3repE0EEENS1_30default_config_static_selectorELNS0_4arch9wavefront6targetE0EEEvS10_
                                        ; -- End function
	.set _ZN7rocprim17ROCPRIM_400000_NS6detail17trampoline_kernelINS0_14default_configENS1_21merge_config_selectorINS0_5tupleIJttEEENS0_10empty_typeEEEZNS1_10merge_implIS3_NS0_12zip_iteratorINS5_IJN6thrust23THRUST_200600_302600_NS6detail15normal_iteratorINSC_10device_ptrIKtEEEESI_EEEEESK_NSA_INS5_IJNSE_INSF_ItEEEESM_EEEEEPS7_SP_SP_NSC_11hip_rocprim7__merge17predicate_wrapperIttNSC_7greaterItEEEEEE10hipError_tPvRmT0_T1_T2_T3_T4_T5_mmT6_P12ihipStream_tbEUlT_E0_NS1_11comp_targetILNS1_3genE10ELNS1_11target_archE1200ELNS1_3gpuE4ELNS1_3repE0EEENS1_30default_config_static_selectorELNS0_4arch9wavefront6targetE0EEEvS10_.num_vgpr, 0
	.set _ZN7rocprim17ROCPRIM_400000_NS6detail17trampoline_kernelINS0_14default_configENS1_21merge_config_selectorINS0_5tupleIJttEEENS0_10empty_typeEEEZNS1_10merge_implIS3_NS0_12zip_iteratorINS5_IJN6thrust23THRUST_200600_302600_NS6detail15normal_iteratorINSC_10device_ptrIKtEEEESI_EEEEESK_NSA_INS5_IJNSE_INSF_ItEEEESM_EEEEEPS7_SP_SP_NSC_11hip_rocprim7__merge17predicate_wrapperIttNSC_7greaterItEEEEEE10hipError_tPvRmT0_T1_T2_T3_T4_T5_mmT6_P12ihipStream_tbEUlT_E0_NS1_11comp_targetILNS1_3genE10ELNS1_11target_archE1200ELNS1_3gpuE4ELNS1_3repE0EEENS1_30default_config_static_selectorELNS0_4arch9wavefront6targetE0EEEvS10_.num_agpr, 0
	.set _ZN7rocprim17ROCPRIM_400000_NS6detail17trampoline_kernelINS0_14default_configENS1_21merge_config_selectorINS0_5tupleIJttEEENS0_10empty_typeEEEZNS1_10merge_implIS3_NS0_12zip_iteratorINS5_IJN6thrust23THRUST_200600_302600_NS6detail15normal_iteratorINSC_10device_ptrIKtEEEESI_EEEEESK_NSA_INS5_IJNSE_INSF_ItEEEESM_EEEEEPS7_SP_SP_NSC_11hip_rocprim7__merge17predicate_wrapperIttNSC_7greaterItEEEEEE10hipError_tPvRmT0_T1_T2_T3_T4_T5_mmT6_P12ihipStream_tbEUlT_E0_NS1_11comp_targetILNS1_3genE10ELNS1_11target_archE1200ELNS1_3gpuE4ELNS1_3repE0EEENS1_30default_config_static_selectorELNS0_4arch9wavefront6targetE0EEEvS10_.numbered_sgpr, 0
	.set _ZN7rocprim17ROCPRIM_400000_NS6detail17trampoline_kernelINS0_14default_configENS1_21merge_config_selectorINS0_5tupleIJttEEENS0_10empty_typeEEEZNS1_10merge_implIS3_NS0_12zip_iteratorINS5_IJN6thrust23THRUST_200600_302600_NS6detail15normal_iteratorINSC_10device_ptrIKtEEEESI_EEEEESK_NSA_INS5_IJNSE_INSF_ItEEEESM_EEEEEPS7_SP_SP_NSC_11hip_rocprim7__merge17predicate_wrapperIttNSC_7greaterItEEEEEE10hipError_tPvRmT0_T1_T2_T3_T4_T5_mmT6_P12ihipStream_tbEUlT_E0_NS1_11comp_targetILNS1_3genE10ELNS1_11target_archE1200ELNS1_3gpuE4ELNS1_3repE0EEENS1_30default_config_static_selectorELNS0_4arch9wavefront6targetE0EEEvS10_.num_named_barrier, 0
	.set _ZN7rocprim17ROCPRIM_400000_NS6detail17trampoline_kernelINS0_14default_configENS1_21merge_config_selectorINS0_5tupleIJttEEENS0_10empty_typeEEEZNS1_10merge_implIS3_NS0_12zip_iteratorINS5_IJN6thrust23THRUST_200600_302600_NS6detail15normal_iteratorINSC_10device_ptrIKtEEEESI_EEEEESK_NSA_INS5_IJNSE_INSF_ItEEEESM_EEEEEPS7_SP_SP_NSC_11hip_rocprim7__merge17predicate_wrapperIttNSC_7greaterItEEEEEE10hipError_tPvRmT0_T1_T2_T3_T4_T5_mmT6_P12ihipStream_tbEUlT_E0_NS1_11comp_targetILNS1_3genE10ELNS1_11target_archE1200ELNS1_3gpuE4ELNS1_3repE0EEENS1_30default_config_static_selectorELNS0_4arch9wavefront6targetE0EEEvS10_.private_seg_size, 0
	.set _ZN7rocprim17ROCPRIM_400000_NS6detail17trampoline_kernelINS0_14default_configENS1_21merge_config_selectorINS0_5tupleIJttEEENS0_10empty_typeEEEZNS1_10merge_implIS3_NS0_12zip_iteratorINS5_IJN6thrust23THRUST_200600_302600_NS6detail15normal_iteratorINSC_10device_ptrIKtEEEESI_EEEEESK_NSA_INS5_IJNSE_INSF_ItEEEESM_EEEEEPS7_SP_SP_NSC_11hip_rocprim7__merge17predicate_wrapperIttNSC_7greaterItEEEEEE10hipError_tPvRmT0_T1_T2_T3_T4_T5_mmT6_P12ihipStream_tbEUlT_E0_NS1_11comp_targetILNS1_3genE10ELNS1_11target_archE1200ELNS1_3gpuE4ELNS1_3repE0EEENS1_30default_config_static_selectorELNS0_4arch9wavefront6targetE0EEEvS10_.uses_vcc, 0
	.set _ZN7rocprim17ROCPRIM_400000_NS6detail17trampoline_kernelINS0_14default_configENS1_21merge_config_selectorINS0_5tupleIJttEEENS0_10empty_typeEEEZNS1_10merge_implIS3_NS0_12zip_iteratorINS5_IJN6thrust23THRUST_200600_302600_NS6detail15normal_iteratorINSC_10device_ptrIKtEEEESI_EEEEESK_NSA_INS5_IJNSE_INSF_ItEEEESM_EEEEEPS7_SP_SP_NSC_11hip_rocprim7__merge17predicate_wrapperIttNSC_7greaterItEEEEEE10hipError_tPvRmT0_T1_T2_T3_T4_T5_mmT6_P12ihipStream_tbEUlT_E0_NS1_11comp_targetILNS1_3genE10ELNS1_11target_archE1200ELNS1_3gpuE4ELNS1_3repE0EEENS1_30default_config_static_selectorELNS0_4arch9wavefront6targetE0EEEvS10_.uses_flat_scratch, 0
	.set _ZN7rocprim17ROCPRIM_400000_NS6detail17trampoline_kernelINS0_14default_configENS1_21merge_config_selectorINS0_5tupleIJttEEENS0_10empty_typeEEEZNS1_10merge_implIS3_NS0_12zip_iteratorINS5_IJN6thrust23THRUST_200600_302600_NS6detail15normal_iteratorINSC_10device_ptrIKtEEEESI_EEEEESK_NSA_INS5_IJNSE_INSF_ItEEEESM_EEEEEPS7_SP_SP_NSC_11hip_rocprim7__merge17predicate_wrapperIttNSC_7greaterItEEEEEE10hipError_tPvRmT0_T1_T2_T3_T4_T5_mmT6_P12ihipStream_tbEUlT_E0_NS1_11comp_targetILNS1_3genE10ELNS1_11target_archE1200ELNS1_3gpuE4ELNS1_3repE0EEENS1_30default_config_static_selectorELNS0_4arch9wavefront6targetE0EEEvS10_.has_dyn_sized_stack, 0
	.set _ZN7rocprim17ROCPRIM_400000_NS6detail17trampoline_kernelINS0_14default_configENS1_21merge_config_selectorINS0_5tupleIJttEEENS0_10empty_typeEEEZNS1_10merge_implIS3_NS0_12zip_iteratorINS5_IJN6thrust23THRUST_200600_302600_NS6detail15normal_iteratorINSC_10device_ptrIKtEEEESI_EEEEESK_NSA_INS5_IJNSE_INSF_ItEEEESM_EEEEEPS7_SP_SP_NSC_11hip_rocprim7__merge17predicate_wrapperIttNSC_7greaterItEEEEEE10hipError_tPvRmT0_T1_T2_T3_T4_T5_mmT6_P12ihipStream_tbEUlT_E0_NS1_11comp_targetILNS1_3genE10ELNS1_11target_archE1200ELNS1_3gpuE4ELNS1_3repE0EEENS1_30default_config_static_selectorELNS0_4arch9wavefront6targetE0EEEvS10_.has_recursion, 0
	.set _ZN7rocprim17ROCPRIM_400000_NS6detail17trampoline_kernelINS0_14default_configENS1_21merge_config_selectorINS0_5tupleIJttEEENS0_10empty_typeEEEZNS1_10merge_implIS3_NS0_12zip_iteratorINS5_IJN6thrust23THRUST_200600_302600_NS6detail15normal_iteratorINSC_10device_ptrIKtEEEESI_EEEEESK_NSA_INS5_IJNSE_INSF_ItEEEESM_EEEEEPS7_SP_SP_NSC_11hip_rocprim7__merge17predicate_wrapperIttNSC_7greaterItEEEEEE10hipError_tPvRmT0_T1_T2_T3_T4_T5_mmT6_P12ihipStream_tbEUlT_E0_NS1_11comp_targetILNS1_3genE10ELNS1_11target_archE1200ELNS1_3gpuE4ELNS1_3repE0EEENS1_30default_config_static_selectorELNS0_4arch9wavefront6targetE0EEEvS10_.has_indirect_call, 0
	.section	.AMDGPU.csdata,"",@progbits
; Kernel info:
; codeLenInByte = 0
; TotalNumSgprs: 0
; NumVgprs: 0
; ScratchSize: 0
; MemoryBound: 0
; FloatMode: 240
; IeeeMode: 1
; LDSByteSize: 0 bytes/workgroup (compile time only)
; SGPRBlocks: 0
; VGPRBlocks: 0
; NumSGPRsForWavesPerEU: 1
; NumVGPRsForWavesPerEU: 1
; NamedBarCnt: 0
; Occupancy: 16
; WaveLimiterHint : 0
; COMPUTE_PGM_RSRC2:SCRATCH_EN: 0
; COMPUTE_PGM_RSRC2:USER_SGPR: 2
; COMPUTE_PGM_RSRC2:TRAP_HANDLER: 0
; COMPUTE_PGM_RSRC2:TGID_X_EN: 1
; COMPUTE_PGM_RSRC2:TGID_Y_EN: 0
; COMPUTE_PGM_RSRC2:TGID_Z_EN: 0
; COMPUTE_PGM_RSRC2:TIDIG_COMP_CNT: 0
	.section	.text._ZN7rocprim17ROCPRIM_400000_NS6detail17trampoline_kernelINS0_14default_configENS1_21merge_config_selectorINS0_5tupleIJttEEENS0_10empty_typeEEEZNS1_10merge_implIS3_NS0_12zip_iteratorINS5_IJN6thrust23THRUST_200600_302600_NS6detail15normal_iteratorINSC_10device_ptrIKtEEEESI_EEEEESK_NSA_INS5_IJNSE_INSF_ItEEEESM_EEEEEPS7_SP_SP_NSC_11hip_rocprim7__merge17predicate_wrapperIttNSC_7greaterItEEEEEE10hipError_tPvRmT0_T1_T2_T3_T4_T5_mmT6_P12ihipStream_tbEUlT_E0_NS1_11comp_targetILNS1_3genE9ELNS1_11target_archE1100ELNS1_3gpuE3ELNS1_3repE0EEENS1_30default_config_static_selectorELNS0_4arch9wavefront6targetE0EEEvS10_,"axG",@progbits,_ZN7rocprim17ROCPRIM_400000_NS6detail17trampoline_kernelINS0_14default_configENS1_21merge_config_selectorINS0_5tupleIJttEEENS0_10empty_typeEEEZNS1_10merge_implIS3_NS0_12zip_iteratorINS5_IJN6thrust23THRUST_200600_302600_NS6detail15normal_iteratorINSC_10device_ptrIKtEEEESI_EEEEESK_NSA_INS5_IJNSE_INSF_ItEEEESM_EEEEEPS7_SP_SP_NSC_11hip_rocprim7__merge17predicate_wrapperIttNSC_7greaterItEEEEEE10hipError_tPvRmT0_T1_T2_T3_T4_T5_mmT6_P12ihipStream_tbEUlT_E0_NS1_11comp_targetILNS1_3genE9ELNS1_11target_archE1100ELNS1_3gpuE3ELNS1_3repE0EEENS1_30default_config_static_selectorELNS0_4arch9wavefront6targetE0EEEvS10_,comdat
	.protected	_ZN7rocprim17ROCPRIM_400000_NS6detail17trampoline_kernelINS0_14default_configENS1_21merge_config_selectorINS0_5tupleIJttEEENS0_10empty_typeEEEZNS1_10merge_implIS3_NS0_12zip_iteratorINS5_IJN6thrust23THRUST_200600_302600_NS6detail15normal_iteratorINSC_10device_ptrIKtEEEESI_EEEEESK_NSA_INS5_IJNSE_INSF_ItEEEESM_EEEEEPS7_SP_SP_NSC_11hip_rocprim7__merge17predicate_wrapperIttNSC_7greaterItEEEEEE10hipError_tPvRmT0_T1_T2_T3_T4_T5_mmT6_P12ihipStream_tbEUlT_E0_NS1_11comp_targetILNS1_3genE9ELNS1_11target_archE1100ELNS1_3gpuE3ELNS1_3repE0EEENS1_30default_config_static_selectorELNS0_4arch9wavefront6targetE0EEEvS10_ ; -- Begin function _ZN7rocprim17ROCPRIM_400000_NS6detail17trampoline_kernelINS0_14default_configENS1_21merge_config_selectorINS0_5tupleIJttEEENS0_10empty_typeEEEZNS1_10merge_implIS3_NS0_12zip_iteratorINS5_IJN6thrust23THRUST_200600_302600_NS6detail15normal_iteratorINSC_10device_ptrIKtEEEESI_EEEEESK_NSA_INS5_IJNSE_INSF_ItEEEESM_EEEEEPS7_SP_SP_NSC_11hip_rocprim7__merge17predicate_wrapperIttNSC_7greaterItEEEEEE10hipError_tPvRmT0_T1_T2_T3_T4_T5_mmT6_P12ihipStream_tbEUlT_E0_NS1_11comp_targetILNS1_3genE9ELNS1_11target_archE1100ELNS1_3gpuE3ELNS1_3repE0EEENS1_30default_config_static_selectorELNS0_4arch9wavefront6targetE0EEEvS10_
	.globl	_ZN7rocprim17ROCPRIM_400000_NS6detail17trampoline_kernelINS0_14default_configENS1_21merge_config_selectorINS0_5tupleIJttEEENS0_10empty_typeEEEZNS1_10merge_implIS3_NS0_12zip_iteratorINS5_IJN6thrust23THRUST_200600_302600_NS6detail15normal_iteratorINSC_10device_ptrIKtEEEESI_EEEEESK_NSA_INS5_IJNSE_INSF_ItEEEESM_EEEEEPS7_SP_SP_NSC_11hip_rocprim7__merge17predicate_wrapperIttNSC_7greaterItEEEEEE10hipError_tPvRmT0_T1_T2_T3_T4_T5_mmT6_P12ihipStream_tbEUlT_E0_NS1_11comp_targetILNS1_3genE9ELNS1_11target_archE1100ELNS1_3gpuE3ELNS1_3repE0EEENS1_30default_config_static_selectorELNS0_4arch9wavefront6targetE0EEEvS10_
	.p2align	8
	.type	_ZN7rocprim17ROCPRIM_400000_NS6detail17trampoline_kernelINS0_14default_configENS1_21merge_config_selectorINS0_5tupleIJttEEENS0_10empty_typeEEEZNS1_10merge_implIS3_NS0_12zip_iteratorINS5_IJN6thrust23THRUST_200600_302600_NS6detail15normal_iteratorINSC_10device_ptrIKtEEEESI_EEEEESK_NSA_INS5_IJNSE_INSF_ItEEEESM_EEEEEPS7_SP_SP_NSC_11hip_rocprim7__merge17predicate_wrapperIttNSC_7greaterItEEEEEE10hipError_tPvRmT0_T1_T2_T3_T4_T5_mmT6_P12ihipStream_tbEUlT_E0_NS1_11comp_targetILNS1_3genE9ELNS1_11target_archE1100ELNS1_3gpuE3ELNS1_3repE0EEENS1_30default_config_static_selectorELNS0_4arch9wavefront6targetE0EEEvS10_,@function
_ZN7rocprim17ROCPRIM_400000_NS6detail17trampoline_kernelINS0_14default_configENS1_21merge_config_selectorINS0_5tupleIJttEEENS0_10empty_typeEEEZNS1_10merge_implIS3_NS0_12zip_iteratorINS5_IJN6thrust23THRUST_200600_302600_NS6detail15normal_iteratorINSC_10device_ptrIKtEEEESI_EEEEESK_NSA_INS5_IJNSE_INSF_ItEEEESM_EEEEEPS7_SP_SP_NSC_11hip_rocprim7__merge17predicate_wrapperIttNSC_7greaterItEEEEEE10hipError_tPvRmT0_T1_T2_T3_T4_T5_mmT6_P12ihipStream_tbEUlT_E0_NS1_11comp_targetILNS1_3genE9ELNS1_11target_archE1100ELNS1_3gpuE3ELNS1_3repE0EEENS1_30default_config_static_selectorELNS0_4arch9wavefront6targetE0EEEvS10_: ; @_ZN7rocprim17ROCPRIM_400000_NS6detail17trampoline_kernelINS0_14default_configENS1_21merge_config_selectorINS0_5tupleIJttEEENS0_10empty_typeEEEZNS1_10merge_implIS3_NS0_12zip_iteratorINS5_IJN6thrust23THRUST_200600_302600_NS6detail15normal_iteratorINSC_10device_ptrIKtEEEESI_EEEEESK_NSA_INS5_IJNSE_INSF_ItEEEESM_EEEEEPS7_SP_SP_NSC_11hip_rocprim7__merge17predicate_wrapperIttNSC_7greaterItEEEEEE10hipError_tPvRmT0_T1_T2_T3_T4_T5_mmT6_P12ihipStream_tbEUlT_E0_NS1_11comp_targetILNS1_3genE9ELNS1_11target_archE1100ELNS1_3gpuE3ELNS1_3repE0EEENS1_30default_config_static_selectorELNS0_4arch9wavefront6targetE0EEEvS10_
; %bb.0:
	.section	.rodata,"a",@progbits
	.p2align	6, 0x0
	.amdhsa_kernel _ZN7rocprim17ROCPRIM_400000_NS6detail17trampoline_kernelINS0_14default_configENS1_21merge_config_selectorINS0_5tupleIJttEEENS0_10empty_typeEEEZNS1_10merge_implIS3_NS0_12zip_iteratorINS5_IJN6thrust23THRUST_200600_302600_NS6detail15normal_iteratorINSC_10device_ptrIKtEEEESI_EEEEESK_NSA_INS5_IJNSE_INSF_ItEEEESM_EEEEEPS7_SP_SP_NSC_11hip_rocprim7__merge17predicate_wrapperIttNSC_7greaterItEEEEEE10hipError_tPvRmT0_T1_T2_T3_T4_T5_mmT6_P12ihipStream_tbEUlT_E0_NS1_11comp_targetILNS1_3genE9ELNS1_11target_archE1100ELNS1_3gpuE3ELNS1_3repE0EEENS1_30default_config_static_selectorELNS0_4arch9wavefront6targetE0EEEvS10_
		.amdhsa_group_segment_fixed_size 0
		.amdhsa_private_segment_fixed_size 0
		.amdhsa_kernarg_size 112
		.amdhsa_user_sgpr_count 2
		.amdhsa_user_sgpr_dispatch_ptr 0
		.amdhsa_user_sgpr_queue_ptr 0
		.amdhsa_user_sgpr_kernarg_segment_ptr 1
		.amdhsa_user_sgpr_dispatch_id 0
		.amdhsa_user_sgpr_kernarg_preload_length 0
		.amdhsa_user_sgpr_kernarg_preload_offset 0
		.amdhsa_user_sgpr_private_segment_size 0
		.amdhsa_wavefront_size32 1
		.amdhsa_uses_dynamic_stack 0
		.amdhsa_enable_private_segment 0
		.amdhsa_system_sgpr_workgroup_id_x 1
		.amdhsa_system_sgpr_workgroup_id_y 0
		.amdhsa_system_sgpr_workgroup_id_z 0
		.amdhsa_system_sgpr_workgroup_info 0
		.amdhsa_system_vgpr_workitem_id 0
		.amdhsa_next_free_vgpr 1
		.amdhsa_next_free_sgpr 1
		.amdhsa_named_barrier_count 0
		.amdhsa_reserve_vcc 0
		.amdhsa_float_round_mode_32 0
		.amdhsa_float_round_mode_16_64 0
		.amdhsa_float_denorm_mode_32 3
		.amdhsa_float_denorm_mode_16_64 3
		.amdhsa_fp16_overflow 0
		.amdhsa_memory_ordered 1
		.amdhsa_forward_progress 1
		.amdhsa_inst_pref_size 0
		.amdhsa_round_robin_scheduling 0
		.amdhsa_exception_fp_ieee_invalid_op 0
		.amdhsa_exception_fp_denorm_src 0
		.amdhsa_exception_fp_ieee_div_zero 0
		.amdhsa_exception_fp_ieee_overflow 0
		.amdhsa_exception_fp_ieee_underflow 0
		.amdhsa_exception_fp_ieee_inexact 0
		.amdhsa_exception_int_div_zero 0
	.end_amdhsa_kernel
	.section	.text._ZN7rocprim17ROCPRIM_400000_NS6detail17trampoline_kernelINS0_14default_configENS1_21merge_config_selectorINS0_5tupleIJttEEENS0_10empty_typeEEEZNS1_10merge_implIS3_NS0_12zip_iteratorINS5_IJN6thrust23THRUST_200600_302600_NS6detail15normal_iteratorINSC_10device_ptrIKtEEEESI_EEEEESK_NSA_INS5_IJNSE_INSF_ItEEEESM_EEEEEPS7_SP_SP_NSC_11hip_rocprim7__merge17predicate_wrapperIttNSC_7greaterItEEEEEE10hipError_tPvRmT0_T1_T2_T3_T4_T5_mmT6_P12ihipStream_tbEUlT_E0_NS1_11comp_targetILNS1_3genE9ELNS1_11target_archE1100ELNS1_3gpuE3ELNS1_3repE0EEENS1_30default_config_static_selectorELNS0_4arch9wavefront6targetE0EEEvS10_,"axG",@progbits,_ZN7rocprim17ROCPRIM_400000_NS6detail17trampoline_kernelINS0_14default_configENS1_21merge_config_selectorINS0_5tupleIJttEEENS0_10empty_typeEEEZNS1_10merge_implIS3_NS0_12zip_iteratorINS5_IJN6thrust23THRUST_200600_302600_NS6detail15normal_iteratorINSC_10device_ptrIKtEEEESI_EEEEESK_NSA_INS5_IJNSE_INSF_ItEEEESM_EEEEEPS7_SP_SP_NSC_11hip_rocprim7__merge17predicate_wrapperIttNSC_7greaterItEEEEEE10hipError_tPvRmT0_T1_T2_T3_T4_T5_mmT6_P12ihipStream_tbEUlT_E0_NS1_11comp_targetILNS1_3genE9ELNS1_11target_archE1100ELNS1_3gpuE3ELNS1_3repE0EEENS1_30default_config_static_selectorELNS0_4arch9wavefront6targetE0EEEvS10_,comdat
.Lfunc_end405:
	.size	_ZN7rocprim17ROCPRIM_400000_NS6detail17trampoline_kernelINS0_14default_configENS1_21merge_config_selectorINS0_5tupleIJttEEENS0_10empty_typeEEEZNS1_10merge_implIS3_NS0_12zip_iteratorINS5_IJN6thrust23THRUST_200600_302600_NS6detail15normal_iteratorINSC_10device_ptrIKtEEEESI_EEEEESK_NSA_INS5_IJNSE_INSF_ItEEEESM_EEEEEPS7_SP_SP_NSC_11hip_rocprim7__merge17predicate_wrapperIttNSC_7greaterItEEEEEE10hipError_tPvRmT0_T1_T2_T3_T4_T5_mmT6_P12ihipStream_tbEUlT_E0_NS1_11comp_targetILNS1_3genE9ELNS1_11target_archE1100ELNS1_3gpuE3ELNS1_3repE0EEENS1_30default_config_static_selectorELNS0_4arch9wavefront6targetE0EEEvS10_, .Lfunc_end405-_ZN7rocprim17ROCPRIM_400000_NS6detail17trampoline_kernelINS0_14default_configENS1_21merge_config_selectorINS0_5tupleIJttEEENS0_10empty_typeEEEZNS1_10merge_implIS3_NS0_12zip_iteratorINS5_IJN6thrust23THRUST_200600_302600_NS6detail15normal_iteratorINSC_10device_ptrIKtEEEESI_EEEEESK_NSA_INS5_IJNSE_INSF_ItEEEESM_EEEEEPS7_SP_SP_NSC_11hip_rocprim7__merge17predicate_wrapperIttNSC_7greaterItEEEEEE10hipError_tPvRmT0_T1_T2_T3_T4_T5_mmT6_P12ihipStream_tbEUlT_E0_NS1_11comp_targetILNS1_3genE9ELNS1_11target_archE1100ELNS1_3gpuE3ELNS1_3repE0EEENS1_30default_config_static_selectorELNS0_4arch9wavefront6targetE0EEEvS10_
                                        ; -- End function
	.set _ZN7rocprim17ROCPRIM_400000_NS6detail17trampoline_kernelINS0_14default_configENS1_21merge_config_selectorINS0_5tupleIJttEEENS0_10empty_typeEEEZNS1_10merge_implIS3_NS0_12zip_iteratorINS5_IJN6thrust23THRUST_200600_302600_NS6detail15normal_iteratorINSC_10device_ptrIKtEEEESI_EEEEESK_NSA_INS5_IJNSE_INSF_ItEEEESM_EEEEEPS7_SP_SP_NSC_11hip_rocprim7__merge17predicate_wrapperIttNSC_7greaterItEEEEEE10hipError_tPvRmT0_T1_T2_T3_T4_T5_mmT6_P12ihipStream_tbEUlT_E0_NS1_11comp_targetILNS1_3genE9ELNS1_11target_archE1100ELNS1_3gpuE3ELNS1_3repE0EEENS1_30default_config_static_selectorELNS0_4arch9wavefront6targetE0EEEvS10_.num_vgpr, 0
	.set _ZN7rocprim17ROCPRIM_400000_NS6detail17trampoline_kernelINS0_14default_configENS1_21merge_config_selectorINS0_5tupleIJttEEENS0_10empty_typeEEEZNS1_10merge_implIS3_NS0_12zip_iteratorINS5_IJN6thrust23THRUST_200600_302600_NS6detail15normal_iteratorINSC_10device_ptrIKtEEEESI_EEEEESK_NSA_INS5_IJNSE_INSF_ItEEEESM_EEEEEPS7_SP_SP_NSC_11hip_rocprim7__merge17predicate_wrapperIttNSC_7greaterItEEEEEE10hipError_tPvRmT0_T1_T2_T3_T4_T5_mmT6_P12ihipStream_tbEUlT_E0_NS1_11comp_targetILNS1_3genE9ELNS1_11target_archE1100ELNS1_3gpuE3ELNS1_3repE0EEENS1_30default_config_static_selectorELNS0_4arch9wavefront6targetE0EEEvS10_.num_agpr, 0
	.set _ZN7rocprim17ROCPRIM_400000_NS6detail17trampoline_kernelINS0_14default_configENS1_21merge_config_selectorINS0_5tupleIJttEEENS0_10empty_typeEEEZNS1_10merge_implIS3_NS0_12zip_iteratorINS5_IJN6thrust23THRUST_200600_302600_NS6detail15normal_iteratorINSC_10device_ptrIKtEEEESI_EEEEESK_NSA_INS5_IJNSE_INSF_ItEEEESM_EEEEEPS7_SP_SP_NSC_11hip_rocprim7__merge17predicate_wrapperIttNSC_7greaterItEEEEEE10hipError_tPvRmT0_T1_T2_T3_T4_T5_mmT6_P12ihipStream_tbEUlT_E0_NS1_11comp_targetILNS1_3genE9ELNS1_11target_archE1100ELNS1_3gpuE3ELNS1_3repE0EEENS1_30default_config_static_selectorELNS0_4arch9wavefront6targetE0EEEvS10_.numbered_sgpr, 0
	.set _ZN7rocprim17ROCPRIM_400000_NS6detail17trampoline_kernelINS0_14default_configENS1_21merge_config_selectorINS0_5tupleIJttEEENS0_10empty_typeEEEZNS1_10merge_implIS3_NS0_12zip_iteratorINS5_IJN6thrust23THRUST_200600_302600_NS6detail15normal_iteratorINSC_10device_ptrIKtEEEESI_EEEEESK_NSA_INS5_IJNSE_INSF_ItEEEESM_EEEEEPS7_SP_SP_NSC_11hip_rocprim7__merge17predicate_wrapperIttNSC_7greaterItEEEEEE10hipError_tPvRmT0_T1_T2_T3_T4_T5_mmT6_P12ihipStream_tbEUlT_E0_NS1_11comp_targetILNS1_3genE9ELNS1_11target_archE1100ELNS1_3gpuE3ELNS1_3repE0EEENS1_30default_config_static_selectorELNS0_4arch9wavefront6targetE0EEEvS10_.num_named_barrier, 0
	.set _ZN7rocprim17ROCPRIM_400000_NS6detail17trampoline_kernelINS0_14default_configENS1_21merge_config_selectorINS0_5tupleIJttEEENS0_10empty_typeEEEZNS1_10merge_implIS3_NS0_12zip_iteratorINS5_IJN6thrust23THRUST_200600_302600_NS6detail15normal_iteratorINSC_10device_ptrIKtEEEESI_EEEEESK_NSA_INS5_IJNSE_INSF_ItEEEESM_EEEEEPS7_SP_SP_NSC_11hip_rocprim7__merge17predicate_wrapperIttNSC_7greaterItEEEEEE10hipError_tPvRmT0_T1_T2_T3_T4_T5_mmT6_P12ihipStream_tbEUlT_E0_NS1_11comp_targetILNS1_3genE9ELNS1_11target_archE1100ELNS1_3gpuE3ELNS1_3repE0EEENS1_30default_config_static_selectorELNS0_4arch9wavefront6targetE0EEEvS10_.private_seg_size, 0
	.set _ZN7rocprim17ROCPRIM_400000_NS6detail17trampoline_kernelINS0_14default_configENS1_21merge_config_selectorINS0_5tupleIJttEEENS0_10empty_typeEEEZNS1_10merge_implIS3_NS0_12zip_iteratorINS5_IJN6thrust23THRUST_200600_302600_NS6detail15normal_iteratorINSC_10device_ptrIKtEEEESI_EEEEESK_NSA_INS5_IJNSE_INSF_ItEEEESM_EEEEEPS7_SP_SP_NSC_11hip_rocprim7__merge17predicate_wrapperIttNSC_7greaterItEEEEEE10hipError_tPvRmT0_T1_T2_T3_T4_T5_mmT6_P12ihipStream_tbEUlT_E0_NS1_11comp_targetILNS1_3genE9ELNS1_11target_archE1100ELNS1_3gpuE3ELNS1_3repE0EEENS1_30default_config_static_selectorELNS0_4arch9wavefront6targetE0EEEvS10_.uses_vcc, 0
	.set _ZN7rocprim17ROCPRIM_400000_NS6detail17trampoline_kernelINS0_14default_configENS1_21merge_config_selectorINS0_5tupleIJttEEENS0_10empty_typeEEEZNS1_10merge_implIS3_NS0_12zip_iteratorINS5_IJN6thrust23THRUST_200600_302600_NS6detail15normal_iteratorINSC_10device_ptrIKtEEEESI_EEEEESK_NSA_INS5_IJNSE_INSF_ItEEEESM_EEEEEPS7_SP_SP_NSC_11hip_rocprim7__merge17predicate_wrapperIttNSC_7greaterItEEEEEE10hipError_tPvRmT0_T1_T2_T3_T4_T5_mmT6_P12ihipStream_tbEUlT_E0_NS1_11comp_targetILNS1_3genE9ELNS1_11target_archE1100ELNS1_3gpuE3ELNS1_3repE0EEENS1_30default_config_static_selectorELNS0_4arch9wavefront6targetE0EEEvS10_.uses_flat_scratch, 0
	.set _ZN7rocprim17ROCPRIM_400000_NS6detail17trampoline_kernelINS0_14default_configENS1_21merge_config_selectorINS0_5tupleIJttEEENS0_10empty_typeEEEZNS1_10merge_implIS3_NS0_12zip_iteratorINS5_IJN6thrust23THRUST_200600_302600_NS6detail15normal_iteratorINSC_10device_ptrIKtEEEESI_EEEEESK_NSA_INS5_IJNSE_INSF_ItEEEESM_EEEEEPS7_SP_SP_NSC_11hip_rocprim7__merge17predicate_wrapperIttNSC_7greaterItEEEEEE10hipError_tPvRmT0_T1_T2_T3_T4_T5_mmT6_P12ihipStream_tbEUlT_E0_NS1_11comp_targetILNS1_3genE9ELNS1_11target_archE1100ELNS1_3gpuE3ELNS1_3repE0EEENS1_30default_config_static_selectorELNS0_4arch9wavefront6targetE0EEEvS10_.has_dyn_sized_stack, 0
	.set _ZN7rocprim17ROCPRIM_400000_NS6detail17trampoline_kernelINS0_14default_configENS1_21merge_config_selectorINS0_5tupleIJttEEENS0_10empty_typeEEEZNS1_10merge_implIS3_NS0_12zip_iteratorINS5_IJN6thrust23THRUST_200600_302600_NS6detail15normal_iteratorINSC_10device_ptrIKtEEEESI_EEEEESK_NSA_INS5_IJNSE_INSF_ItEEEESM_EEEEEPS7_SP_SP_NSC_11hip_rocprim7__merge17predicate_wrapperIttNSC_7greaterItEEEEEE10hipError_tPvRmT0_T1_T2_T3_T4_T5_mmT6_P12ihipStream_tbEUlT_E0_NS1_11comp_targetILNS1_3genE9ELNS1_11target_archE1100ELNS1_3gpuE3ELNS1_3repE0EEENS1_30default_config_static_selectorELNS0_4arch9wavefront6targetE0EEEvS10_.has_recursion, 0
	.set _ZN7rocprim17ROCPRIM_400000_NS6detail17trampoline_kernelINS0_14default_configENS1_21merge_config_selectorINS0_5tupleIJttEEENS0_10empty_typeEEEZNS1_10merge_implIS3_NS0_12zip_iteratorINS5_IJN6thrust23THRUST_200600_302600_NS6detail15normal_iteratorINSC_10device_ptrIKtEEEESI_EEEEESK_NSA_INS5_IJNSE_INSF_ItEEEESM_EEEEEPS7_SP_SP_NSC_11hip_rocprim7__merge17predicate_wrapperIttNSC_7greaterItEEEEEE10hipError_tPvRmT0_T1_T2_T3_T4_T5_mmT6_P12ihipStream_tbEUlT_E0_NS1_11comp_targetILNS1_3genE9ELNS1_11target_archE1100ELNS1_3gpuE3ELNS1_3repE0EEENS1_30default_config_static_selectorELNS0_4arch9wavefront6targetE0EEEvS10_.has_indirect_call, 0
	.section	.AMDGPU.csdata,"",@progbits
; Kernel info:
; codeLenInByte = 0
; TotalNumSgprs: 0
; NumVgprs: 0
; ScratchSize: 0
; MemoryBound: 0
; FloatMode: 240
; IeeeMode: 1
; LDSByteSize: 0 bytes/workgroup (compile time only)
; SGPRBlocks: 0
; VGPRBlocks: 0
; NumSGPRsForWavesPerEU: 1
; NumVGPRsForWavesPerEU: 1
; NamedBarCnt: 0
; Occupancy: 16
; WaveLimiterHint : 0
; COMPUTE_PGM_RSRC2:SCRATCH_EN: 0
; COMPUTE_PGM_RSRC2:USER_SGPR: 2
; COMPUTE_PGM_RSRC2:TRAP_HANDLER: 0
; COMPUTE_PGM_RSRC2:TGID_X_EN: 1
; COMPUTE_PGM_RSRC2:TGID_Y_EN: 0
; COMPUTE_PGM_RSRC2:TGID_Z_EN: 0
; COMPUTE_PGM_RSRC2:TIDIG_COMP_CNT: 0
	.section	.text._ZN7rocprim17ROCPRIM_400000_NS6detail17trampoline_kernelINS0_14default_configENS1_21merge_config_selectorINS0_5tupleIJttEEENS0_10empty_typeEEEZNS1_10merge_implIS3_NS0_12zip_iteratorINS5_IJN6thrust23THRUST_200600_302600_NS6detail15normal_iteratorINSC_10device_ptrIKtEEEESI_EEEEESK_NSA_INS5_IJNSE_INSF_ItEEEESM_EEEEEPS7_SP_SP_NSC_11hip_rocprim7__merge17predicate_wrapperIttNSC_7greaterItEEEEEE10hipError_tPvRmT0_T1_T2_T3_T4_T5_mmT6_P12ihipStream_tbEUlT_E0_NS1_11comp_targetILNS1_3genE8ELNS1_11target_archE1030ELNS1_3gpuE2ELNS1_3repE0EEENS1_30default_config_static_selectorELNS0_4arch9wavefront6targetE0EEEvS10_,"axG",@progbits,_ZN7rocprim17ROCPRIM_400000_NS6detail17trampoline_kernelINS0_14default_configENS1_21merge_config_selectorINS0_5tupleIJttEEENS0_10empty_typeEEEZNS1_10merge_implIS3_NS0_12zip_iteratorINS5_IJN6thrust23THRUST_200600_302600_NS6detail15normal_iteratorINSC_10device_ptrIKtEEEESI_EEEEESK_NSA_INS5_IJNSE_INSF_ItEEEESM_EEEEEPS7_SP_SP_NSC_11hip_rocprim7__merge17predicate_wrapperIttNSC_7greaterItEEEEEE10hipError_tPvRmT0_T1_T2_T3_T4_T5_mmT6_P12ihipStream_tbEUlT_E0_NS1_11comp_targetILNS1_3genE8ELNS1_11target_archE1030ELNS1_3gpuE2ELNS1_3repE0EEENS1_30default_config_static_selectorELNS0_4arch9wavefront6targetE0EEEvS10_,comdat
	.protected	_ZN7rocprim17ROCPRIM_400000_NS6detail17trampoline_kernelINS0_14default_configENS1_21merge_config_selectorINS0_5tupleIJttEEENS0_10empty_typeEEEZNS1_10merge_implIS3_NS0_12zip_iteratorINS5_IJN6thrust23THRUST_200600_302600_NS6detail15normal_iteratorINSC_10device_ptrIKtEEEESI_EEEEESK_NSA_INS5_IJNSE_INSF_ItEEEESM_EEEEEPS7_SP_SP_NSC_11hip_rocprim7__merge17predicate_wrapperIttNSC_7greaterItEEEEEE10hipError_tPvRmT0_T1_T2_T3_T4_T5_mmT6_P12ihipStream_tbEUlT_E0_NS1_11comp_targetILNS1_3genE8ELNS1_11target_archE1030ELNS1_3gpuE2ELNS1_3repE0EEENS1_30default_config_static_selectorELNS0_4arch9wavefront6targetE0EEEvS10_ ; -- Begin function _ZN7rocprim17ROCPRIM_400000_NS6detail17trampoline_kernelINS0_14default_configENS1_21merge_config_selectorINS0_5tupleIJttEEENS0_10empty_typeEEEZNS1_10merge_implIS3_NS0_12zip_iteratorINS5_IJN6thrust23THRUST_200600_302600_NS6detail15normal_iteratorINSC_10device_ptrIKtEEEESI_EEEEESK_NSA_INS5_IJNSE_INSF_ItEEEESM_EEEEEPS7_SP_SP_NSC_11hip_rocprim7__merge17predicate_wrapperIttNSC_7greaterItEEEEEE10hipError_tPvRmT0_T1_T2_T3_T4_T5_mmT6_P12ihipStream_tbEUlT_E0_NS1_11comp_targetILNS1_3genE8ELNS1_11target_archE1030ELNS1_3gpuE2ELNS1_3repE0EEENS1_30default_config_static_selectorELNS0_4arch9wavefront6targetE0EEEvS10_
	.globl	_ZN7rocprim17ROCPRIM_400000_NS6detail17trampoline_kernelINS0_14default_configENS1_21merge_config_selectorINS0_5tupleIJttEEENS0_10empty_typeEEEZNS1_10merge_implIS3_NS0_12zip_iteratorINS5_IJN6thrust23THRUST_200600_302600_NS6detail15normal_iteratorINSC_10device_ptrIKtEEEESI_EEEEESK_NSA_INS5_IJNSE_INSF_ItEEEESM_EEEEEPS7_SP_SP_NSC_11hip_rocprim7__merge17predicate_wrapperIttNSC_7greaterItEEEEEE10hipError_tPvRmT0_T1_T2_T3_T4_T5_mmT6_P12ihipStream_tbEUlT_E0_NS1_11comp_targetILNS1_3genE8ELNS1_11target_archE1030ELNS1_3gpuE2ELNS1_3repE0EEENS1_30default_config_static_selectorELNS0_4arch9wavefront6targetE0EEEvS10_
	.p2align	8
	.type	_ZN7rocprim17ROCPRIM_400000_NS6detail17trampoline_kernelINS0_14default_configENS1_21merge_config_selectorINS0_5tupleIJttEEENS0_10empty_typeEEEZNS1_10merge_implIS3_NS0_12zip_iteratorINS5_IJN6thrust23THRUST_200600_302600_NS6detail15normal_iteratorINSC_10device_ptrIKtEEEESI_EEEEESK_NSA_INS5_IJNSE_INSF_ItEEEESM_EEEEEPS7_SP_SP_NSC_11hip_rocprim7__merge17predicate_wrapperIttNSC_7greaterItEEEEEE10hipError_tPvRmT0_T1_T2_T3_T4_T5_mmT6_P12ihipStream_tbEUlT_E0_NS1_11comp_targetILNS1_3genE8ELNS1_11target_archE1030ELNS1_3gpuE2ELNS1_3repE0EEENS1_30default_config_static_selectorELNS0_4arch9wavefront6targetE0EEEvS10_,@function
_ZN7rocprim17ROCPRIM_400000_NS6detail17trampoline_kernelINS0_14default_configENS1_21merge_config_selectorINS0_5tupleIJttEEENS0_10empty_typeEEEZNS1_10merge_implIS3_NS0_12zip_iteratorINS5_IJN6thrust23THRUST_200600_302600_NS6detail15normal_iteratorINSC_10device_ptrIKtEEEESI_EEEEESK_NSA_INS5_IJNSE_INSF_ItEEEESM_EEEEEPS7_SP_SP_NSC_11hip_rocprim7__merge17predicate_wrapperIttNSC_7greaterItEEEEEE10hipError_tPvRmT0_T1_T2_T3_T4_T5_mmT6_P12ihipStream_tbEUlT_E0_NS1_11comp_targetILNS1_3genE8ELNS1_11target_archE1030ELNS1_3gpuE2ELNS1_3repE0EEENS1_30default_config_static_selectorELNS0_4arch9wavefront6targetE0EEEvS10_: ; @_ZN7rocprim17ROCPRIM_400000_NS6detail17trampoline_kernelINS0_14default_configENS1_21merge_config_selectorINS0_5tupleIJttEEENS0_10empty_typeEEEZNS1_10merge_implIS3_NS0_12zip_iteratorINS5_IJN6thrust23THRUST_200600_302600_NS6detail15normal_iteratorINSC_10device_ptrIKtEEEESI_EEEEESK_NSA_INS5_IJNSE_INSF_ItEEEESM_EEEEEPS7_SP_SP_NSC_11hip_rocprim7__merge17predicate_wrapperIttNSC_7greaterItEEEEEE10hipError_tPvRmT0_T1_T2_T3_T4_T5_mmT6_P12ihipStream_tbEUlT_E0_NS1_11comp_targetILNS1_3genE8ELNS1_11target_archE1030ELNS1_3gpuE2ELNS1_3repE0EEENS1_30default_config_static_selectorELNS0_4arch9wavefront6targetE0EEEvS10_
; %bb.0:
	.section	.rodata,"a",@progbits
	.p2align	6, 0x0
	.amdhsa_kernel _ZN7rocprim17ROCPRIM_400000_NS6detail17trampoline_kernelINS0_14default_configENS1_21merge_config_selectorINS0_5tupleIJttEEENS0_10empty_typeEEEZNS1_10merge_implIS3_NS0_12zip_iteratorINS5_IJN6thrust23THRUST_200600_302600_NS6detail15normal_iteratorINSC_10device_ptrIKtEEEESI_EEEEESK_NSA_INS5_IJNSE_INSF_ItEEEESM_EEEEEPS7_SP_SP_NSC_11hip_rocprim7__merge17predicate_wrapperIttNSC_7greaterItEEEEEE10hipError_tPvRmT0_T1_T2_T3_T4_T5_mmT6_P12ihipStream_tbEUlT_E0_NS1_11comp_targetILNS1_3genE8ELNS1_11target_archE1030ELNS1_3gpuE2ELNS1_3repE0EEENS1_30default_config_static_selectorELNS0_4arch9wavefront6targetE0EEEvS10_
		.amdhsa_group_segment_fixed_size 0
		.amdhsa_private_segment_fixed_size 0
		.amdhsa_kernarg_size 112
		.amdhsa_user_sgpr_count 2
		.amdhsa_user_sgpr_dispatch_ptr 0
		.amdhsa_user_sgpr_queue_ptr 0
		.amdhsa_user_sgpr_kernarg_segment_ptr 1
		.amdhsa_user_sgpr_dispatch_id 0
		.amdhsa_user_sgpr_kernarg_preload_length 0
		.amdhsa_user_sgpr_kernarg_preload_offset 0
		.amdhsa_user_sgpr_private_segment_size 0
		.amdhsa_wavefront_size32 1
		.amdhsa_uses_dynamic_stack 0
		.amdhsa_enable_private_segment 0
		.amdhsa_system_sgpr_workgroup_id_x 1
		.amdhsa_system_sgpr_workgroup_id_y 0
		.amdhsa_system_sgpr_workgroup_id_z 0
		.amdhsa_system_sgpr_workgroup_info 0
		.amdhsa_system_vgpr_workitem_id 0
		.amdhsa_next_free_vgpr 1
		.amdhsa_next_free_sgpr 1
		.amdhsa_named_barrier_count 0
		.amdhsa_reserve_vcc 0
		.amdhsa_float_round_mode_32 0
		.amdhsa_float_round_mode_16_64 0
		.amdhsa_float_denorm_mode_32 3
		.amdhsa_float_denorm_mode_16_64 3
		.amdhsa_fp16_overflow 0
		.amdhsa_memory_ordered 1
		.amdhsa_forward_progress 1
		.amdhsa_inst_pref_size 0
		.amdhsa_round_robin_scheduling 0
		.amdhsa_exception_fp_ieee_invalid_op 0
		.amdhsa_exception_fp_denorm_src 0
		.amdhsa_exception_fp_ieee_div_zero 0
		.amdhsa_exception_fp_ieee_overflow 0
		.amdhsa_exception_fp_ieee_underflow 0
		.amdhsa_exception_fp_ieee_inexact 0
		.amdhsa_exception_int_div_zero 0
	.end_amdhsa_kernel
	.section	.text._ZN7rocprim17ROCPRIM_400000_NS6detail17trampoline_kernelINS0_14default_configENS1_21merge_config_selectorINS0_5tupleIJttEEENS0_10empty_typeEEEZNS1_10merge_implIS3_NS0_12zip_iteratorINS5_IJN6thrust23THRUST_200600_302600_NS6detail15normal_iteratorINSC_10device_ptrIKtEEEESI_EEEEESK_NSA_INS5_IJNSE_INSF_ItEEEESM_EEEEEPS7_SP_SP_NSC_11hip_rocprim7__merge17predicate_wrapperIttNSC_7greaterItEEEEEE10hipError_tPvRmT0_T1_T2_T3_T4_T5_mmT6_P12ihipStream_tbEUlT_E0_NS1_11comp_targetILNS1_3genE8ELNS1_11target_archE1030ELNS1_3gpuE2ELNS1_3repE0EEENS1_30default_config_static_selectorELNS0_4arch9wavefront6targetE0EEEvS10_,"axG",@progbits,_ZN7rocprim17ROCPRIM_400000_NS6detail17trampoline_kernelINS0_14default_configENS1_21merge_config_selectorINS0_5tupleIJttEEENS0_10empty_typeEEEZNS1_10merge_implIS3_NS0_12zip_iteratorINS5_IJN6thrust23THRUST_200600_302600_NS6detail15normal_iteratorINSC_10device_ptrIKtEEEESI_EEEEESK_NSA_INS5_IJNSE_INSF_ItEEEESM_EEEEEPS7_SP_SP_NSC_11hip_rocprim7__merge17predicate_wrapperIttNSC_7greaterItEEEEEE10hipError_tPvRmT0_T1_T2_T3_T4_T5_mmT6_P12ihipStream_tbEUlT_E0_NS1_11comp_targetILNS1_3genE8ELNS1_11target_archE1030ELNS1_3gpuE2ELNS1_3repE0EEENS1_30default_config_static_selectorELNS0_4arch9wavefront6targetE0EEEvS10_,comdat
.Lfunc_end406:
	.size	_ZN7rocprim17ROCPRIM_400000_NS6detail17trampoline_kernelINS0_14default_configENS1_21merge_config_selectorINS0_5tupleIJttEEENS0_10empty_typeEEEZNS1_10merge_implIS3_NS0_12zip_iteratorINS5_IJN6thrust23THRUST_200600_302600_NS6detail15normal_iteratorINSC_10device_ptrIKtEEEESI_EEEEESK_NSA_INS5_IJNSE_INSF_ItEEEESM_EEEEEPS7_SP_SP_NSC_11hip_rocprim7__merge17predicate_wrapperIttNSC_7greaterItEEEEEE10hipError_tPvRmT0_T1_T2_T3_T4_T5_mmT6_P12ihipStream_tbEUlT_E0_NS1_11comp_targetILNS1_3genE8ELNS1_11target_archE1030ELNS1_3gpuE2ELNS1_3repE0EEENS1_30default_config_static_selectorELNS0_4arch9wavefront6targetE0EEEvS10_, .Lfunc_end406-_ZN7rocprim17ROCPRIM_400000_NS6detail17trampoline_kernelINS0_14default_configENS1_21merge_config_selectorINS0_5tupleIJttEEENS0_10empty_typeEEEZNS1_10merge_implIS3_NS0_12zip_iteratorINS5_IJN6thrust23THRUST_200600_302600_NS6detail15normal_iteratorINSC_10device_ptrIKtEEEESI_EEEEESK_NSA_INS5_IJNSE_INSF_ItEEEESM_EEEEEPS7_SP_SP_NSC_11hip_rocprim7__merge17predicate_wrapperIttNSC_7greaterItEEEEEE10hipError_tPvRmT0_T1_T2_T3_T4_T5_mmT6_P12ihipStream_tbEUlT_E0_NS1_11comp_targetILNS1_3genE8ELNS1_11target_archE1030ELNS1_3gpuE2ELNS1_3repE0EEENS1_30default_config_static_selectorELNS0_4arch9wavefront6targetE0EEEvS10_
                                        ; -- End function
	.set _ZN7rocprim17ROCPRIM_400000_NS6detail17trampoline_kernelINS0_14default_configENS1_21merge_config_selectorINS0_5tupleIJttEEENS0_10empty_typeEEEZNS1_10merge_implIS3_NS0_12zip_iteratorINS5_IJN6thrust23THRUST_200600_302600_NS6detail15normal_iteratorINSC_10device_ptrIKtEEEESI_EEEEESK_NSA_INS5_IJNSE_INSF_ItEEEESM_EEEEEPS7_SP_SP_NSC_11hip_rocprim7__merge17predicate_wrapperIttNSC_7greaterItEEEEEE10hipError_tPvRmT0_T1_T2_T3_T4_T5_mmT6_P12ihipStream_tbEUlT_E0_NS1_11comp_targetILNS1_3genE8ELNS1_11target_archE1030ELNS1_3gpuE2ELNS1_3repE0EEENS1_30default_config_static_selectorELNS0_4arch9wavefront6targetE0EEEvS10_.num_vgpr, 0
	.set _ZN7rocprim17ROCPRIM_400000_NS6detail17trampoline_kernelINS0_14default_configENS1_21merge_config_selectorINS0_5tupleIJttEEENS0_10empty_typeEEEZNS1_10merge_implIS3_NS0_12zip_iteratorINS5_IJN6thrust23THRUST_200600_302600_NS6detail15normal_iteratorINSC_10device_ptrIKtEEEESI_EEEEESK_NSA_INS5_IJNSE_INSF_ItEEEESM_EEEEEPS7_SP_SP_NSC_11hip_rocprim7__merge17predicate_wrapperIttNSC_7greaterItEEEEEE10hipError_tPvRmT0_T1_T2_T3_T4_T5_mmT6_P12ihipStream_tbEUlT_E0_NS1_11comp_targetILNS1_3genE8ELNS1_11target_archE1030ELNS1_3gpuE2ELNS1_3repE0EEENS1_30default_config_static_selectorELNS0_4arch9wavefront6targetE0EEEvS10_.num_agpr, 0
	.set _ZN7rocprim17ROCPRIM_400000_NS6detail17trampoline_kernelINS0_14default_configENS1_21merge_config_selectorINS0_5tupleIJttEEENS0_10empty_typeEEEZNS1_10merge_implIS3_NS0_12zip_iteratorINS5_IJN6thrust23THRUST_200600_302600_NS6detail15normal_iteratorINSC_10device_ptrIKtEEEESI_EEEEESK_NSA_INS5_IJNSE_INSF_ItEEEESM_EEEEEPS7_SP_SP_NSC_11hip_rocprim7__merge17predicate_wrapperIttNSC_7greaterItEEEEEE10hipError_tPvRmT0_T1_T2_T3_T4_T5_mmT6_P12ihipStream_tbEUlT_E0_NS1_11comp_targetILNS1_3genE8ELNS1_11target_archE1030ELNS1_3gpuE2ELNS1_3repE0EEENS1_30default_config_static_selectorELNS0_4arch9wavefront6targetE0EEEvS10_.numbered_sgpr, 0
	.set _ZN7rocprim17ROCPRIM_400000_NS6detail17trampoline_kernelINS0_14default_configENS1_21merge_config_selectorINS0_5tupleIJttEEENS0_10empty_typeEEEZNS1_10merge_implIS3_NS0_12zip_iteratorINS5_IJN6thrust23THRUST_200600_302600_NS6detail15normal_iteratorINSC_10device_ptrIKtEEEESI_EEEEESK_NSA_INS5_IJNSE_INSF_ItEEEESM_EEEEEPS7_SP_SP_NSC_11hip_rocprim7__merge17predicate_wrapperIttNSC_7greaterItEEEEEE10hipError_tPvRmT0_T1_T2_T3_T4_T5_mmT6_P12ihipStream_tbEUlT_E0_NS1_11comp_targetILNS1_3genE8ELNS1_11target_archE1030ELNS1_3gpuE2ELNS1_3repE0EEENS1_30default_config_static_selectorELNS0_4arch9wavefront6targetE0EEEvS10_.num_named_barrier, 0
	.set _ZN7rocprim17ROCPRIM_400000_NS6detail17trampoline_kernelINS0_14default_configENS1_21merge_config_selectorINS0_5tupleIJttEEENS0_10empty_typeEEEZNS1_10merge_implIS3_NS0_12zip_iteratorINS5_IJN6thrust23THRUST_200600_302600_NS6detail15normal_iteratorINSC_10device_ptrIKtEEEESI_EEEEESK_NSA_INS5_IJNSE_INSF_ItEEEESM_EEEEEPS7_SP_SP_NSC_11hip_rocprim7__merge17predicate_wrapperIttNSC_7greaterItEEEEEE10hipError_tPvRmT0_T1_T2_T3_T4_T5_mmT6_P12ihipStream_tbEUlT_E0_NS1_11comp_targetILNS1_3genE8ELNS1_11target_archE1030ELNS1_3gpuE2ELNS1_3repE0EEENS1_30default_config_static_selectorELNS0_4arch9wavefront6targetE0EEEvS10_.private_seg_size, 0
	.set _ZN7rocprim17ROCPRIM_400000_NS6detail17trampoline_kernelINS0_14default_configENS1_21merge_config_selectorINS0_5tupleIJttEEENS0_10empty_typeEEEZNS1_10merge_implIS3_NS0_12zip_iteratorINS5_IJN6thrust23THRUST_200600_302600_NS6detail15normal_iteratorINSC_10device_ptrIKtEEEESI_EEEEESK_NSA_INS5_IJNSE_INSF_ItEEEESM_EEEEEPS7_SP_SP_NSC_11hip_rocprim7__merge17predicate_wrapperIttNSC_7greaterItEEEEEE10hipError_tPvRmT0_T1_T2_T3_T4_T5_mmT6_P12ihipStream_tbEUlT_E0_NS1_11comp_targetILNS1_3genE8ELNS1_11target_archE1030ELNS1_3gpuE2ELNS1_3repE0EEENS1_30default_config_static_selectorELNS0_4arch9wavefront6targetE0EEEvS10_.uses_vcc, 0
	.set _ZN7rocprim17ROCPRIM_400000_NS6detail17trampoline_kernelINS0_14default_configENS1_21merge_config_selectorINS0_5tupleIJttEEENS0_10empty_typeEEEZNS1_10merge_implIS3_NS0_12zip_iteratorINS5_IJN6thrust23THRUST_200600_302600_NS6detail15normal_iteratorINSC_10device_ptrIKtEEEESI_EEEEESK_NSA_INS5_IJNSE_INSF_ItEEEESM_EEEEEPS7_SP_SP_NSC_11hip_rocprim7__merge17predicate_wrapperIttNSC_7greaterItEEEEEE10hipError_tPvRmT0_T1_T2_T3_T4_T5_mmT6_P12ihipStream_tbEUlT_E0_NS1_11comp_targetILNS1_3genE8ELNS1_11target_archE1030ELNS1_3gpuE2ELNS1_3repE0EEENS1_30default_config_static_selectorELNS0_4arch9wavefront6targetE0EEEvS10_.uses_flat_scratch, 0
	.set _ZN7rocprim17ROCPRIM_400000_NS6detail17trampoline_kernelINS0_14default_configENS1_21merge_config_selectorINS0_5tupleIJttEEENS0_10empty_typeEEEZNS1_10merge_implIS3_NS0_12zip_iteratorINS5_IJN6thrust23THRUST_200600_302600_NS6detail15normal_iteratorINSC_10device_ptrIKtEEEESI_EEEEESK_NSA_INS5_IJNSE_INSF_ItEEEESM_EEEEEPS7_SP_SP_NSC_11hip_rocprim7__merge17predicate_wrapperIttNSC_7greaterItEEEEEE10hipError_tPvRmT0_T1_T2_T3_T4_T5_mmT6_P12ihipStream_tbEUlT_E0_NS1_11comp_targetILNS1_3genE8ELNS1_11target_archE1030ELNS1_3gpuE2ELNS1_3repE0EEENS1_30default_config_static_selectorELNS0_4arch9wavefront6targetE0EEEvS10_.has_dyn_sized_stack, 0
	.set _ZN7rocprim17ROCPRIM_400000_NS6detail17trampoline_kernelINS0_14default_configENS1_21merge_config_selectorINS0_5tupleIJttEEENS0_10empty_typeEEEZNS1_10merge_implIS3_NS0_12zip_iteratorINS5_IJN6thrust23THRUST_200600_302600_NS6detail15normal_iteratorINSC_10device_ptrIKtEEEESI_EEEEESK_NSA_INS5_IJNSE_INSF_ItEEEESM_EEEEEPS7_SP_SP_NSC_11hip_rocprim7__merge17predicate_wrapperIttNSC_7greaterItEEEEEE10hipError_tPvRmT0_T1_T2_T3_T4_T5_mmT6_P12ihipStream_tbEUlT_E0_NS1_11comp_targetILNS1_3genE8ELNS1_11target_archE1030ELNS1_3gpuE2ELNS1_3repE0EEENS1_30default_config_static_selectorELNS0_4arch9wavefront6targetE0EEEvS10_.has_recursion, 0
	.set _ZN7rocprim17ROCPRIM_400000_NS6detail17trampoline_kernelINS0_14default_configENS1_21merge_config_selectorINS0_5tupleIJttEEENS0_10empty_typeEEEZNS1_10merge_implIS3_NS0_12zip_iteratorINS5_IJN6thrust23THRUST_200600_302600_NS6detail15normal_iteratorINSC_10device_ptrIKtEEEESI_EEEEESK_NSA_INS5_IJNSE_INSF_ItEEEESM_EEEEEPS7_SP_SP_NSC_11hip_rocprim7__merge17predicate_wrapperIttNSC_7greaterItEEEEEE10hipError_tPvRmT0_T1_T2_T3_T4_T5_mmT6_P12ihipStream_tbEUlT_E0_NS1_11comp_targetILNS1_3genE8ELNS1_11target_archE1030ELNS1_3gpuE2ELNS1_3repE0EEENS1_30default_config_static_selectorELNS0_4arch9wavefront6targetE0EEEvS10_.has_indirect_call, 0
	.section	.AMDGPU.csdata,"",@progbits
; Kernel info:
; codeLenInByte = 0
; TotalNumSgprs: 0
; NumVgprs: 0
; ScratchSize: 0
; MemoryBound: 0
; FloatMode: 240
; IeeeMode: 1
; LDSByteSize: 0 bytes/workgroup (compile time only)
; SGPRBlocks: 0
; VGPRBlocks: 0
; NumSGPRsForWavesPerEU: 1
; NumVGPRsForWavesPerEU: 1
; NamedBarCnt: 0
; Occupancy: 16
; WaveLimiterHint : 0
; COMPUTE_PGM_RSRC2:SCRATCH_EN: 0
; COMPUTE_PGM_RSRC2:USER_SGPR: 2
; COMPUTE_PGM_RSRC2:TRAP_HANDLER: 0
; COMPUTE_PGM_RSRC2:TGID_X_EN: 1
; COMPUTE_PGM_RSRC2:TGID_Y_EN: 0
; COMPUTE_PGM_RSRC2:TGID_Z_EN: 0
; COMPUTE_PGM_RSRC2:TIDIG_COMP_CNT: 0
	.section	.text._ZN7rocprim17ROCPRIM_400000_NS6detail17trampoline_kernelINS0_14default_configENS1_21merge_config_selectorINS0_5tupleIJxxEEENS0_10empty_typeEEEZNS1_10merge_implIS3_NS0_12zip_iteratorINS5_IJN6thrust23THRUST_200600_302600_NS6detail15normal_iteratorINSC_10device_ptrIKxEEEESI_EEEEESK_NSA_INS5_IJNSE_INSF_IxEEEESM_EEEEEPS7_SP_SP_NSC_11hip_rocprim7__merge17predicate_wrapperIxxNSC_7greaterIxEEEEEE10hipError_tPvRmT0_T1_T2_T3_T4_T5_mmT6_P12ihipStream_tbEUlT_E_NS1_11comp_targetILNS1_3genE0ELNS1_11target_archE4294967295ELNS1_3gpuE0ELNS1_3repE0EEENS1_30default_config_static_selectorELNS0_4arch9wavefront6targetE0EEEvS10_,"axG",@progbits,_ZN7rocprim17ROCPRIM_400000_NS6detail17trampoline_kernelINS0_14default_configENS1_21merge_config_selectorINS0_5tupleIJxxEEENS0_10empty_typeEEEZNS1_10merge_implIS3_NS0_12zip_iteratorINS5_IJN6thrust23THRUST_200600_302600_NS6detail15normal_iteratorINSC_10device_ptrIKxEEEESI_EEEEESK_NSA_INS5_IJNSE_INSF_IxEEEESM_EEEEEPS7_SP_SP_NSC_11hip_rocprim7__merge17predicate_wrapperIxxNSC_7greaterIxEEEEEE10hipError_tPvRmT0_T1_T2_T3_T4_T5_mmT6_P12ihipStream_tbEUlT_E_NS1_11comp_targetILNS1_3genE0ELNS1_11target_archE4294967295ELNS1_3gpuE0ELNS1_3repE0EEENS1_30default_config_static_selectorELNS0_4arch9wavefront6targetE0EEEvS10_,comdat
	.protected	_ZN7rocprim17ROCPRIM_400000_NS6detail17trampoline_kernelINS0_14default_configENS1_21merge_config_selectorINS0_5tupleIJxxEEENS0_10empty_typeEEEZNS1_10merge_implIS3_NS0_12zip_iteratorINS5_IJN6thrust23THRUST_200600_302600_NS6detail15normal_iteratorINSC_10device_ptrIKxEEEESI_EEEEESK_NSA_INS5_IJNSE_INSF_IxEEEESM_EEEEEPS7_SP_SP_NSC_11hip_rocprim7__merge17predicate_wrapperIxxNSC_7greaterIxEEEEEE10hipError_tPvRmT0_T1_T2_T3_T4_T5_mmT6_P12ihipStream_tbEUlT_E_NS1_11comp_targetILNS1_3genE0ELNS1_11target_archE4294967295ELNS1_3gpuE0ELNS1_3repE0EEENS1_30default_config_static_selectorELNS0_4arch9wavefront6targetE0EEEvS10_ ; -- Begin function _ZN7rocprim17ROCPRIM_400000_NS6detail17trampoline_kernelINS0_14default_configENS1_21merge_config_selectorINS0_5tupleIJxxEEENS0_10empty_typeEEEZNS1_10merge_implIS3_NS0_12zip_iteratorINS5_IJN6thrust23THRUST_200600_302600_NS6detail15normal_iteratorINSC_10device_ptrIKxEEEESI_EEEEESK_NSA_INS5_IJNSE_INSF_IxEEEESM_EEEEEPS7_SP_SP_NSC_11hip_rocprim7__merge17predicate_wrapperIxxNSC_7greaterIxEEEEEE10hipError_tPvRmT0_T1_T2_T3_T4_T5_mmT6_P12ihipStream_tbEUlT_E_NS1_11comp_targetILNS1_3genE0ELNS1_11target_archE4294967295ELNS1_3gpuE0ELNS1_3repE0EEENS1_30default_config_static_selectorELNS0_4arch9wavefront6targetE0EEEvS10_
	.globl	_ZN7rocprim17ROCPRIM_400000_NS6detail17trampoline_kernelINS0_14default_configENS1_21merge_config_selectorINS0_5tupleIJxxEEENS0_10empty_typeEEEZNS1_10merge_implIS3_NS0_12zip_iteratorINS5_IJN6thrust23THRUST_200600_302600_NS6detail15normal_iteratorINSC_10device_ptrIKxEEEESI_EEEEESK_NSA_INS5_IJNSE_INSF_IxEEEESM_EEEEEPS7_SP_SP_NSC_11hip_rocprim7__merge17predicate_wrapperIxxNSC_7greaterIxEEEEEE10hipError_tPvRmT0_T1_T2_T3_T4_T5_mmT6_P12ihipStream_tbEUlT_E_NS1_11comp_targetILNS1_3genE0ELNS1_11target_archE4294967295ELNS1_3gpuE0ELNS1_3repE0EEENS1_30default_config_static_selectorELNS0_4arch9wavefront6targetE0EEEvS10_
	.p2align	8
	.type	_ZN7rocprim17ROCPRIM_400000_NS6detail17trampoline_kernelINS0_14default_configENS1_21merge_config_selectorINS0_5tupleIJxxEEENS0_10empty_typeEEEZNS1_10merge_implIS3_NS0_12zip_iteratorINS5_IJN6thrust23THRUST_200600_302600_NS6detail15normal_iteratorINSC_10device_ptrIKxEEEESI_EEEEESK_NSA_INS5_IJNSE_INSF_IxEEEESM_EEEEEPS7_SP_SP_NSC_11hip_rocprim7__merge17predicate_wrapperIxxNSC_7greaterIxEEEEEE10hipError_tPvRmT0_T1_T2_T3_T4_T5_mmT6_P12ihipStream_tbEUlT_E_NS1_11comp_targetILNS1_3genE0ELNS1_11target_archE4294967295ELNS1_3gpuE0ELNS1_3repE0EEENS1_30default_config_static_selectorELNS0_4arch9wavefront6targetE0EEEvS10_,@function
_ZN7rocprim17ROCPRIM_400000_NS6detail17trampoline_kernelINS0_14default_configENS1_21merge_config_selectorINS0_5tupleIJxxEEENS0_10empty_typeEEEZNS1_10merge_implIS3_NS0_12zip_iteratorINS5_IJN6thrust23THRUST_200600_302600_NS6detail15normal_iteratorINSC_10device_ptrIKxEEEESI_EEEEESK_NSA_INS5_IJNSE_INSF_IxEEEESM_EEEEEPS7_SP_SP_NSC_11hip_rocprim7__merge17predicate_wrapperIxxNSC_7greaterIxEEEEEE10hipError_tPvRmT0_T1_T2_T3_T4_T5_mmT6_P12ihipStream_tbEUlT_E_NS1_11comp_targetILNS1_3genE0ELNS1_11target_archE4294967295ELNS1_3gpuE0ELNS1_3repE0EEENS1_30default_config_static_selectorELNS0_4arch9wavefront6targetE0EEEvS10_: ; @_ZN7rocprim17ROCPRIM_400000_NS6detail17trampoline_kernelINS0_14default_configENS1_21merge_config_selectorINS0_5tupleIJxxEEENS0_10empty_typeEEEZNS1_10merge_implIS3_NS0_12zip_iteratorINS5_IJN6thrust23THRUST_200600_302600_NS6detail15normal_iteratorINSC_10device_ptrIKxEEEESI_EEEEESK_NSA_INS5_IJNSE_INSF_IxEEEESM_EEEEEPS7_SP_SP_NSC_11hip_rocprim7__merge17predicate_wrapperIxxNSC_7greaterIxEEEEEE10hipError_tPvRmT0_T1_T2_T3_T4_T5_mmT6_P12ihipStream_tbEUlT_E_NS1_11comp_targetILNS1_3genE0ELNS1_11target_archE4294967295ELNS1_3gpuE0ELNS1_3repE0EEENS1_30default_config_static_selectorELNS0_4arch9wavefront6targetE0EEEvS10_
; %bb.0:
	s_clause 0x2
	s_load_b32 s4, s[0:1], 0x38
	s_load_b32 s2, s[0:1], 0x4c
	s_load_b128 s[8:11], s[0:1], 0x28
	s_getreg_b32 s7, hwreg(HW_REG_IB_STS2, 6, 4)
	s_wait_kmcnt 0x0
	s_cvt_f32_u32 s3, s4
	s_and_b32 s6, s2, 0xffff
	s_and_b32 s2, ttmp6, 15
	s_delay_alu instid0(SALU_CYCLE_1) | instskip(SKIP_1) | instid1(SALU_CYCLE_1)
	v_rcp_iflag_f32_e32 v1, s3
	s_bfe_u32 s3, ttmp6, 0x4000c
	s_add_co_i32 s3, s3, 1
	s_delay_alu instid0(SALU_CYCLE_1) | instskip(NEXT) | instid1(SALU_CYCLE_1)
	s_mul_i32 s3, ttmp9, s3
	s_add_co_i32 s2, s2, s3
	v_nop
	s_delay_alu instid0(TRANS32_DEP_1)
	v_readfirstlane_b32 s5, v1
	s_cmp_eq_u32 s7, 0
	s_cselect_b32 s7, ttmp9, s2
	s_sub_co_i32 s12, 0, s4
	s_mul_f32 s5, s5, 0x4f7ffffe
	s_add_nc_u64 s[2:3], s[10:11], s[8:9]
	v_mad_u32 v6, s7, s6, v0
	s_add_co_i32 s13, s4, s2
	s_cvt_u32_f32 s5, s5
	s_add_co_i32 s13, s13, -1
	s_delay_alu instid0(SALU_CYCLE_2) | instskip(NEXT) | instid1(SALU_CYCLE_1)
	s_mul_i32 s12, s12, s5
	s_mul_hi_u32 s12, s5, s12
	s_delay_alu instid0(SALU_CYCLE_1) | instskip(NEXT) | instid1(SALU_CYCLE_1)
	s_add_co_i32 s5, s5, s12
	s_mul_hi_u32 s5, s13, s5
	s_delay_alu instid0(SALU_CYCLE_1) | instskip(SKIP_2) | instid1(SALU_CYCLE_1)
	s_mul_i32 s12, s5, s4
	s_add_co_i32 s7, s5, 1
	s_sub_co_i32 s6, s13, s12
	s_sub_co_i32 s12, s6, s4
	s_cmp_ge_u32 s6, s4
	s_cselect_b32 s5, s7, s5
	s_cselect_b32 s6, s12, s6
	s_add_co_i32 s7, s5, 1
	s_cmp_ge_u32 s6, s4
	s_cselect_b32 s5, s7, s5
	s_delay_alu instid0(SALU_CYCLE_1)
	v_cmp_ge_u32_e32 vcc_lo, s5, v6
	s_and_saveexec_b32 s5, vcc_lo
	s_cbranch_execz .LBB407_6
; %bb.1:
	v_mul_lo_u32 v0, v6, s4
	v_mov_b32_e32 v1, 0
	s_load_b128 s[4:7], s[0:1], 0x0
	s_delay_alu instid0(VALU_DEP_1) | instskip(SKIP_1) | instid1(VALU_DEP_1)
	v_min_u64 v[4:5], v[0:1], s[2:3]
	s_mov_b32 s2, exec_lo
	v_max_u64 v[0:1], v[4:5], s[10:11]
	v_min_u64 v[2:3], v[4:5], s[8:9]
	s_delay_alu instid0(VALU_DEP_2) | instskip(NEXT) | instid1(VALU_DEP_1)
	v_sub_nc_u64_e64 v[0:1], v[0:1], s[10:11]
	v_cmpx_lt_u64_e64 v[0:1], v[2:3]
	s_cbranch_execz .LBB407_5
; %bb.2:
	s_wait_xcnt 0x0
	s_load_b64 s[0:1], s[0:1], 0x18
	s_wait_kmcnt 0x0
	v_lshl_add_u64 v[4:5], v[4:5], 3, s[0:1]
	s_mov_b32 s0, 0
.LBB407_3:                              ; =>This Inner Loop Header: Depth=1
	v_add_nc_u64_e32 v[8:9], v[2:3], v[0:1]
	s_delay_alu instid0(VALU_DEP_1) | instskip(NEXT) | instid1(VALU_DEP_1)
	v_lshrrev_b64 v[8:9], 1, v[8:9]
	v_lshlrev_b64_e32 v[10:11], 3, v[8:9]
	s_delay_alu instid0(VALU_DEP_1) | instskip(NEXT) | instid1(VALU_DEP_2)
	v_xor_b32_e32 v13, -1, v11
	v_xor_b32_e32 v12, -8, v10
	v_add_nc_u64_e32 v[10:11], s[6:7], v[10:11]
	s_delay_alu instid0(VALU_DEP_2)
	v_add_nc_u64_e32 v[12:13], v[4:5], v[12:13]
	global_load_b64 v[14:15], v[10:11], off
	global_load_b64 v[16:17], v[12:13], off
	s_wait_xcnt 0x1
	v_add_nc_u64_e32 v[10:11], 1, v[8:9]
	s_wait_loadcnt 0x0
	v_cmp_gt_i64_e32 vcc_lo, v[16:17], v[14:15]
	v_dual_cndmask_b32 v3, v3, v9 :: v_dual_cndmask_b32 v2, v2, v8
	s_delay_alu instid0(VALU_DEP_3) | instskip(NEXT) | instid1(VALU_DEP_1)
	v_dual_cndmask_b32 v1, v11, v1 :: v_dual_cndmask_b32 v0, v10, v0
	v_cmp_ge_u64_e32 vcc_lo, v[0:1], v[2:3]
	s_or_b32 s0, vcc_lo, s0
	s_delay_alu instid0(SALU_CYCLE_1)
	s_and_not1_b32 exec_lo, exec_lo, s0
	s_cbranch_execnz .LBB407_3
; %bb.4:
	s_or_b32 exec_lo, exec_lo, s0
.LBB407_5:
	s_delay_alu instid0(SALU_CYCLE_1)
	s_or_b32 exec_lo, exec_lo, s2
	s_wait_kmcnt 0x0
	global_store_b32 v6, v0, s[4:5] scale_offset
.LBB407_6:
	s_endpgm
	.section	.rodata,"a",@progbits
	.p2align	6, 0x0
	.amdhsa_kernel _ZN7rocprim17ROCPRIM_400000_NS6detail17trampoline_kernelINS0_14default_configENS1_21merge_config_selectorINS0_5tupleIJxxEEENS0_10empty_typeEEEZNS1_10merge_implIS3_NS0_12zip_iteratorINS5_IJN6thrust23THRUST_200600_302600_NS6detail15normal_iteratorINSC_10device_ptrIKxEEEESI_EEEEESK_NSA_INS5_IJNSE_INSF_IxEEEESM_EEEEEPS7_SP_SP_NSC_11hip_rocprim7__merge17predicate_wrapperIxxNSC_7greaterIxEEEEEE10hipError_tPvRmT0_T1_T2_T3_T4_T5_mmT6_P12ihipStream_tbEUlT_E_NS1_11comp_targetILNS1_3genE0ELNS1_11target_archE4294967295ELNS1_3gpuE0ELNS1_3repE0EEENS1_30default_config_static_selectorELNS0_4arch9wavefront6targetE0EEEvS10_
		.amdhsa_group_segment_fixed_size 0
		.amdhsa_private_segment_fixed_size 0
		.amdhsa_kernarg_size 320
		.amdhsa_user_sgpr_count 2
		.amdhsa_user_sgpr_dispatch_ptr 0
		.amdhsa_user_sgpr_queue_ptr 0
		.amdhsa_user_sgpr_kernarg_segment_ptr 1
		.amdhsa_user_sgpr_dispatch_id 0
		.amdhsa_user_sgpr_kernarg_preload_length 0
		.amdhsa_user_sgpr_kernarg_preload_offset 0
		.amdhsa_user_sgpr_private_segment_size 0
		.amdhsa_wavefront_size32 1
		.amdhsa_uses_dynamic_stack 0
		.amdhsa_enable_private_segment 0
		.amdhsa_system_sgpr_workgroup_id_x 1
		.amdhsa_system_sgpr_workgroup_id_y 0
		.amdhsa_system_sgpr_workgroup_id_z 0
		.amdhsa_system_sgpr_workgroup_info 0
		.amdhsa_system_vgpr_workitem_id 0
		.amdhsa_next_free_vgpr 18
		.amdhsa_next_free_sgpr 14
		.amdhsa_named_barrier_count 0
		.amdhsa_reserve_vcc 1
		.amdhsa_float_round_mode_32 0
		.amdhsa_float_round_mode_16_64 0
		.amdhsa_float_denorm_mode_32 3
		.amdhsa_float_denorm_mode_16_64 3
		.amdhsa_fp16_overflow 0
		.amdhsa_memory_ordered 1
		.amdhsa_forward_progress 1
		.amdhsa_inst_pref_size 4
		.amdhsa_round_robin_scheduling 0
		.amdhsa_exception_fp_ieee_invalid_op 0
		.amdhsa_exception_fp_denorm_src 0
		.amdhsa_exception_fp_ieee_div_zero 0
		.amdhsa_exception_fp_ieee_overflow 0
		.amdhsa_exception_fp_ieee_underflow 0
		.amdhsa_exception_fp_ieee_inexact 0
		.amdhsa_exception_int_div_zero 0
	.end_amdhsa_kernel
	.section	.text._ZN7rocprim17ROCPRIM_400000_NS6detail17trampoline_kernelINS0_14default_configENS1_21merge_config_selectorINS0_5tupleIJxxEEENS0_10empty_typeEEEZNS1_10merge_implIS3_NS0_12zip_iteratorINS5_IJN6thrust23THRUST_200600_302600_NS6detail15normal_iteratorINSC_10device_ptrIKxEEEESI_EEEEESK_NSA_INS5_IJNSE_INSF_IxEEEESM_EEEEEPS7_SP_SP_NSC_11hip_rocprim7__merge17predicate_wrapperIxxNSC_7greaterIxEEEEEE10hipError_tPvRmT0_T1_T2_T3_T4_T5_mmT6_P12ihipStream_tbEUlT_E_NS1_11comp_targetILNS1_3genE0ELNS1_11target_archE4294967295ELNS1_3gpuE0ELNS1_3repE0EEENS1_30default_config_static_selectorELNS0_4arch9wavefront6targetE0EEEvS10_,"axG",@progbits,_ZN7rocprim17ROCPRIM_400000_NS6detail17trampoline_kernelINS0_14default_configENS1_21merge_config_selectorINS0_5tupleIJxxEEENS0_10empty_typeEEEZNS1_10merge_implIS3_NS0_12zip_iteratorINS5_IJN6thrust23THRUST_200600_302600_NS6detail15normal_iteratorINSC_10device_ptrIKxEEEESI_EEEEESK_NSA_INS5_IJNSE_INSF_IxEEEESM_EEEEEPS7_SP_SP_NSC_11hip_rocprim7__merge17predicate_wrapperIxxNSC_7greaterIxEEEEEE10hipError_tPvRmT0_T1_T2_T3_T4_T5_mmT6_P12ihipStream_tbEUlT_E_NS1_11comp_targetILNS1_3genE0ELNS1_11target_archE4294967295ELNS1_3gpuE0ELNS1_3repE0EEENS1_30default_config_static_selectorELNS0_4arch9wavefront6targetE0EEEvS10_,comdat
.Lfunc_end407:
	.size	_ZN7rocprim17ROCPRIM_400000_NS6detail17trampoline_kernelINS0_14default_configENS1_21merge_config_selectorINS0_5tupleIJxxEEENS0_10empty_typeEEEZNS1_10merge_implIS3_NS0_12zip_iteratorINS5_IJN6thrust23THRUST_200600_302600_NS6detail15normal_iteratorINSC_10device_ptrIKxEEEESI_EEEEESK_NSA_INS5_IJNSE_INSF_IxEEEESM_EEEEEPS7_SP_SP_NSC_11hip_rocprim7__merge17predicate_wrapperIxxNSC_7greaterIxEEEEEE10hipError_tPvRmT0_T1_T2_T3_T4_T5_mmT6_P12ihipStream_tbEUlT_E_NS1_11comp_targetILNS1_3genE0ELNS1_11target_archE4294967295ELNS1_3gpuE0ELNS1_3repE0EEENS1_30default_config_static_selectorELNS0_4arch9wavefront6targetE0EEEvS10_, .Lfunc_end407-_ZN7rocprim17ROCPRIM_400000_NS6detail17trampoline_kernelINS0_14default_configENS1_21merge_config_selectorINS0_5tupleIJxxEEENS0_10empty_typeEEEZNS1_10merge_implIS3_NS0_12zip_iteratorINS5_IJN6thrust23THRUST_200600_302600_NS6detail15normal_iteratorINSC_10device_ptrIKxEEEESI_EEEEESK_NSA_INS5_IJNSE_INSF_IxEEEESM_EEEEEPS7_SP_SP_NSC_11hip_rocprim7__merge17predicate_wrapperIxxNSC_7greaterIxEEEEEE10hipError_tPvRmT0_T1_T2_T3_T4_T5_mmT6_P12ihipStream_tbEUlT_E_NS1_11comp_targetILNS1_3genE0ELNS1_11target_archE4294967295ELNS1_3gpuE0ELNS1_3repE0EEENS1_30default_config_static_selectorELNS0_4arch9wavefront6targetE0EEEvS10_
                                        ; -- End function
	.set _ZN7rocprim17ROCPRIM_400000_NS6detail17trampoline_kernelINS0_14default_configENS1_21merge_config_selectorINS0_5tupleIJxxEEENS0_10empty_typeEEEZNS1_10merge_implIS3_NS0_12zip_iteratorINS5_IJN6thrust23THRUST_200600_302600_NS6detail15normal_iteratorINSC_10device_ptrIKxEEEESI_EEEEESK_NSA_INS5_IJNSE_INSF_IxEEEESM_EEEEEPS7_SP_SP_NSC_11hip_rocprim7__merge17predicate_wrapperIxxNSC_7greaterIxEEEEEE10hipError_tPvRmT0_T1_T2_T3_T4_T5_mmT6_P12ihipStream_tbEUlT_E_NS1_11comp_targetILNS1_3genE0ELNS1_11target_archE4294967295ELNS1_3gpuE0ELNS1_3repE0EEENS1_30default_config_static_selectorELNS0_4arch9wavefront6targetE0EEEvS10_.num_vgpr, 18
	.set _ZN7rocprim17ROCPRIM_400000_NS6detail17trampoline_kernelINS0_14default_configENS1_21merge_config_selectorINS0_5tupleIJxxEEENS0_10empty_typeEEEZNS1_10merge_implIS3_NS0_12zip_iteratorINS5_IJN6thrust23THRUST_200600_302600_NS6detail15normal_iteratorINSC_10device_ptrIKxEEEESI_EEEEESK_NSA_INS5_IJNSE_INSF_IxEEEESM_EEEEEPS7_SP_SP_NSC_11hip_rocprim7__merge17predicate_wrapperIxxNSC_7greaterIxEEEEEE10hipError_tPvRmT0_T1_T2_T3_T4_T5_mmT6_P12ihipStream_tbEUlT_E_NS1_11comp_targetILNS1_3genE0ELNS1_11target_archE4294967295ELNS1_3gpuE0ELNS1_3repE0EEENS1_30default_config_static_selectorELNS0_4arch9wavefront6targetE0EEEvS10_.num_agpr, 0
	.set _ZN7rocprim17ROCPRIM_400000_NS6detail17trampoline_kernelINS0_14default_configENS1_21merge_config_selectorINS0_5tupleIJxxEEENS0_10empty_typeEEEZNS1_10merge_implIS3_NS0_12zip_iteratorINS5_IJN6thrust23THRUST_200600_302600_NS6detail15normal_iteratorINSC_10device_ptrIKxEEEESI_EEEEESK_NSA_INS5_IJNSE_INSF_IxEEEESM_EEEEEPS7_SP_SP_NSC_11hip_rocprim7__merge17predicate_wrapperIxxNSC_7greaterIxEEEEEE10hipError_tPvRmT0_T1_T2_T3_T4_T5_mmT6_P12ihipStream_tbEUlT_E_NS1_11comp_targetILNS1_3genE0ELNS1_11target_archE4294967295ELNS1_3gpuE0ELNS1_3repE0EEENS1_30default_config_static_selectorELNS0_4arch9wavefront6targetE0EEEvS10_.numbered_sgpr, 14
	.set _ZN7rocprim17ROCPRIM_400000_NS6detail17trampoline_kernelINS0_14default_configENS1_21merge_config_selectorINS0_5tupleIJxxEEENS0_10empty_typeEEEZNS1_10merge_implIS3_NS0_12zip_iteratorINS5_IJN6thrust23THRUST_200600_302600_NS6detail15normal_iteratorINSC_10device_ptrIKxEEEESI_EEEEESK_NSA_INS5_IJNSE_INSF_IxEEEESM_EEEEEPS7_SP_SP_NSC_11hip_rocprim7__merge17predicate_wrapperIxxNSC_7greaterIxEEEEEE10hipError_tPvRmT0_T1_T2_T3_T4_T5_mmT6_P12ihipStream_tbEUlT_E_NS1_11comp_targetILNS1_3genE0ELNS1_11target_archE4294967295ELNS1_3gpuE0ELNS1_3repE0EEENS1_30default_config_static_selectorELNS0_4arch9wavefront6targetE0EEEvS10_.num_named_barrier, 0
	.set _ZN7rocprim17ROCPRIM_400000_NS6detail17trampoline_kernelINS0_14default_configENS1_21merge_config_selectorINS0_5tupleIJxxEEENS0_10empty_typeEEEZNS1_10merge_implIS3_NS0_12zip_iteratorINS5_IJN6thrust23THRUST_200600_302600_NS6detail15normal_iteratorINSC_10device_ptrIKxEEEESI_EEEEESK_NSA_INS5_IJNSE_INSF_IxEEEESM_EEEEEPS7_SP_SP_NSC_11hip_rocprim7__merge17predicate_wrapperIxxNSC_7greaterIxEEEEEE10hipError_tPvRmT0_T1_T2_T3_T4_T5_mmT6_P12ihipStream_tbEUlT_E_NS1_11comp_targetILNS1_3genE0ELNS1_11target_archE4294967295ELNS1_3gpuE0ELNS1_3repE0EEENS1_30default_config_static_selectorELNS0_4arch9wavefront6targetE0EEEvS10_.private_seg_size, 0
	.set _ZN7rocprim17ROCPRIM_400000_NS6detail17trampoline_kernelINS0_14default_configENS1_21merge_config_selectorINS0_5tupleIJxxEEENS0_10empty_typeEEEZNS1_10merge_implIS3_NS0_12zip_iteratorINS5_IJN6thrust23THRUST_200600_302600_NS6detail15normal_iteratorINSC_10device_ptrIKxEEEESI_EEEEESK_NSA_INS5_IJNSE_INSF_IxEEEESM_EEEEEPS7_SP_SP_NSC_11hip_rocprim7__merge17predicate_wrapperIxxNSC_7greaterIxEEEEEE10hipError_tPvRmT0_T1_T2_T3_T4_T5_mmT6_P12ihipStream_tbEUlT_E_NS1_11comp_targetILNS1_3genE0ELNS1_11target_archE4294967295ELNS1_3gpuE0ELNS1_3repE0EEENS1_30default_config_static_selectorELNS0_4arch9wavefront6targetE0EEEvS10_.uses_vcc, 1
	.set _ZN7rocprim17ROCPRIM_400000_NS6detail17trampoline_kernelINS0_14default_configENS1_21merge_config_selectorINS0_5tupleIJxxEEENS0_10empty_typeEEEZNS1_10merge_implIS3_NS0_12zip_iteratorINS5_IJN6thrust23THRUST_200600_302600_NS6detail15normal_iteratorINSC_10device_ptrIKxEEEESI_EEEEESK_NSA_INS5_IJNSE_INSF_IxEEEESM_EEEEEPS7_SP_SP_NSC_11hip_rocprim7__merge17predicate_wrapperIxxNSC_7greaterIxEEEEEE10hipError_tPvRmT0_T1_T2_T3_T4_T5_mmT6_P12ihipStream_tbEUlT_E_NS1_11comp_targetILNS1_3genE0ELNS1_11target_archE4294967295ELNS1_3gpuE0ELNS1_3repE0EEENS1_30default_config_static_selectorELNS0_4arch9wavefront6targetE0EEEvS10_.uses_flat_scratch, 0
	.set _ZN7rocprim17ROCPRIM_400000_NS6detail17trampoline_kernelINS0_14default_configENS1_21merge_config_selectorINS0_5tupleIJxxEEENS0_10empty_typeEEEZNS1_10merge_implIS3_NS0_12zip_iteratorINS5_IJN6thrust23THRUST_200600_302600_NS6detail15normal_iteratorINSC_10device_ptrIKxEEEESI_EEEEESK_NSA_INS5_IJNSE_INSF_IxEEEESM_EEEEEPS7_SP_SP_NSC_11hip_rocprim7__merge17predicate_wrapperIxxNSC_7greaterIxEEEEEE10hipError_tPvRmT0_T1_T2_T3_T4_T5_mmT6_P12ihipStream_tbEUlT_E_NS1_11comp_targetILNS1_3genE0ELNS1_11target_archE4294967295ELNS1_3gpuE0ELNS1_3repE0EEENS1_30default_config_static_selectorELNS0_4arch9wavefront6targetE0EEEvS10_.has_dyn_sized_stack, 0
	.set _ZN7rocprim17ROCPRIM_400000_NS6detail17trampoline_kernelINS0_14default_configENS1_21merge_config_selectorINS0_5tupleIJxxEEENS0_10empty_typeEEEZNS1_10merge_implIS3_NS0_12zip_iteratorINS5_IJN6thrust23THRUST_200600_302600_NS6detail15normal_iteratorINSC_10device_ptrIKxEEEESI_EEEEESK_NSA_INS5_IJNSE_INSF_IxEEEESM_EEEEEPS7_SP_SP_NSC_11hip_rocprim7__merge17predicate_wrapperIxxNSC_7greaterIxEEEEEE10hipError_tPvRmT0_T1_T2_T3_T4_T5_mmT6_P12ihipStream_tbEUlT_E_NS1_11comp_targetILNS1_3genE0ELNS1_11target_archE4294967295ELNS1_3gpuE0ELNS1_3repE0EEENS1_30default_config_static_selectorELNS0_4arch9wavefront6targetE0EEEvS10_.has_recursion, 0
	.set _ZN7rocprim17ROCPRIM_400000_NS6detail17trampoline_kernelINS0_14default_configENS1_21merge_config_selectorINS0_5tupleIJxxEEENS0_10empty_typeEEEZNS1_10merge_implIS3_NS0_12zip_iteratorINS5_IJN6thrust23THRUST_200600_302600_NS6detail15normal_iteratorINSC_10device_ptrIKxEEEESI_EEEEESK_NSA_INS5_IJNSE_INSF_IxEEEESM_EEEEEPS7_SP_SP_NSC_11hip_rocprim7__merge17predicate_wrapperIxxNSC_7greaterIxEEEEEE10hipError_tPvRmT0_T1_T2_T3_T4_T5_mmT6_P12ihipStream_tbEUlT_E_NS1_11comp_targetILNS1_3genE0ELNS1_11target_archE4294967295ELNS1_3gpuE0ELNS1_3repE0EEENS1_30default_config_static_selectorELNS0_4arch9wavefront6targetE0EEEvS10_.has_indirect_call, 0
	.section	.AMDGPU.csdata,"",@progbits
; Kernel info:
; codeLenInByte = 484
; TotalNumSgprs: 16
; NumVgprs: 18
; ScratchSize: 0
; MemoryBound: 0
; FloatMode: 240
; IeeeMode: 1
; LDSByteSize: 0 bytes/workgroup (compile time only)
; SGPRBlocks: 0
; VGPRBlocks: 1
; NumSGPRsForWavesPerEU: 16
; NumVGPRsForWavesPerEU: 18
; NamedBarCnt: 0
; Occupancy: 16
; WaveLimiterHint : 0
; COMPUTE_PGM_RSRC2:SCRATCH_EN: 0
; COMPUTE_PGM_RSRC2:USER_SGPR: 2
; COMPUTE_PGM_RSRC2:TRAP_HANDLER: 0
; COMPUTE_PGM_RSRC2:TGID_X_EN: 1
; COMPUTE_PGM_RSRC2:TGID_Y_EN: 0
; COMPUTE_PGM_RSRC2:TGID_Z_EN: 0
; COMPUTE_PGM_RSRC2:TIDIG_COMP_CNT: 0
	.section	.text._ZN7rocprim17ROCPRIM_400000_NS6detail17trampoline_kernelINS0_14default_configENS1_21merge_config_selectorINS0_5tupleIJxxEEENS0_10empty_typeEEEZNS1_10merge_implIS3_NS0_12zip_iteratorINS5_IJN6thrust23THRUST_200600_302600_NS6detail15normal_iteratorINSC_10device_ptrIKxEEEESI_EEEEESK_NSA_INS5_IJNSE_INSF_IxEEEESM_EEEEEPS7_SP_SP_NSC_11hip_rocprim7__merge17predicate_wrapperIxxNSC_7greaterIxEEEEEE10hipError_tPvRmT0_T1_T2_T3_T4_T5_mmT6_P12ihipStream_tbEUlT_E_NS1_11comp_targetILNS1_3genE5ELNS1_11target_archE942ELNS1_3gpuE9ELNS1_3repE0EEENS1_30default_config_static_selectorELNS0_4arch9wavefront6targetE0EEEvS10_,"axG",@progbits,_ZN7rocprim17ROCPRIM_400000_NS6detail17trampoline_kernelINS0_14default_configENS1_21merge_config_selectorINS0_5tupleIJxxEEENS0_10empty_typeEEEZNS1_10merge_implIS3_NS0_12zip_iteratorINS5_IJN6thrust23THRUST_200600_302600_NS6detail15normal_iteratorINSC_10device_ptrIKxEEEESI_EEEEESK_NSA_INS5_IJNSE_INSF_IxEEEESM_EEEEEPS7_SP_SP_NSC_11hip_rocprim7__merge17predicate_wrapperIxxNSC_7greaterIxEEEEEE10hipError_tPvRmT0_T1_T2_T3_T4_T5_mmT6_P12ihipStream_tbEUlT_E_NS1_11comp_targetILNS1_3genE5ELNS1_11target_archE942ELNS1_3gpuE9ELNS1_3repE0EEENS1_30default_config_static_selectorELNS0_4arch9wavefront6targetE0EEEvS10_,comdat
	.protected	_ZN7rocprim17ROCPRIM_400000_NS6detail17trampoline_kernelINS0_14default_configENS1_21merge_config_selectorINS0_5tupleIJxxEEENS0_10empty_typeEEEZNS1_10merge_implIS3_NS0_12zip_iteratorINS5_IJN6thrust23THRUST_200600_302600_NS6detail15normal_iteratorINSC_10device_ptrIKxEEEESI_EEEEESK_NSA_INS5_IJNSE_INSF_IxEEEESM_EEEEEPS7_SP_SP_NSC_11hip_rocprim7__merge17predicate_wrapperIxxNSC_7greaterIxEEEEEE10hipError_tPvRmT0_T1_T2_T3_T4_T5_mmT6_P12ihipStream_tbEUlT_E_NS1_11comp_targetILNS1_3genE5ELNS1_11target_archE942ELNS1_3gpuE9ELNS1_3repE0EEENS1_30default_config_static_selectorELNS0_4arch9wavefront6targetE0EEEvS10_ ; -- Begin function _ZN7rocprim17ROCPRIM_400000_NS6detail17trampoline_kernelINS0_14default_configENS1_21merge_config_selectorINS0_5tupleIJxxEEENS0_10empty_typeEEEZNS1_10merge_implIS3_NS0_12zip_iteratorINS5_IJN6thrust23THRUST_200600_302600_NS6detail15normal_iteratorINSC_10device_ptrIKxEEEESI_EEEEESK_NSA_INS5_IJNSE_INSF_IxEEEESM_EEEEEPS7_SP_SP_NSC_11hip_rocprim7__merge17predicate_wrapperIxxNSC_7greaterIxEEEEEE10hipError_tPvRmT0_T1_T2_T3_T4_T5_mmT6_P12ihipStream_tbEUlT_E_NS1_11comp_targetILNS1_3genE5ELNS1_11target_archE942ELNS1_3gpuE9ELNS1_3repE0EEENS1_30default_config_static_selectorELNS0_4arch9wavefront6targetE0EEEvS10_
	.globl	_ZN7rocprim17ROCPRIM_400000_NS6detail17trampoline_kernelINS0_14default_configENS1_21merge_config_selectorINS0_5tupleIJxxEEENS0_10empty_typeEEEZNS1_10merge_implIS3_NS0_12zip_iteratorINS5_IJN6thrust23THRUST_200600_302600_NS6detail15normal_iteratorINSC_10device_ptrIKxEEEESI_EEEEESK_NSA_INS5_IJNSE_INSF_IxEEEESM_EEEEEPS7_SP_SP_NSC_11hip_rocprim7__merge17predicate_wrapperIxxNSC_7greaterIxEEEEEE10hipError_tPvRmT0_T1_T2_T3_T4_T5_mmT6_P12ihipStream_tbEUlT_E_NS1_11comp_targetILNS1_3genE5ELNS1_11target_archE942ELNS1_3gpuE9ELNS1_3repE0EEENS1_30default_config_static_selectorELNS0_4arch9wavefront6targetE0EEEvS10_
	.p2align	8
	.type	_ZN7rocprim17ROCPRIM_400000_NS6detail17trampoline_kernelINS0_14default_configENS1_21merge_config_selectorINS0_5tupleIJxxEEENS0_10empty_typeEEEZNS1_10merge_implIS3_NS0_12zip_iteratorINS5_IJN6thrust23THRUST_200600_302600_NS6detail15normal_iteratorINSC_10device_ptrIKxEEEESI_EEEEESK_NSA_INS5_IJNSE_INSF_IxEEEESM_EEEEEPS7_SP_SP_NSC_11hip_rocprim7__merge17predicate_wrapperIxxNSC_7greaterIxEEEEEE10hipError_tPvRmT0_T1_T2_T3_T4_T5_mmT6_P12ihipStream_tbEUlT_E_NS1_11comp_targetILNS1_3genE5ELNS1_11target_archE942ELNS1_3gpuE9ELNS1_3repE0EEENS1_30default_config_static_selectorELNS0_4arch9wavefront6targetE0EEEvS10_,@function
_ZN7rocprim17ROCPRIM_400000_NS6detail17trampoline_kernelINS0_14default_configENS1_21merge_config_selectorINS0_5tupleIJxxEEENS0_10empty_typeEEEZNS1_10merge_implIS3_NS0_12zip_iteratorINS5_IJN6thrust23THRUST_200600_302600_NS6detail15normal_iteratorINSC_10device_ptrIKxEEEESI_EEEEESK_NSA_INS5_IJNSE_INSF_IxEEEESM_EEEEEPS7_SP_SP_NSC_11hip_rocprim7__merge17predicate_wrapperIxxNSC_7greaterIxEEEEEE10hipError_tPvRmT0_T1_T2_T3_T4_T5_mmT6_P12ihipStream_tbEUlT_E_NS1_11comp_targetILNS1_3genE5ELNS1_11target_archE942ELNS1_3gpuE9ELNS1_3repE0EEENS1_30default_config_static_selectorELNS0_4arch9wavefront6targetE0EEEvS10_: ; @_ZN7rocprim17ROCPRIM_400000_NS6detail17trampoline_kernelINS0_14default_configENS1_21merge_config_selectorINS0_5tupleIJxxEEENS0_10empty_typeEEEZNS1_10merge_implIS3_NS0_12zip_iteratorINS5_IJN6thrust23THRUST_200600_302600_NS6detail15normal_iteratorINSC_10device_ptrIKxEEEESI_EEEEESK_NSA_INS5_IJNSE_INSF_IxEEEESM_EEEEEPS7_SP_SP_NSC_11hip_rocprim7__merge17predicate_wrapperIxxNSC_7greaterIxEEEEEE10hipError_tPvRmT0_T1_T2_T3_T4_T5_mmT6_P12ihipStream_tbEUlT_E_NS1_11comp_targetILNS1_3genE5ELNS1_11target_archE942ELNS1_3gpuE9ELNS1_3repE0EEENS1_30default_config_static_selectorELNS0_4arch9wavefront6targetE0EEEvS10_
; %bb.0:
	.section	.rodata,"a",@progbits
	.p2align	6, 0x0
	.amdhsa_kernel _ZN7rocprim17ROCPRIM_400000_NS6detail17trampoline_kernelINS0_14default_configENS1_21merge_config_selectorINS0_5tupleIJxxEEENS0_10empty_typeEEEZNS1_10merge_implIS3_NS0_12zip_iteratorINS5_IJN6thrust23THRUST_200600_302600_NS6detail15normal_iteratorINSC_10device_ptrIKxEEEESI_EEEEESK_NSA_INS5_IJNSE_INSF_IxEEEESM_EEEEEPS7_SP_SP_NSC_11hip_rocprim7__merge17predicate_wrapperIxxNSC_7greaterIxEEEEEE10hipError_tPvRmT0_T1_T2_T3_T4_T5_mmT6_P12ihipStream_tbEUlT_E_NS1_11comp_targetILNS1_3genE5ELNS1_11target_archE942ELNS1_3gpuE9ELNS1_3repE0EEENS1_30default_config_static_selectorELNS0_4arch9wavefront6targetE0EEEvS10_
		.amdhsa_group_segment_fixed_size 0
		.amdhsa_private_segment_fixed_size 0
		.amdhsa_kernarg_size 64
		.amdhsa_user_sgpr_count 2
		.amdhsa_user_sgpr_dispatch_ptr 0
		.amdhsa_user_sgpr_queue_ptr 0
		.amdhsa_user_sgpr_kernarg_segment_ptr 1
		.amdhsa_user_sgpr_dispatch_id 0
		.amdhsa_user_sgpr_kernarg_preload_length 0
		.amdhsa_user_sgpr_kernarg_preload_offset 0
		.amdhsa_user_sgpr_private_segment_size 0
		.amdhsa_wavefront_size32 1
		.amdhsa_uses_dynamic_stack 0
		.amdhsa_enable_private_segment 0
		.amdhsa_system_sgpr_workgroup_id_x 1
		.amdhsa_system_sgpr_workgroup_id_y 0
		.amdhsa_system_sgpr_workgroup_id_z 0
		.amdhsa_system_sgpr_workgroup_info 0
		.amdhsa_system_vgpr_workitem_id 0
		.amdhsa_next_free_vgpr 1
		.amdhsa_next_free_sgpr 1
		.amdhsa_named_barrier_count 0
		.amdhsa_reserve_vcc 0
		.amdhsa_float_round_mode_32 0
		.amdhsa_float_round_mode_16_64 0
		.amdhsa_float_denorm_mode_32 3
		.amdhsa_float_denorm_mode_16_64 3
		.amdhsa_fp16_overflow 0
		.amdhsa_memory_ordered 1
		.amdhsa_forward_progress 1
		.amdhsa_inst_pref_size 0
		.amdhsa_round_robin_scheduling 0
		.amdhsa_exception_fp_ieee_invalid_op 0
		.amdhsa_exception_fp_denorm_src 0
		.amdhsa_exception_fp_ieee_div_zero 0
		.amdhsa_exception_fp_ieee_overflow 0
		.amdhsa_exception_fp_ieee_underflow 0
		.amdhsa_exception_fp_ieee_inexact 0
		.amdhsa_exception_int_div_zero 0
	.end_amdhsa_kernel
	.section	.text._ZN7rocprim17ROCPRIM_400000_NS6detail17trampoline_kernelINS0_14default_configENS1_21merge_config_selectorINS0_5tupleIJxxEEENS0_10empty_typeEEEZNS1_10merge_implIS3_NS0_12zip_iteratorINS5_IJN6thrust23THRUST_200600_302600_NS6detail15normal_iteratorINSC_10device_ptrIKxEEEESI_EEEEESK_NSA_INS5_IJNSE_INSF_IxEEEESM_EEEEEPS7_SP_SP_NSC_11hip_rocprim7__merge17predicate_wrapperIxxNSC_7greaterIxEEEEEE10hipError_tPvRmT0_T1_T2_T3_T4_T5_mmT6_P12ihipStream_tbEUlT_E_NS1_11comp_targetILNS1_3genE5ELNS1_11target_archE942ELNS1_3gpuE9ELNS1_3repE0EEENS1_30default_config_static_selectorELNS0_4arch9wavefront6targetE0EEEvS10_,"axG",@progbits,_ZN7rocprim17ROCPRIM_400000_NS6detail17trampoline_kernelINS0_14default_configENS1_21merge_config_selectorINS0_5tupleIJxxEEENS0_10empty_typeEEEZNS1_10merge_implIS3_NS0_12zip_iteratorINS5_IJN6thrust23THRUST_200600_302600_NS6detail15normal_iteratorINSC_10device_ptrIKxEEEESI_EEEEESK_NSA_INS5_IJNSE_INSF_IxEEEESM_EEEEEPS7_SP_SP_NSC_11hip_rocprim7__merge17predicate_wrapperIxxNSC_7greaterIxEEEEEE10hipError_tPvRmT0_T1_T2_T3_T4_T5_mmT6_P12ihipStream_tbEUlT_E_NS1_11comp_targetILNS1_3genE5ELNS1_11target_archE942ELNS1_3gpuE9ELNS1_3repE0EEENS1_30default_config_static_selectorELNS0_4arch9wavefront6targetE0EEEvS10_,comdat
.Lfunc_end408:
	.size	_ZN7rocprim17ROCPRIM_400000_NS6detail17trampoline_kernelINS0_14default_configENS1_21merge_config_selectorINS0_5tupleIJxxEEENS0_10empty_typeEEEZNS1_10merge_implIS3_NS0_12zip_iteratorINS5_IJN6thrust23THRUST_200600_302600_NS6detail15normal_iteratorINSC_10device_ptrIKxEEEESI_EEEEESK_NSA_INS5_IJNSE_INSF_IxEEEESM_EEEEEPS7_SP_SP_NSC_11hip_rocprim7__merge17predicate_wrapperIxxNSC_7greaterIxEEEEEE10hipError_tPvRmT0_T1_T2_T3_T4_T5_mmT6_P12ihipStream_tbEUlT_E_NS1_11comp_targetILNS1_3genE5ELNS1_11target_archE942ELNS1_3gpuE9ELNS1_3repE0EEENS1_30default_config_static_selectorELNS0_4arch9wavefront6targetE0EEEvS10_, .Lfunc_end408-_ZN7rocprim17ROCPRIM_400000_NS6detail17trampoline_kernelINS0_14default_configENS1_21merge_config_selectorINS0_5tupleIJxxEEENS0_10empty_typeEEEZNS1_10merge_implIS3_NS0_12zip_iteratorINS5_IJN6thrust23THRUST_200600_302600_NS6detail15normal_iteratorINSC_10device_ptrIKxEEEESI_EEEEESK_NSA_INS5_IJNSE_INSF_IxEEEESM_EEEEEPS7_SP_SP_NSC_11hip_rocprim7__merge17predicate_wrapperIxxNSC_7greaterIxEEEEEE10hipError_tPvRmT0_T1_T2_T3_T4_T5_mmT6_P12ihipStream_tbEUlT_E_NS1_11comp_targetILNS1_3genE5ELNS1_11target_archE942ELNS1_3gpuE9ELNS1_3repE0EEENS1_30default_config_static_selectorELNS0_4arch9wavefront6targetE0EEEvS10_
                                        ; -- End function
	.set _ZN7rocprim17ROCPRIM_400000_NS6detail17trampoline_kernelINS0_14default_configENS1_21merge_config_selectorINS0_5tupleIJxxEEENS0_10empty_typeEEEZNS1_10merge_implIS3_NS0_12zip_iteratorINS5_IJN6thrust23THRUST_200600_302600_NS6detail15normal_iteratorINSC_10device_ptrIKxEEEESI_EEEEESK_NSA_INS5_IJNSE_INSF_IxEEEESM_EEEEEPS7_SP_SP_NSC_11hip_rocprim7__merge17predicate_wrapperIxxNSC_7greaterIxEEEEEE10hipError_tPvRmT0_T1_T2_T3_T4_T5_mmT6_P12ihipStream_tbEUlT_E_NS1_11comp_targetILNS1_3genE5ELNS1_11target_archE942ELNS1_3gpuE9ELNS1_3repE0EEENS1_30default_config_static_selectorELNS0_4arch9wavefront6targetE0EEEvS10_.num_vgpr, 0
	.set _ZN7rocprim17ROCPRIM_400000_NS6detail17trampoline_kernelINS0_14default_configENS1_21merge_config_selectorINS0_5tupleIJxxEEENS0_10empty_typeEEEZNS1_10merge_implIS3_NS0_12zip_iteratorINS5_IJN6thrust23THRUST_200600_302600_NS6detail15normal_iteratorINSC_10device_ptrIKxEEEESI_EEEEESK_NSA_INS5_IJNSE_INSF_IxEEEESM_EEEEEPS7_SP_SP_NSC_11hip_rocprim7__merge17predicate_wrapperIxxNSC_7greaterIxEEEEEE10hipError_tPvRmT0_T1_T2_T3_T4_T5_mmT6_P12ihipStream_tbEUlT_E_NS1_11comp_targetILNS1_3genE5ELNS1_11target_archE942ELNS1_3gpuE9ELNS1_3repE0EEENS1_30default_config_static_selectorELNS0_4arch9wavefront6targetE0EEEvS10_.num_agpr, 0
	.set _ZN7rocprim17ROCPRIM_400000_NS6detail17trampoline_kernelINS0_14default_configENS1_21merge_config_selectorINS0_5tupleIJxxEEENS0_10empty_typeEEEZNS1_10merge_implIS3_NS0_12zip_iteratorINS5_IJN6thrust23THRUST_200600_302600_NS6detail15normal_iteratorINSC_10device_ptrIKxEEEESI_EEEEESK_NSA_INS5_IJNSE_INSF_IxEEEESM_EEEEEPS7_SP_SP_NSC_11hip_rocprim7__merge17predicate_wrapperIxxNSC_7greaterIxEEEEEE10hipError_tPvRmT0_T1_T2_T3_T4_T5_mmT6_P12ihipStream_tbEUlT_E_NS1_11comp_targetILNS1_3genE5ELNS1_11target_archE942ELNS1_3gpuE9ELNS1_3repE0EEENS1_30default_config_static_selectorELNS0_4arch9wavefront6targetE0EEEvS10_.numbered_sgpr, 0
	.set _ZN7rocprim17ROCPRIM_400000_NS6detail17trampoline_kernelINS0_14default_configENS1_21merge_config_selectorINS0_5tupleIJxxEEENS0_10empty_typeEEEZNS1_10merge_implIS3_NS0_12zip_iteratorINS5_IJN6thrust23THRUST_200600_302600_NS6detail15normal_iteratorINSC_10device_ptrIKxEEEESI_EEEEESK_NSA_INS5_IJNSE_INSF_IxEEEESM_EEEEEPS7_SP_SP_NSC_11hip_rocprim7__merge17predicate_wrapperIxxNSC_7greaterIxEEEEEE10hipError_tPvRmT0_T1_T2_T3_T4_T5_mmT6_P12ihipStream_tbEUlT_E_NS1_11comp_targetILNS1_3genE5ELNS1_11target_archE942ELNS1_3gpuE9ELNS1_3repE0EEENS1_30default_config_static_selectorELNS0_4arch9wavefront6targetE0EEEvS10_.num_named_barrier, 0
	.set _ZN7rocprim17ROCPRIM_400000_NS6detail17trampoline_kernelINS0_14default_configENS1_21merge_config_selectorINS0_5tupleIJxxEEENS0_10empty_typeEEEZNS1_10merge_implIS3_NS0_12zip_iteratorINS5_IJN6thrust23THRUST_200600_302600_NS6detail15normal_iteratorINSC_10device_ptrIKxEEEESI_EEEEESK_NSA_INS5_IJNSE_INSF_IxEEEESM_EEEEEPS7_SP_SP_NSC_11hip_rocprim7__merge17predicate_wrapperIxxNSC_7greaterIxEEEEEE10hipError_tPvRmT0_T1_T2_T3_T4_T5_mmT6_P12ihipStream_tbEUlT_E_NS1_11comp_targetILNS1_3genE5ELNS1_11target_archE942ELNS1_3gpuE9ELNS1_3repE0EEENS1_30default_config_static_selectorELNS0_4arch9wavefront6targetE0EEEvS10_.private_seg_size, 0
	.set _ZN7rocprim17ROCPRIM_400000_NS6detail17trampoline_kernelINS0_14default_configENS1_21merge_config_selectorINS0_5tupleIJxxEEENS0_10empty_typeEEEZNS1_10merge_implIS3_NS0_12zip_iteratorINS5_IJN6thrust23THRUST_200600_302600_NS6detail15normal_iteratorINSC_10device_ptrIKxEEEESI_EEEEESK_NSA_INS5_IJNSE_INSF_IxEEEESM_EEEEEPS7_SP_SP_NSC_11hip_rocprim7__merge17predicate_wrapperIxxNSC_7greaterIxEEEEEE10hipError_tPvRmT0_T1_T2_T3_T4_T5_mmT6_P12ihipStream_tbEUlT_E_NS1_11comp_targetILNS1_3genE5ELNS1_11target_archE942ELNS1_3gpuE9ELNS1_3repE0EEENS1_30default_config_static_selectorELNS0_4arch9wavefront6targetE0EEEvS10_.uses_vcc, 0
	.set _ZN7rocprim17ROCPRIM_400000_NS6detail17trampoline_kernelINS0_14default_configENS1_21merge_config_selectorINS0_5tupleIJxxEEENS0_10empty_typeEEEZNS1_10merge_implIS3_NS0_12zip_iteratorINS5_IJN6thrust23THRUST_200600_302600_NS6detail15normal_iteratorINSC_10device_ptrIKxEEEESI_EEEEESK_NSA_INS5_IJNSE_INSF_IxEEEESM_EEEEEPS7_SP_SP_NSC_11hip_rocprim7__merge17predicate_wrapperIxxNSC_7greaterIxEEEEEE10hipError_tPvRmT0_T1_T2_T3_T4_T5_mmT6_P12ihipStream_tbEUlT_E_NS1_11comp_targetILNS1_3genE5ELNS1_11target_archE942ELNS1_3gpuE9ELNS1_3repE0EEENS1_30default_config_static_selectorELNS0_4arch9wavefront6targetE0EEEvS10_.uses_flat_scratch, 0
	.set _ZN7rocprim17ROCPRIM_400000_NS6detail17trampoline_kernelINS0_14default_configENS1_21merge_config_selectorINS0_5tupleIJxxEEENS0_10empty_typeEEEZNS1_10merge_implIS3_NS0_12zip_iteratorINS5_IJN6thrust23THRUST_200600_302600_NS6detail15normal_iteratorINSC_10device_ptrIKxEEEESI_EEEEESK_NSA_INS5_IJNSE_INSF_IxEEEESM_EEEEEPS7_SP_SP_NSC_11hip_rocprim7__merge17predicate_wrapperIxxNSC_7greaterIxEEEEEE10hipError_tPvRmT0_T1_T2_T3_T4_T5_mmT6_P12ihipStream_tbEUlT_E_NS1_11comp_targetILNS1_3genE5ELNS1_11target_archE942ELNS1_3gpuE9ELNS1_3repE0EEENS1_30default_config_static_selectorELNS0_4arch9wavefront6targetE0EEEvS10_.has_dyn_sized_stack, 0
	.set _ZN7rocprim17ROCPRIM_400000_NS6detail17trampoline_kernelINS0_14default_configENS1_21merge_config_selectorINS0_5tupleIJxxEEENS0_10empty_typeEEEZNS1_10merge_implIS3_NS0_12zip_iteratorINS5_IJN6thrust23THRUST_200600_302600_NS6detail15normal_iteratorINSC_10device_ptrIKxEEEESI_EEEEESK_NSA_INS5_IJNSE_INSF_IxEEEESM_EEEEEPS7_SP_SP_NSC_11hip_rocprim7__merge17predicate_wrapperIxxNSC_7greaterIxEEEEEE10hipError_tPvRmT0_T1_T2_T3_T4_T5_mmT6_P12ihipStream_tbEUlT_E_NS1_11comp_targetILNS1_3genE5ELNS1_11target_archE942ELNS1_3gpuE9ELNS1_3repE0EEENS1_30default_config_static_selectorELNS0_4arch9wavefront6targetE0EEEvS10_.has_recursion, 0
	.set _ZN7rocprim17ROCPRIM_400000_NS6detail17trampoline_kernelINS0_14default_configENS1_21merge_config_selectorINS0_5tupleIJxxEEENS0_10empty_typeEEEZNS1_10merge_implIS3_NS0_12zip_iteratorINS5_IJN6thrust23THRUST_200600_302600_NS6detail15normal_iteratorINSC_10device_ptrIKxEEEESI_EEEEESK_NSA_INS5_IJNSE_INSF_IxEEEESM_EEEEEPS7_SP_SP_NSC_11hip_rocprim7__merge17predicate_wrapperIxxNSC_7greaterIxEEEEEE10hipError_tPvRmT0_T1_T2_T3_T4_T5_mmT6_P12ihipStream_tbEUlT_E_NS1_11comp_targetILNS1_3genE5ELNS1_11target_archE942ELNS1_3gpuE9ELNS1_3repE0EEENS1_30default_config_static_selectorELNS0_4arch9wavefront6targetE0EEEvS10_.has_indirect_call, 0
	.section	.AMDGPU.csdata,"",@progbits
; Kernel info:
; codeLenInByte = 0
; TotalNumSgprs: 0
; NumVgprs: 0
; ScratchSize: 0
; MemoryBound: 0
; FloatMode: 240
; IeeeMode: 1
; LDSByteSize: 0 bytes/workgroup (compile time only)
; SGPRBlocks: 0
; VGPRBlocks: 0
; NumSGPRsForWavesPerEU: 1
; NumVGPRsForWavesPerEU: 1
; NamedBarCnt: 0
; Occupancy: 16
; WaveLimiterHint : 0
; COMPUTE_PGM_RSRC2:SCRATCH_EN: 0
; COMPUTE_PGM_RSRC2:USER_SGPR: 2
; COMPUTE_PGM_RSRC2:TRAP_HANDLER: 0
; COMPUTE_PGM_RSRC2:TGID_X_EN: 1
; COMPUTE_PGM_RSRC2:TGID_Y_EN: 0
; COMPUTE_PGM_RSRC2:TGID_Z_EN: 0
; COMPUTE_PGM_RSRC2:TIDIG_COMP_CNT: 0
	.section	.text._ZN7rocprim17ROCPRIM_400000_NS6detail17trampoline_kernelINS0_14default_configENS1_21merge_config_selectorINS0_5tupleIJxxEEENS0_10empty_typeEEEZNS1_10merge_implIS3_NS0_12zip_iteratorINS5_IJN6thrust23THRUST_200600_302600_NS6detail15normal_iteratorINSC_10device_ptrIKxEEEESI_EEEEESK_NSA_INS5_IJNSE_INSF_IxEEEESM_EEEEEPS7_SP_SP_NSC_11hip_rocprim7__merge17predicate_wrapperIxxNSC_7greaterIxEEEEEE10hipError_tPvRmT0_T1_T2_T3_T4_T5_mmT6_P12ihipStream_tbEUlT_E_NS1_11comp_targetILNS1_3genE4ELNS1_11target_archE910ELNS1_3gpuE8ELNS1_3repE0EEENS1_30default_config_static_selectorELNS0_4arch9wavefront6targetE0EEEvS10_,"axG",@progbits,_ZN7rocprim17ROCPRIM_400000_NS6detail17trampoline_kernelINS0_14default_configENS1_21merge_config_selectorINS0_5tupleIJxxEEENS0_10empty_typeEEEZNS1_10merge_implIS3_NS0_12zip_iteratorINS5_IJN6thrust23THRUST_200600_302600_NS6detail15normal_iteratorINSC_10device_ptrIKxEEEESI_EEEEESK_NSA_INS5_IJNSE_INSF_IxEEEESM_EEEEEPS7_SP_SP_NSC_11hip_rocprim7__merge17predicate_wrapperIxxNSC_7greaterIxEEEEEE10hipError_tPvRmT0_T1_T2_T3_T4_T5_mmT6_P12ihipStream_tbEUlT_E_NS1_11comp_targetILNS1_3genE4ELNS1_11target_archE910ELNS1_3gpuE8ELNS1_3repE0EEENS1_30default_config_static_selectorELNS0_4arch9wavefront6targetE0EEEvS10_,comdat
	.protected	_ZN7rocprim17ROCPRIM_400000_NS6detail17trampoline_kernelINS0_14default_configENS1_21merge_config_selectorINS0_5tupleIJxxEEENS0_10empty_typeEEEZNS1_10merge_implIS3_NS0_12zip_iteratorINS5_IJN6thrust23THRUST_200600_302600_NS6detail15normal_iteratorINSC_10device_ptrIKxEEEESI_EEEEESK_NSA_INS5_IJNSE_INSF_IxEEEESM_EEEEEPS7_SP_SP_NSC_11hip_rocprim7__merge17predicate_wrapperIxxNSC_7greaterIxEEEEEE10hipError_tPvRmT0_T1_T2_T3_T4_T5_mmT6_P12ihipStream_tbEUlT_E_NS1_11comp_targetILNS1_3genE4ELNS1_11target_archE910ELNS1_3gpuE8ELNS1_3repE0EEENS1_30default_config_static_selectorELNS0_4arch9wavefront6targetE0EEEvS10_ ; -- Begin function _ZN7rocprim17ROCPRIM_400000_NS6detail17trampoline_kernelINS0_14default_configENS1_21merge_config_selectorINS0_5tupleIJxxEEENS0_10empty_typeEEEZNS1_10merge_implIS3_NS0_12zip_iteratorINS5_IJN6thrust23THRUST_200600_302600_NS6detail15normal_iteratorINSC_10device_ptrIKxEEEESI_EEEEESK_NSA_INS5_IJNSE_INSF_IxEEEESM_EEEEEPS7_SP_SP_NSC_11hip_rocprim7__merge17predicate_wrapperIxxNSC_7greaterIxEEEEEE10hipError_tPvRmT0_T1_T2_T3_T4_T5_mmT6_P12ihipStream_tbEUlT_E_NS1_11comp_targetILNS1_3genE4ELNS1_11target_archE910ELNS1_3gpuE8ELNS1_3repE0EEENS1_30default_config_static_selectorELNS0_4arch9wavefront6targetE0EEEvS10_
	.globl	_ZN7rocprim17ROCPRIM_400000_NS6detail17trampoline_kernelINS0_14default_configENS1_21merge_config_selectorINS0_5tupleIJxxEEENS0_10empty_typeEEEZNS1_10merge_implIS3_NS0_12zip_iteratorINS5_IJN6thrust23THRUST_200600_302600_NS6detail15normal_iteratorINSC_10device_ptrIKxEEEESI_EEEEESK_NSA_INS5_IJNSE_INSF_IxEEEESM_EEEEEPS7_SP_SP_NSC_11hip_rocprim7__merge17predicate_wrapperIxxNSC_7greaterIxEEEEEE10hipError_tPvRmT0_T1_T2_T3_T4_T5_mmT6_P12ihipStream_tbEUlT_E_NS1_11comp_targetILNS1_3genE4ELNS1_11target_archE910ELNS1_3gpuE8ELNS1_3repE0EEENS1_30default_config_static_selectorELNS0_4arch9wavefront6targetE0EEEvS10_
	.p2align	8
	.type	_ZN7rocprim17ROCPRIM_400000_NS6detail17trampoline_kernelINS0_14default_configENS1_21merge_config_selectorINS0_5tupleIJxxEEENS0_10empty_typeEEEZNS1_10merge_implIS3_NS0_12zip_iteratorINS5_IJN6thrust23THRUST_200600_302600_NS6detail15normal_iteratorINSC_10device_ptrIKxEEEESI_EEEEESK_NSA_INS5_IJNSE_INSF_IxEEEESM_EEEEEPS7_SP_SP_NSC_11hip_rocprim7__merge17predicate_wrapperIxxNSC_7greaterIxEEEEEE10hipError_tPvRmT0_T1_T2_T3_T4_T5_mmT6_P12ihipStream_tbEUlT_E_NS1_11comp_targetILNS1_3genE4ELNS1_11target_archE910ELNS1_3gpuE8ELNS1_3repE0EEENS1_30default_config_static_selectorELNS0_4arch9wavefront6targetE0EEEvS10_,@function
_ZN7rocprim17ROCPRIM_400000_NS6detail17trampoline_kernelINS0_14default_configENS1_21merge_config_selectorINS0_5tupleIJxxEEENS0_10empty_typeEEEZNS1_10merge_implIS3_NS0_12zip_iteratorINS5_IJN6thrust23THRUST_200600_302600_NS6detail15normal_iteratorINSC_10device_ptrIKxEEEESI_EEEEESK_NSA_INS5_IJNSE_INSF_IxEEEESM_EEEEEPS7_SP_SP_NSC_11hip_rocprim7__merge17predicate_wrapperIxxNSC_7greaterIxEEEEEE10hipError_tPvRmT0_T1_T2_T3_T4_T5_mmT6_P12ihipStream_tbEUlT_E_NS1_11comp_targetILNS1_3genE4ELNS1_11target_archE910ELNS1_3gpuE8ELNS1_3repE0EEENS1_30default_config_static_selectorELNS0_4arch9wavefront6targetE0EEEvS10_: ; @_ZN7rocprim17ROCPRIM_400000_NS6detail17trampoline_kernelINS0_14default_configENS1_21merge_config_selectorINS0_5tupleIJxxEEENS0_10empty_typeEEEZNS1_10merge_implIS3_NS0_12zip_iteratorINS5_IJN6thrust23THRUST_200600_302600_NS6detail15normal_iteratorINSC_10device_ptrIKxEEEESI_EEEEESK_NSA_INS5_IJNSE_INSF_IxEEEESM_EEEEEPS7_SP_SP_NSC_11hip_rocprim7__merge17predicate_wrapperIxxNSC_7greaterIxEEEEEE10hipError_tPvRmT0_T1_T2_T3_T4_T5_mmT6_P12ihipStream_tbEUlT_E_NS1_11comp_targetILNS1_3genE4ELNS1_11target_archE910ELNS1_3gpuE8ELNS1_3repE0EEENS1_30default_config_static_selectorELNS0_4arch9wavefront6targetE0EEEvS10_
; %bb.0:
	.section	.rodata,"a",@progbits
	.p2align	6, 0x0
	.amdhsa_kernel _ZN7rocprim17ROCPRIM_400000_NS6detail17trampoline_kernelINS0_14default_configENS1_21merge_config_selectorINS0_5tupleIJxxEEENS0_10empty_typeEEEZNS1_10merge_implIS3_NS0_12zip_iteratorINS5_IJN6thrust23THRUST_200600_302600_NS6detail15normal_iteratorINSC_10device_ptrIKxEEEESI_EEEEESK_NSA_INS5_IJNSE_INSF_IxEEEESM_EEEEEPS7_SP_SP_NSC_11hip_rocprim7__merge17predicate_wrapperIxxNSC_7greaterIxEEEEEE10hipError_tPvRmT0_T1_T2_T3_T4_T5_mmT6_P12ihipStream_tbEUlT_E_NS1_11comp_targetILNS1_3genE4ELNS1_11target_archE910ELNS1_3gpuE8ELNS1_3repE0EEENS1_30default_config_static_selectorELNS0_4arch9wavefront6targetE0EEEvS10_
		.amdhsa_group_segment_fixed_size 0
		.amdhsa_private_segment_fixed_size 0
		.amdhsa_kernarg_size 64
		.amdhsa_user_sgpr_count 2
		.amdhsa_user_sgpr_dispatch_ptr 0
		.amdhsa_user_sgpr_queue_ptr 0
		.amdhsa_user_sgpr_kernarg_segment_ptr 1
		.amdhsa_user_sgpr_dispatch_id 0
		.amdhsa_user_sgpr_kernarg_preload_length 0
		.amdhsa_user_sgpr_kernarg_preload_offset 0
		.amdhsa_user_sgpr_private_segment_size 0
		.amdhsa_wavefront_size32 1
		.amdhsa_uses_dynamic_stack 0
		.amdhsa_enable_private_segment 0
		.amdhsa_system_sgpr_workgroup_id_x 1
		.amdhsa_system_sgpr_workgroup_id_y 0
		.amdhsa_system_sgpr_workgroup_id_z 0
		.amdhsa_system_sgpr_workgroup_info 0
		.amdhsa_system_vgpr_workitem_id 0
		.amdhsa_next_free_vgpr 1
		.amdhsa_next_free_sgpr 1
		.amdhsa_named_barrier_count 0
		.amdhsa_reserve_vcc 0
		.amdhsa_float_round_mode_32 0
		.amdhsa_float_round_mode_16_64 0
		.amdhsa_float_denorm_mode_32 3
		.amdhsa_float_denorm_mode_16_64 3
		.amdhsa_fp16_overflow 0
		.amdhsa_memory_ordered 1
		.amdhsa_forward_progress 1
		.amdhsa_inst_pref_size 0
		.amdhsa_round_robin_scheduling 0
		.amdhsa_exception_fp_ieee_invalid_op 0
		.amdhsa_exception_fp_denorm_src 0
		.amdhsa_exception_fp_ieee_div_zero 0
		.amdhsa_exception_fp_ieee_overflow 0
		.amdhsa_exception_fp_ieee_underflow 0
		.amdhsa_exception_fp_ieee_inexact 0
		.amdhsa_exception_int_div_zero 0
	.end_amdhsa_kernel
	.section	.text._ZN7rocprim17ROCPRIM_400000_NS6detail17trampoline_kernelINS0_14default_configENS1_21merge_config_selectorINS0_5tupleIJxxEEENS0_10empty_typeEEEZNS1_10merge_implIS3_NS0_12zip_iteratorINS5_IJN6thrust23THRUST_200600_302600_NS6detail15normal_iteratorINSC_10device_ptrIKxEEEESI_EEEEESK_NSA_INS5_IJNSE_INSF_IxEEEESM_EEEEEPS7_SP_SP_NSC_11hip_rocprim7__merge17predicate_wrapperIxxNSC_7greaterIxEEEEEE10hipError_tPvRmT0_T1_T2_T3_T4_T5_mmT6_P12ihipStream_tbEUlT_E_NS1_11comp_targetILNS1_3genE4ELNS1_11target_archE910ELNS1_3gpuE8ELNS1_3repE0EEENS1_30default_config_static_selectorELNS0_4arch9wavefront6targetE0EEEvS10_,"axG",@progbits,_ZN7rocprim17ROCPRIM_400000_NS6detail17trampoline_kernelINS0_14default_configENS1_21merge_config_selectorINS0_5tupleIJxxEEENS0_10empty_typeEEEZNS1_10merge_implIS3_NS0_12zip_iteratorINS5_IJN6thrust23THRUST_200600_302600_NS6detail15normal_iteratorINSC_10device_ptrIKxEEEESI_EEEEESK_NSA_INS5_IJNSE_INSF_IxEEEESM_EEEEEPS7_SP_SP_NSC_11hip_rocprim7__merge17predicate_wrapperIxxNSC_7greaterIxEEEEEE10hipError_tPvRmT0_T1_T2_T3_T4_T5_mmT6_P12ihipStream_tbEUlT_E_NS1_11comp_targetILNS1_3genE4ELNS1_11target_archE910ELNS1_3gpuE8ELNS1_3repE0EEENS1_30default_config_static_selectorELNS0_4arch9wavefront6targetE0EEEvS10_,comdat
.Lfunc_end409:
	.size	_ZN7rocprim17ROCPRIM_400000_NS6detail17trampoline_kernelINS0_14default_configENS1_21merge_config_selectorINS0_5tupleIJxxEEENS0_10empty_typeEEEZNS1_10merge_implIS3_NS0_12zip_iteratorINS5_IJN6thrust23THRUST_200600_302600_NS6detail15normal_iteratorINSC_10device_ptrIKxEEEESI_EEEEESK_NSA_INS5_IJNSE_INSF_IxEEEESM_EEEEEPS7_SP_SP_NSC_11hip_rocprim7__merge17predicate_wrapperIxxNSC_7greaterIxEEEEEE10hipError_tPvRmT0_T1_T2_T3_T4_T5_mmT6_P12ihipStream_tbEUlT_E_NS1_11comp_targetILNS1_3genE4ELNS1_11target_archE910ELNS1_3gpuE8ELNS1_3repE0EEENS1_30default_config_static_selectorELNS0_4arch9wavefront6targetE0EEEvS10_, .Lfunc_end409-_ZN7rocprim17ROCPRIM_400000_NS6detail17trampoline_kernelINS0_14default_configENS1_21merge_config_selectorINS0_5tupleIJxxEEENS0_10empty_typeEEEZNS1_10merge_implIS3_NS0_12zip_iteratorINS5_IJN6thrust23THRUST_200600_302600_NS6detail15normal_iteratorINSC_10device_ptrIKxEEEESI_EEEEESK_NSA_INS5_IJNSE_INSF_IxEEEESM_EEEEEPS7_SP_SP_NSC_11hip_rocprim7__merge17predicate_wrapperIxxNSC_7greaterIxEEEEEE10hipError_tPvRmT0_T1_T2_T3_T4_T5_mmT6_P12ihipStream_tbEUlT_E_NS1_11comp_targetILNS1_3genE4ELNS1_11target_archE910ELNS1_3gpuE8ELNS1_3repE0EEENS1_30default_config_static_selectorELNS0_4arch9wavefront6targetE0EEEvS10_
                                        ; -- End function
	.set _ZN7rocprim17ROCPRIM_400000_NS6detail17trampoline_kernelINS0_14default_configENS1_21merge_config_selectorINS0_5tupleIJxxEEENS0_10empty_typeEEEZNS1_10merge_implIS3_NS0_12zip_iteratorINS5_IJN6thrust23THRUST_200600_302600_NS6detail15normal_iteratorINSC_10device_ptrIKxEEEESI_EEEEESK_NSA_INS5_IJNSE_INSF_IxEEEESM_EEEEEPS7_SP_SP_NSC_11hip_rocprim7__merge17predicate_wrapperIxxNSC_7greaterIxEEEEEE10hipError_tPvRmT0_T1_T2_T3_T4_T5_mmT6_P12ihipStream_tbEUlT_E_NS1_11comp_targetILNS1_3genE4ELNS1_11target_archE910ELNS1_3gpuE8ELNS1_3repE0EEENS1_30default_config_static_selectorELNS0_4arch9wavefront6targetE0EEEvS10_.num_vgpr, 0
	.set _ZN7rocprim17ROCPRIM_400000_NS6detail17trampoline_kernelINS0_14default_configENS1_21merge_config_selectorINS0_5tupleIJxxEEENS0_10empty_typeEEEZNS1_10merge_implIS3_NS0_12zip_iteratorINS5_IJN6thrust23THRUST_200600_302600_NS6detail15normal_iteratorINSC_10device_ptrIKxEEEESI_EEEEESK_NSA_INS5_IJNSE_INSF_IxEEEESM_EEEEEPS7_SP_SP_NSC_11hip_rocprim7__merge17predicate_wrapperIxxNSC_7greaterIxEEEEEE10hipError_tPvRmT0_T1_T2_T3_T4_T5_mmT6_P12ihipStream_tbEUlT_E_NS1_11comp_targetILNS1_3genE4ELNS1_11target_archE910ELNS1_3gpuE8ELNS1_3repE0EEENS1_30default_config_static_selectorELNS0_4arch9wavefront6targetE0EEEvS10_.num_agpr, 0
	.set _ZN7rocprim17ROCPRIM_400000_NS6detail17trampoline_kernelINS0_14default_configENS1_21merge_config_selectorINS0_5tupleIJxxEEENS0_10empty_typeEEEZNS1_10merge_implIS3_NS0_12zip_iteratorINS5_IJN6thrust23THRUST_200600_302600_NS6detail15normal_iteratorINSC_10device_ptrIKxEEEESI_EEEEESK_NSA_INS5_IJNSE_INSF_IxEEEESM_EEEEEPS7_SP_SP_NSC_11hip_rocprim7__merge17predicate_wrapperIxxNSC_7greaterIxEEEEEE10hipError_tPvRmT0_T1_T2_T3_T4_T5_mmT6_P12ihipStream_tbEUlT_E_NS1_11comp_targetILNS1_3genE4ELNS1_11target_archE910ELNS1_3gpuE8ELNS1_3repE0EEENS1_30default_config_static_selectorELNS0_4arch9wavefront6targetE0EEEvS10_.numbered_sgpr, 0
	.set _ZN7rocprim17ROCPRIM_400000_NS6detail17trampoline_kernelINS0_14default_configENS1_21merge_config_selectorINS0_5tupleIJxxEEENS0_10empty_typeEEEZNS1_10merge_implIS3_NS0_12zip_iteratorINS5_IJN6thrust23THRUST_200600_302600_NS6detail15normal_iteratorINSC_10device_ptrIKxEEEESI_EEEEESK_NSA_INS5_IJNSE_INSF_IxEEEESM_EEEEEPS7_SP_SP_NSC_11hip_rocprim7__merge17predicate_wrapperIxxNSC_7greaterIxEEEEEE10hipError_tPvRmT0_T1_T2_T3_T4_T5_mmT6_P12ihipStream_tbEUlT_E_NS1_11comp_targetILNS1_3genE4ELNS1_11target_archE910ELNS1_3gpuE8ELNS1_3repE0EEENS1_30default_config_static_selectorELNS0_4arch9wavefront6targetE0EEEvS10_.num_named_barrier, 0
	.set _ZN7rocprim17ROCPRIM_400000_NS6detail17trampoline_kernelINS0_14default_configENS1_21merge_config_selectorINS0_5tupleIJxxEEENS0_10empty_typeEEEZNS1_10merge_implIS3_NS0_12zip_iteratorINS5_IJN6thrust23THRUST_200600_302600_NS6detail15normal_iteratorINSC_10device_ptrIKxEEEESI_EEEEESK_NSA_INS5_IJNSE_INSF_IxEEEESM_EEEEEPS7_SP_SP_NSC_11hip_rocprim7__merge17predicate_wrapperIxxNSC_7greaterIxEEEEEE10hipError_tPvRmT0_T1_T2_T3_T4_T5_mmT6_P12ihipStream_tbEUlT_E_NS1_11comp_targetILNS1_3genE4ELNS1_11target_archE910ELNS1_3gpuE8ELNS1_3repE0EEENS1_30default_config_static_selectorELNS0_4arch9wavefront6targetE0EEEvS10_.private_seg_size, 0
	.set _ZN7rocprim17ROCPRIM_400000_NS6detail17trampoline_kernelINS0_14default_configENS1_21merge_config_selectorINS0_5tupleIJxxEEENS0_10empty_typeEEEZNS1_10merge_implIS3_NS0_12zip_iteratorINS5_IJN6thrust23THRUST_200600_302600_NS6detail15normal_iteratorINSC_10device_ptrIKxEEEESI_EEEEESK_NSA_INS5_IJNSE_INSF_IxEEEESM_EEEEEPS7_SP_SP_NSC_11hip_rocprim7__merge17predicate_wrapperIxxNSC_7greaterIxEEEEEE10hipError_tPvRmT0_T1_T2_T3_T4_T5_mmT6_P12ihipStream_tbEUlT_E_NS1_11comp_targetILNS1_3genE4ELNS1_11target_archE910ELNS1_3gpuE8ELNS1_3repE0EEENS1_30default_config_static_selectorELNS0_4arch9wavefront6targetE0EEEvS10_.uses_vcc, 0
	.set _ZN7rocprim17ROCPRIM_400000_NS6detail17trampoline_kernelINS0_14default_configENS1_21merge_config_selectorINS0_5tupleIJxxEEENS0_10empty_typeEEEZNS1_10merge_implIS3_NS0_12zip_iteratorINS5_IJN6thrust23THRUST_200600_302600_NS6detail15normal_iteratorINSC_10device_ptrIKxEEEESI_EEEEESK_NSA_INS5_IJNSE_INSF_IxEEEESM_EEEEEPS7_SP_SP_NSC_11hip_rocprim7__merge17predicate_wrapperIxxNSC_7greaterIxEEEEEE10hipError_tPvRmT0_T1_T2_T3_T4_T5_mmT6_P12ihipStream_tbEUlT_E_NS1_11comp_targetILNS1_3genE4ELNS1_11target_archE910ELNS1_3gpuE8ELNS1_3repE0EEENS1_30default_config_static_selectorELNS0_4arch9wavefront6targetE0EEEvS10_.uses_flat_scratch, 0
	.set _ZN7rocprim17ROCPRIM_400000_NS6detail17trampoline_kernelINS0_14default_configENS1_21merge_config_selectorINS0_5tupleIJxxEEENS0_10empty_typeEEEZNS1_10merge_implIS3_NS0_12zip_iteratorINS5_IJN6thrust23THRUST_200600_302600_NS6detail15normal_iteratorINSC_10device_ptrIKxEEEESI_EEEEESK_NSA_INS5_IJNSE_INSF_IxEEEESM_EEEEEPS7_SP_SP_NSC_11hip_rocprim7__merge17predicate_wrapperIxxNSC_7greaterIxEEEEEE10hipError_tPvRmT0_T1_T2_T3_T4_T5_mmT6_P12ihipStream_tbEUlT_E_NS1_11comp_targetILNS1_3genE4ELNS1_11target_archE910ELNS1_3gpuE8ELNS1_3repE0EEENS1_30default_config_static_selectorELNS0_4arch9wavefront6targetE0EEEvS10_.has_dyn_sized_stack, 0
	.set _ZN7rocprim17ROCPRIM_400000_NS6detail17trampoline_kernelINS0_14default_configENS1_21merge_config_selectorINS0_5tupleIJxxEEENS0_10empty_typeEEEZNS1_10merge_implIS3_NS0_12zip_iteratorINS5_IJN6thrust23THRUST_200600_302600_NS6detail15normal_iteratorINSC_10device_ptrIKxEEEESI_EEEEESK_NSA_INS5_IJNSE_INSF_IxEEEESM_EEEEEPS7_SP_SP_NSC_11hip_rocprim7__merge17predicate_wrapperIxxNSC_7greaterIxEEEEEE10hipError_tPvRmT0_T1_T2_T3_T4_T5_mmT6_P12ihipStream_tbEUlT_E_NS1_11comp_targetILNS1_3genE4ELNS1_11target_archE910ELNS1_3gpuE8ELNS1_3repE0EEENS1_30default_config_static_selectorELNS0_4arch9wavefront6targetE0EEEvS10_.has_recursion, 0
	.set _ZN7rocprim17ROCPRIM_400000_NS6detail17trampoline_kernelINS0_14default_configENS1_21merge_config_selectorINS0_5tupleIJxxEEENS0_10empty_typeEEEZNS1_10merge_implIS3_NS0_12zip_iteratorINS5_IJN6thrust23THRUST_200600_302600_NS6detail15normal_iteratorINSC_10device_ptrIKxEEEESI_EEEEESK_NSA_INS5_IJNSE_INSF_IxEEEESM_EEEEEPS7_SP_SP_NSC_11hip_rocprim7__merge17predicate_wrapperIxxNSC_7greaterIxEEEEEE10hipError_tPvRmT0_T1_T2_T3_T4_T5_mmT6_P12ihipStream_tbEUlT_E_NS1_11comp_targetILNS1_3genE4ELNS1_11target_archE910ELNS1_3gpuE8ELNS1_3repE0EEENS1_30default_config_static_selectorELNS0_4arch9wavefront6targetE0EEEvS10_.has_indirect_call, 0
	.section	.AMDGPU.csdata,"",@progbits
; Kernel info:
; codeLenInByte = 0
; TotalNumSgprs: 0
; NumVgprs: 0
; ScratchSize: 0
; MemoryBound: 0
; FloatMode: 240
; IeeeMode: 1
; LDSByteSize: 0 bytes/workgroup (compile time only)
; SGPRBlocks: 0
; VGPRBlocks: 0
; NumSGPRsForWavesPerEU: 1
; NumVGPRsForWavesPerEU: 1
; NamedBarCnt: 0
; Occupancy: 16
; WaveLimiterHint : 0
; COMPUTE_PGM_RSRC2:SCRATCH_EN: 0
; COMPUTE_PGM_RSRC2:USER_SGPR: 2
; COMPUTE_PGM_RSRC2:TRAP_HANDLER: 0
; COMPUTE_PGM_RSRC2:TGID_X_EN: 1
; COMPUTE_PGM_RSRC2:TGID_Y_EN: 0
; COMPUTE_PGM_RSRC2:TGID_Z_EN: 0
; COMPUTE_PGM_RSRC2:TIDIG_COMP_CNT: 0
	.section	.text._ZN7rocprim17ROCPRIM_400000_NS6detail17trampoline_kernelINS0_14default_configENS1_21merge_config_selectorINS0_5tupleIJxxEEENS0_10empty_typeEEEZNS1_10merge_implIS3_NS0_12zip_iteratorINS5_IJN6thrust23THRUST_200600_302600_NS6detail15normal_iteratorINSC_10device_ptrIKxEEEESI_EEEEESK_NSA_INS5_IJNSE_INSF_IxEEEESM_EEEEEPS7_SP_SP_NSC_11hip_rocprim7__merge17predicate_wrapperIxxNSC_7greaterIxEEEEEE10hipError_tPvRmT0_T1_T2_T3_T4_T5_mmT6_P12ihipStream_tbEUlT_E_NS1_11comp_targetILNS1_3genE3ELNS1_11target_archE908ELNS1_3gpuE7ELNS1_3repE0EEENS1_30default_config_static_selectorELNS0_4arch9wavefront6targetE0EEEvS10_,"axG",@progbits,_ZN7rocprim17ROCPRIM_400000_NS6detail17trampoline_kernelINS0_14default_configENS1_21merge_config_selectorINS0_5tupleIJxxEEENS0_10empty_typeEEEZNS1_10merge_implIS3_NS0_12zip_iteratorINS5_IJN6thrust23THRUST_200600_302600_NS6detail15normal_iteratorINSC_10device_ptrIKxEEEESI_EEEEESK_NSA_INS5_IJNSE_INSF_IxEEEESM_EEEEEPS7_SP_SP_NSC_11hip_rocprim7__merge17predicate_wrapperIxxNSC_7greaterIxEEEEEE10hipError_tPvRmT0_T1_T2_T3_T4_T5_mmT6_P12ihipStream_tbEUlT_E_NS1_11comp_targetILNS1_3genE3ELNS1_11target_archE908ELNS1_3gpuE7ELNS1_3repE0EEENS1_30default_config_static_selectorELNS0_4arch9wavefront6targetE0EEEvS10_,comdat
	.protected	_ZN7rocprim17ROCPRIM_400000_NS6detail17trampoline_kernelINS0_14default_configENS1_21merge_config_selectorINS0_5tupleIJxxEEENS0_10empty_typeEEEZNS1_10merge_implIS3_NS0_12zip_iteratorINS5_IJN6thrust23THRUST_200600_302600_NS6detail15normal_iteratorINSC_10device_ptrIKxEEEESI_EEEEESK_NSA_INS5_IJNSE_INSF_IxEEEESM_EEEEEPS7_SP_SP_NSC_11hip_rocprim7__merge17predicate_wrapperIxxNSC_7greaterIxEEEEEE10hipError_tPvRmT0_T1_T2_T3_T4_T5_mmT6_P12ihipStream_tbEUlT_E_NS1_11comp_targetILNS1_3genE3ELNS1_11target_archE908ELNS1_3gpuE7ELNS1_3repE0EEENS1_30default_config_static_selectorELNS0_4arch9wavefront6targetE0EEEvS10_ ; -- Begin function _ZN7rocprim17ROCPRIM_400000_NS6detail17trampoline_kernelINS0_14default_configENS1_21merge_config_selectorINS0_5tupleIJxxEEENS0_10empty_typeEEEZNS1_10merge_implIS3_NS0_12zip_iteratorINS5_IJN6thrust23THRUST_200600_302600_NS6detail15normal_iteratorINSC_10device_ptrIKxEEEESI_EEEEESK_NSA_INS5_IJNSE_INSF_IxEEEESM_EEEEEPS7_SP_SP_NSC_11hip_rocprim7__merge17predicate_wrapperIxxNSC_7greaterIxEEEEEE10hipError_tPvRmT0_T1_T2_T3_T4_T5_mmT6_P12ihipStream_tbEUlT_E_NS1_11comp_targetILNS1_3genE3ELNS1_11target_archE908ELNS1_3gpuE7ELNS1_3repE0EEENS1_30default_config_static_selectorELNS0_4arch9wavefront6targetE0EEEvS10_
	.globl	_ZN7rocprim17ROCPRIM_400000_NS6detail17trampoline_kernelINS0_14default_configENS1_21merge_config_selectorINS0_5tupleIJxxEEENS0_10empty_typeEEEZNS1_10merge_implIS3_NS0_12zip_iteratorINS5_IJN6thrust23THRUST_200600_302600_NS6detail15normal_iteratorINSC_10device_ptrIKxEEEESI_EEEEESK_NSA_INS5_IJNSE_INSF_IxEEEESM_EEEEEPS7_SP_SP_NSC_11hip_rocprim7__merge17predicate_wrapperIxxNSC_7greaterIxEEEEEE10hipError_tPvRmT0_T1_T2_T3_T4_T5_mmT6_P12ihipStream_tbEUlT_E_NS1_11comp_targetILNS1_3genE3ELNS1_11target_archE908ELNS1_3gpuE7ELNS1_3repE0EEENS1_30default_config_static_selectorELNS0_4arch9wavefront6targetE0EEEvS10_
	.p2align	8
	.type	_ZN7rocprim17ROCPRIM_400000_NS6detail17trampoline_kernelINS0_14default_configENS1_21merge_config_selectorINS0_5tupleIJxxEEENS0_10empty_typeEEEZNS1_10merge_implIS3_NS0_12zip_iteratorINS5_IJN6thrust23THRUST_200600_302600_NS6detail15normal_iteratorINSC_10device_ptrIKxEEEESI_EEEEESK_NSA_INS5_IJNSE_INSF_IxEEEESM_EEEEEPS7_SP_SP_NSC_11hip_rocprim7__merge17predicate_wrapperIxxNSC_7greaterIxEEEEEE10hipError_tPvRmT0_T1_T2_T3_T4_T5_mmT6_P12ihipStream_tbEUlT_E_NS1_11comp_targetILNS1_3genE3ELNS1_11target_archE908ELNS1_3gpuE7ELNS1_3repE0EEENS1_30default_config_static_selectorELNS0_4arch9wavefront6targetE0EEEvS10_,@function
_ZN7rocprim17ROCPRIM_400000_NS6detail17trampoline_kernelINS0_14default_configENS1_21merge_config_selectorINS0_5tupleIJxxEEENS0_10empty_typeEEEZNS1_10merge_implIS3_NS0_12zip_iteratorINS5_IJN6thrust23THRUST_200600_302600_NS6detail15normal_iteratorINSC_10device_ptrIKxEEEESI_EEEEESK_NSA_INS5_IJNSE_INSF_IxEEEESM_EEEEEPS7_SP_SP_NSC_11hip_rocprim7__merge17predicate_wrapperIxxNSC_7greaterIxEEEEEE10hipError_tPvRmT0_T1_T2_T3_T4_T5_mmT6_P12ihipStream_tbEUlT_E_NS1_11comp_targetILNS1_3genE3ELNS1_11target_archE908ELNS1_3gpuE7ELNS1_3repE0EEENS1_30default_config_static_selectorELNS0_4arch9wavefront6targetE0EEEvS10_: ; @_ZN7rocprim17ROCPRIM_400000_NS6detail17trampoline_kernelINS0_14default_configENS1_21merge_config_selectorINS0_5tupleIJxxEEENS0_10empty_typeEEEZNS1_10merge_implIS3_NS0_12zip_iteratorINS5_IJN6thrust23THRUST_200600_302600_NS6detail15normal_iteratorINSC_10device_ptrIKxEEEESI_EEEEESK_NSA_INS5_IJNSE_INSF_IxEEEESM_EEEEEPS7_SP_SP_NSC_11hip_rocprim7__merge17predicate_wrapperIxxNSC_7greaterIxEEEEEE10hipError_tPvRmT0_T1_T2_T3_T4_T5_mmT6_P12ihipStream_tbEUlT_E_NS1_11comp_targetILNS1_3genE3ELNS1_11target_archE908ELNS1_3gpuE7ELNS1_3repE0EEENS1_30default_config_static_selectorELNS0_4arch9wavefront6targetE0EEEvS10_
; %bb.0:
	.section	.rodata,"a",@progbits
	.p2align	6, 0x0
	.amdhsa_kernel _ZN7rocprim17ROCPRIM_400000_NS6detail17trampoline_kernelINS0_14default_configENS1_21merge_config_selectorINS0_5tupleIJxxEEENS0_10empty_typeEEEZNS1_10merge_implIS3_NS0_12zip_iteratorINS5_IJN6thrust23THRUST_200600_302600_NS6detail15normal_iteratorINSC_10device_ptrIKxEEEESI_EEEEESK_NSA_INS5_IJNSE_INSF_IxEEEESM_EEEEEPS7_SP_SP_NSC_11hip_rocprim7__merge17predicate_wrapperIxxNSC_7greaterIxEEEEEE10hipError_tPvRmT0_T1_T2_T3_T4_T5_mmT6_P12ihipStream_tbEUlT_E_NS1_11comp_targetILNS1_3genE3ELNS1_11target_archE908ELNS1_3gpuE7ELNS1_3repE0EEENS1_30default_config_static_selectorELNS0_4arch9wavefront6targetE0EEEvS10_
		.amdhsa_group_segment_fixed_size 0
		.amdhsa_private_segment_fixed_size 0
		.amdhsa_kernarg_size 64
		.amdhsa_user_sgpr_count 2
		.amdhsa_user_sgpr_dispatch_ptr 0
		.amdhsa_user_sgpr_queue_ptr 0
		.amdhsa_user_sgpr_kernarg_segment_ptr 1
		.amdhsa_user_sgpr_dispatch_id 0
		.amdhsa_user_sgpr_kernarg_preload_length 0
		.amdhsa_user_sgpr_kernarg_preload_offset 0
		.amdhsa_user_sgpr_private_segment_size 0
		.amdhsa_wavefront_size32 1
		.amdhsa_uses_dynamic_stack 0
		.amdhsa_enable_private_segment 0
		.amdhsa_system_sgpr_workgroup_id_x 1
		.amdhsa_system_sgpr_workgroup_id_y 0
		.amdhsa_system_sgpr_workgroup_id_z 0
		.amdhsa_system_sgpr_workgroup_info 0
		.amdhsa_system_vgpr_workitem_id 0
		.amdhsa_next_free_vgpr 1
		.amdhsa_next_free_sgpr 1
		.amdhsa_named_barrier_count 0
		.amdhsa_reserve_vcc 0
		.amdhsa_float_round_mode_32 0
		.amdhsa_float_round_mode_16_64 0
		.amdhsa_float_denorm_mode_32 3
		.amdhsa_float_denorm_mode_16_64 3
		.amdhsa_fp16_overflow 0
		.amdhsa_memory_ordered 1
		.amdhsa_forward_progress 1
		.amdhsa_inst_pref_size 0
		.amdhsa_round_robin_scheduling 0
		.amdhsa_exception_fp_ieee_invalid_op 0
		.amdhsa_exception_fp_denorm_src 0
		.amdhsa_exception_fp_ieee_div_zero 0
		.amdhsa_exception_fp_ieee_overflow 0
		.amdhsa_exception_fp_ieee_underflow 0
		.amdhsa_exception_fp_ieee_inexact 0
		.amdhsa_exception_int_div_zero 0
	.end_amdhsa_kernel
	.section	.text._ZN7rocprim17ROCPRIM_400000_NS6detail17trampoline_kernelINS0_14default_configENS1_21merge_config_selectorINS0_5tupleIJxxEEENS0_10empty_typeEEEZNS1_10merge_implIS3_NS0_12zip_iteratorINS5_IJN6thrust23THRUST_200600_302600_NS6detail15normal_iteratorINSC_10device_ptrIKxEEEESI_EEEEESK_NSA_INS5_IJNSE_INSF_IxEEEESM_EEEEEPS7_SP_SP_NSC_11hip_rocprim7__merge17predicate_wrapperIxxNSC_7greaterIxEEEEEE10hipError_tPvRmT0_T1_T2_T3_T4_T5_mmT6_P12ihipStream_tbEUlT_E_NS1_11comp_targetILNS1_3genE3ELNS1_11target_archE908ELNS1_3gpuE7ELNS1_3repE0EEENS1_30default_config_static_selectorELNS0_4arch9wavefront6targetE0EEEvS10_,"axG",@progbits,_ZN7rocprim17ROCPRIM_400000_NS6detail17trampoline_kernelINS0_14default_configENS1_21merge_config_selectorINS0_5tupleIJxxEEENS0_10empty_typeEEEZNS1_10merge_implIS3_NS0_12zip_iteratorINS5_IJN6thrust23THRUST_200600_302600_NS6detail15normal_iteratorINSC_10device_ptrIKxEEEESI_EEEEESK_NSA_INS5_IJNSE_INSF_IxEEEESM_EEEEEPS7_SP_SP_NSC_11hip_rocprim7__merge17predicate_wrapperIxxNSC_7greaterIxEEEEEE10hipError_tPvRmT0_T1_T2_T3_T4_T5_mmT6_P12ihipStream_tbEUlT_E_NS1_11comp_targetILNS1_3genE3ELNS1_11target_archE908ELNS1_3gpuE7ELNS1_3repE0EEENS1_30default_config_static_selectorELNS0_4arch9wavefront6targetE0EEEvS10_,comdat
.Lfunc_end410:
	.size	_ZN7rocprim17ROCPRIM_400000_NS6detail17trampoline_kernelINS0_14default_configENS1_21merge_config_selectorINS0_5tupleIJxxEEENS0_10empty_typeEEEZNS1_10merge_implIS3_NS0_12zip_iteratorINS5_IJN6thrust23THRUST_200600_302600_NS6detail15normal_iteratorINSC_10device_ptrIKxEEEESI_EEEEESK_NSA_INS5_IJNSE_INSF_IxEEEESM_EEEEEPS7_SP_SP_NSC_11hip_rocprim7__merge17predicate_wrapperIxxNSC_7greaterIxEEEEEE10hipError_tPvRmT0_T1_T2_T3_T4_T5_mmT6_P12ihipStream_tbEUlT_E_NS1_11comp_targetILNS1_3genE3ELNS1_11target_archE908ELNS1_3gpuE7ELNS1_3repE0EEENS1_30default_config_static_selectorELNS0_4arch9wavefront6targetE0EEEvS10_, .Lfunc_end410-_ZN7rocprim17ROCPRIM_400000_NS6detail17trampoline_kernelINS0_14default_configENS1_21merge_config_selectorINS0_5tupleIJxxEEENS0_10empty_typeEEEZNS1_10merge_implIS3_NS0_12zip_iteratorINS5_IJN6thrust23THRUST_200600_302600_NS6detail15normal_iteratorINSC_10device_ptrIKxEEEESI_EEEEESK_NSA_INS5_IJNSE_INSF_IxEEEESM_EEEEEPS7_SP_SP_NSC_11hip_rocprim7__merge17predicate_wrapperIxxNSC_7greaterIxEEEEEE10hipError_tPvRmT0_T1_T2_T3_T4_T5_mmT6_P12ihipStream_tbEUlT_E_NS1_11comp_targetILNS1_3genE3ELNS1_11target_archE908ELNS1_3gpuE7ELNS1_3repE0EEENS1_30default_config_static_selectorELNS0_4arch9wavefront6targetE0EEEvS10_
                                        ; -- End function
	.set _ZN7rocprim17ROCPRIM_400000_NS6detail17trampoline_kernelINS0_14default_configENS1_21merge_config_selectorINS0_5tupleIJxxEEENS0_10empty_typeEEEZNS1_10merge_implIS3_NS0_12zip_iteratorINS5_IJN6thrust23THRUST_200600_302600_NS6detail15normal_iteratorINSC_10device_ptrIKxEEEESI_EEEEESK_NSA_INS5_IJNSE_INSF_IxEEEESM_EEEEEPS7_SP_SP_NSC_11hip_rocprim7__merge17predicate_wrapperIxxNSC_7greaterIxEEEEEE10hipError_tPvRmT0_T1_T2_T3_T4_T5_mmT6_P12ihipStream_tbEUlT_E_NS1_11comp_targetILNS1_3genE3ELNS1_11target_archE908ELNS1_3gpuE7ELNS1_3repE0EEENS1_30default_config_static_selectorELNS0_4arch9wavefront6targetE0EEEvS10_.num_vgpr, 0
	.set _ZN7rocprim17ROCPRIM_400000_NS6detail17trampoline_kernelINS0_14default_configENS1_21merge_config_selectorINS0_5tupleIJxxEEENS0_10empty_typeEEEZNS1_10merge_implIS3_NS0_12zip_iteratorINS5_IJN6thrust23THRUST_200600_302600_NS6detail15normal_iteratorINSC_10device_ptrIKxEEEESI_EEEEESK_NSA_INS5_IJNSE_INSF_IxEEEESM_EEEEEPS7_SP_SP_NSC_11hip_rocprim7__merge17predicate_wrapperIxxNSC_7greaterIxEEEEEE10hipError_tPvRmT0_T1_T2_T3_T4_T5_mmT6_P12ihipStream_tbEUlT_E_NS1_11comp_targetILNS1_3genE3ELNS1_11target_archE908ELNS1_3gpuE7ELNS1_3repE0EEENS1_30default_config_static_selectorELNS0_4arch9wavefront6targetE0EEEvS10_.num_agpr, 0
	.set _ZN7rocprim17ROCPRIM_400000_NS6detail17trampoline_kernelINS0_14default_configENS1_21merge_config_selectorINS0_5tupleIJxxEEENS0_10empty_typeEEEZNS1_10merge_implIS3_NS0_12zip_iteratorINS5_IJN6thrust23THRUST_200600_302600_NS6detail15normal_iteratorINSC_10device_ptrIKxEEEESI_EEEEESK_NSA_INS5_IJNSE_INSF_IxEEEESM_EEEEEPS7_SP_SP_NSC_11hip_rocprim7__merge17predicate_wrapperIxxNSC_7greaterIxEEEEEE10hipError_tPvRmT0_T1_T2_T3_T4_T5_mmT6_P12ihipStream_tbEUlT_E_NS1_11comp_targetILNS1_3genE3ELNS1_11target_archE908ELNS1_3gpuE7ELNS1_3repE0EEENS1_30default_config_static_selectorELNS0_4arch9wavefront6targetE0EEEvS10_.numbered_sgpr, 0
	.set _ZN7rocprim17ROCPRIM_400000_NS6detail17trampoline_kernelINS0_14default_configENS1_21merge_config_selectorINS0_5tupleIJxxEEENS0_10empty_typeEEEZNS1_10merge_implIS3_NS0_12zip_iteratorINS5_IJN6thrust23THRUST_200600_302600_NS6detail15normal_iteratorINSC_10device_ptrIKxEEEESI_EEEEESK_NSA_INS5_IJNSE_INSF_IxEEEESM_EEEEEPS7_SP_SP_NSC_11hip_rocprim7__merge17predicate_wrapperIxxNSC_7greaterIxEEEEEE10hipError_tPvRmT0_T1_T2_T3_T4_T5_mmT6_P12ihipStream_tbEUlT_E_NS1_11comp_targetILNS1_3genE3ELNS1_11target_archE908ELNS1_3gpuE7ELNS1_3repE0EEENS1_30default_config_static_selectorELNS0_4arch9wavefront6targetE0EEEvS10_.num_named_barrier, 0
	.set _ZN7rocprim17ROCPRIM_400000_NS6detail17trampoline_kernelINS0_14default_configENS1_21merge_config_selectorINS0_5tupleIJxxEEENS0_10empty_typeEEEZNS1_10merge_implIS3_NS0_12zip_iteratorINS5_IJN6thrust23THRUST_200600_302600_NS6detail15normal_iteratorINSC_10device_ptrIKxEEEESI_EEEEESK_NSA_INS5_IJNSE_INSF_IxEEEESM_EEEEEPS7_SP_SP_NSC_11hip_rocprim7__merge17predicate_wrapperIxxNSC_7greaterIxEEEEEE10hipError_tPvRmT0_T1_T2_T3_T4_T5_mmT6_P12ihipStream_tbEUlT_E_NS1_11comp_targetILNS1_3genE3ELNS1_11target_archE908ELNS1_3gpuE7ELNS1_3repE0EEENS1_30default_config_static_selectorELNS0_4arch9wavefront6targetE0EEEvS10_.private_seg_size, 0
	.set _ZN7rocprim17ROCPRIM_400000_NS6detail17trampoline_kernelINS0_14default_configENS1_21merge_config_selectorINS0_5tupleIJxxEEENS0_10empty_typeEEEZNS1_10merge_implIS3_NS0_12zip_iteratorINS5_IJN6thrust23THRUST_200600_302600_NS6detail15normal_iteratorINSC_10device_ptrIKxEEEESI_EEEEESK_NSA_INS5_IJNSE_INSF_IxEEEESM_EEEEEPS7_SP_SP_NSC_11hip_rocprim7__merge17predicate_wrapperIxxNSC_7greaterIxEEEEEE10hipError_tPvRmT0_T1_T2_T3_T4_T5_mmT6_P12ihipStream_tbEUlT_E_NS1_11comp_targetILNS1_3genE3ELNS1_11target_archE908ELNS1_3gpuE7ELNS1_3repE0EEENS1_30default_config_static_selectorELNS0_4arch9wavefront6targetE0EEEvS10_.uses_vcc, 0
	.set _ZN7rocprim17ROCPRIM_400000_NS6detail17trampoline_kernelINS0_14default_configENS1_21merge_config_selectorINS0_5tupleIJxxEEENS0_10empty_typeEEEZNS1_10merge_implIS3_NS0_12zip_iteratorINS5_IJN6thrust23THRUST_200600_302600_NS6detail15normal_iteratorINSC_10device_ptrIKxEEEESI_EEEEESK_NSA_INS5_IJNSE_INSF_IxEEEESM_EEEEEPS7_SP_SP_NSC_11hip_rocprim7__merge17predicate_wrapperIxxNSC_7greaterIxEEEEEE10hipError_tPvRmT0_T1_T2_T3_T4_T5_mmT6_P12ihipStream_tbEUlT_E_NS1_11comp_targetILNS1_3genE3ELNS1_11target_archE908ELNS1_3gpuE7ELNS1_3repE0EEENS1_30default_config_static_selectorELNS0_4arch9wavefront6targetE0EEEvS10_.uses_flat_scratch, 0
	.set _ZN7rocprim17ROCPRIM_400000_NS6detail17trampoline_kernelINS0_14default_configENS1_21merge_config_selectorINS0_5tupleIJxxEEENS0_10empty_typeEEEZNS1_10merge_implIS3_NS0_12zip_iteratorINS5_IJN6thrust23THRUST_200600_302600_NS6detail15normal_iteratorINSC_10device_ptrIKxEEEESI_EEEEESK_NSA_INS5_IJNSE_INSF_IxEEEESM_EEEEEPS7_SP_SP_NSC_11hip_rocprim7__merge17predicate_wrapperIxxNSC_7greaterIxEEEEEE10hipError_tPvRmT0_T1_T2_T3_T4_T5_mmT6_P12ihipStream_tbEUlT_E_NS1_11comp_targetILNS1_3genE3ELNS1_11target_archE908ELNS1_3gpuE7ELNS1_3repE0EEENS1_30default_config_static_selectorELNS0_4arch9wavefront6targetE0EEEvS10_.has_dyn_sized_stack, 0
	.set _ZN7rocprim17ROCPRIM_400000_NS6detail17trampoline_kernelINS0_14default_configENS1_21merge_config_selectorINS0_5tupleIJxxEEENS0_10empty_typeEEEZNS1_10merge_implIS3_NS0_12zip_iteratorINS5_IJN6thrust23THRUST_200600_302600_NS6detail15normal_iteratorINSC_10device_ptrIKxEEEESI_EEEEESK_NSA_INS5_IJNSE_INSF_IxEEEESM_EEEEEPS7_SP_SP_NSC_11hip_rocprim7__merge17predicate_wrapperIxxNSC_7greaterIxEEEEEE10hipError_tPvRmT0_T1_T2_T3_T4_T5_mmT6_P12ihipStream_tbEUlT_E_NS1_11comp_targetILNS1_3genE3ELNS1_11target_archE908ELNS1_3gpuE7ELNS1_3repE0EEENS1_30default_config_static_selectorELNS0_4arch9wavefront6targetE0EEEvS10_.has_recursion, 0
	.set _ZN7rocprim17ROCPRIM_400000_NS6detail17trampoline_kernelINS0_14default_configENS1_21merge_config_selectorINS0_5tupleIJxxEEENS0_10empty_typeEEEZNS1_10merge_implIS3_NS0_12zip_iteratorINS5_IJN6thrust23THRUST_200600_302600_NS6detail15normal_iteratorINSC_10device_ptrIKxEEEESI_EEEEESK_NSA_INS5_IJNSE_INSF_IxEEEESM_EEEEEPS7_SP_SP_NSC_11hip_rocprim7__merge17predicate_wrapperIxxNSC_7greaterIxEEEEEE10hipError_tPvRmT0_T1_T2_T3_T4_T5_mmT6_P12ihipStream_tbEUlT_E_NS1_11comp_targetILNS1_3genE3ELNS1_11target_archE908ELNS1_3gpuE7ELNS1_3repE0EEENS1_30default_config_static_selectorELNS0_4arch9wavefront6targetE0EEEvS10_.has_indirect_call, 0
	.section	.AMDGPU.csdata,"",@progbits
; Kernel info:
; codeLenInByte = 0
; TotalNumSgprs: 0
; NumVgprs: 0
; ScratchSize: 0
; MemoryBound: 0
; FloatMode: 240
; IeeeMode: 1
; LDSByteSize: 0 bytes/workgroup (compile time only)
; SGPRBlocks: 0
; VGPRBlocks: 0
; NumSGPRsForWavesPerEU: 1
; NumVGPRsForWavesPerEU: 1
; NamedBarCnt: 0
; Occupancy: 16
; WaveLimiterHint : 0
; COMPUTE_PGM_RSRC2:SCRATCH_EN: 0
; COMPUTE_PGM_RSRC2:USER_SGPR: 2
; COMPUTE_PGM_RSRC2:TRAP_HANDLER: 0
; COMPUTE_PGM_RSRC2:TGID_X_EN: 1
; COMPUTE_PGM_RSRC2:TGID_Y_EN: 0
; COMPUTE_PGM_RSRC2:TGID_Z_EN: 0
; COMPUTE_PGM_RSRC2:TIDIG_COMP_CNT: 0
	.section	.text._ZN7rocprim17ROCPRIM_400000_NS6detail17trampoline_kernelINS0_14default_configENS1_21merge_config_selectorINS0_5tupleIJxxEEENS0_10empty_typeEEEZNS1_10merge_implIS3_NS0_12zip_iteratorINS5_IJN6thrust23THRUST_200600_302600_NS6detail15normal_iteratorINSC_10device_ptrIKxEEEESI_EEEEESK_NSA_INS5_IJNSE_INSF_IxEEEESM_EEEEEPS7_SP_SP_NSC_11hip_rocprim7__merge17predicate_wrapperIxxNSC_7greaterIxEEEEEE10hipError_tPvRmT0_T1_T2_T3_T4_T5_mmT6_P12ihipStream_tbEUlT_E_NS1_11comp_targetILNS1_3genE2ELNS1_11target_archE906ELNS1_3gpuE6ELNS1_3repE0EEENS1_30default_config_static_selectorELNS0_4arch9wavefront6targetE0EEEvS10_,"axG",@progbits,_ZN7rocprim17ROCPRIM_400000_NS6detail17trampoline_kernelINS0_14default_configENS1_21merge_config_selectorINS0_5tupleIJxxEEENS0_10empty_typeEEEZNS1_10merge_implIS3_NS0_12zip_iteratorINS5_IJN6thrust23THRUST_200600_302600_NS6detail15normal_iteratorINSC_10device_ptrIKxEEEESI_EEEEESK_NSA_INS5_IJNSE_INSF_IxEEEESM_EEEEEPS7_SP_SP_NSC_11hip_rocprim7__merge17predicate_wrapperIxxNSC_7greaterIxEEEEEE10hipError_tPvRmT0_T1_T2_T3_T4_T5_mmT6_P12ihipStream_tbEUlT_E_NS1_11comp_targetILNS1_3genE2ELNS1_11target_archE906ELNS1_3gpuE6ELNS1_3repE0EEENS1_30default_config_static_selectorELNS0_4arch9wavefront6targetE0EEEvS10_,comdat
	.protected	_ZN7rocprim17ROCPRIM_400000_NS6detail17trampoline_kernelINS0_14default_configENS1_21merge_config_selectorINS0_5tupleIJxxEEENS0_10empty_typeEEEZNS1_10merge_implIS3_NS0_12zip_iteratorINS5_IJN6thrust23THRUST_200600_302600_NS6detail15normal_iteratorINSC_10device_ptrIKxEEEESI_EEEEESK_NSA_INS5_IJNSE_INSF_IxEEEESM_EEEEEPS7_SP_SP_NSC_11hip_rocprim7__merge17predicate_wrapperIxxNSC_7greaterIxEEEEEE10hipError_tPvRmT0_T1_T2_T3_T4_T5_mmT6_P12ihipStream_tbEUlT_E_NS1_11comp_targetILNS1_3genE2ELNS1_11target_archE906ELNS1_3gpuE6ELNS1_3repE0EEENS1_30default_config_static_selectorELNS0_4arch9wavefront6targetE0EEEvS10_ ; -- Begin function _ZN7rocprim17ROCPRIM_400000_NS6detail17trampoline_kernelINS0_14default_configENS1_21merge_config_selectorINS0_5tupleIJxxEEENS0_10empty_typeEEEZNS1_10merge_implIS3_NS0_12zip_iteratorINS5_IJN6thrust23THRUST_200600_302600_NS6detail15normal_iteratorINSC_10device_ptrIKxEEEESI_EEEEESK_NSA_INS5_IJNSE_INSF_IxEEEESM_EEEEEPS7_SP_SP_NSC_11hip_rocprim7__merge17predicate_wrapperIxxNSC_7greaterIxEEEEEE10hipError_tPvRmT0_T1_T2_T3_T4_T5_mmT6_P12ihipStream_tbEUlT_E_NS1_11comp_targetILNS1_3genE2ELNS1_11target_archE906ELNS1_3gpuE6ELNS1_3repE0EEENS1_30default_config_static_selectorELNS0_4arch9wavefront6targetE0EEEvS10_
	.globl	_ZN7rocprim17ROCPRIM_400000_NS6detail17trampoline_kernelINS0_14default_configENS1_21merge_config_selectorINS0_5tupleIJxxEEENS0_10empty_typeEEEZNS1_10merge_implIS3_NS0_12zip_iteratorINS5_IJN6thrust23THRUST_200600_302600_NS6detail15normal_iteratorINSC_10device_ptrIKxEEEESI_EEEEESK_NSA_INS5_IJNSE_INSF_IxEEEESM_EEEEEPS7_SP_SP_NSC_11hip_rocprim7__merge17predicate_wrapperIxxNSC_7greaterIxEEEEEE10hipError_tPvRmT0_T1_T2_T3_T4_T5_mmT6_P12ihipStream_tbEUlT_E_NS1_11comp_targetILNS1_3genE2ELNS1_11target_archE906ELNS1_3gpuE6ELNS1_3repE0EEENS1_30default_config_static_selectorELNS0_4arch9wavefront6targetE0EEEvS10_
	.p2align	8
	.type	_ZN7rocprim17ROCPRIM_400000_NS6detail17trampoline_kernelINS0_14default_configENS1_21merge_config_selectorINS0_5tupleIJxxEEENS0_10empty_typeEEEZNS1_10merge_implIS3_NS0_12zip_iteratorINS5_IJN6thrust23THRUST_200600_302600_NS6detail15normal_iteratorINSC_10device_ptrIKxEEEESI_EEEEESK_NSA_INS5_IJNSE_INSF_IxEEEESM_EEEEEPS7_SP_SP_NSC_11hip_rocprim7__merge17predicate_wrapperIxxNSC_7greaterIxEEEEEE10hipError_tPvRmT0_T1_T2_T3_T4_T5_mmT6_P12ihipStream_tbEUlT_E_NS1_11comp_targetILNS1_3genE2ELNS1_11target_archE906ELNS1_3gpuE6ELNS1_3repE0EEENS1_30default_config_static_selectorELNS0_4arch9wavefront6targetE0EEEvS10_,@function
_ZN7rocprim17ROCPRIM_400000_NS6detail17trampoline_kernelINS0_14default_configENS1_21merge_config_selectorINS0_5tupleIJxxEEENS0_10empty_typeEEEZNS1_10merge_implIS3_NS0_12zip_iteratorINS5_IJN6thrust23THRUST_200600_302600_NS6detail15normal_iteratorINSC_10device_ptrIKxEEEESI_EEEEESK_NSA_INS5_IJNSE_INSF_IxEEEESM_EEEEEPS7_SP_SP_NSC_11hip_rocprim7__merge17predicate_wrapperIxxNSC_7greaterIxEEEEEE10hipError_tPvRmT0_T1_T2_T3_T4_T5_mmT6_P12ihipStream_tbEUlT_E_NS1_11comp_targetILNS1_3genE2ELNS1_11target_archE906ELNS1_3gpuE6ELNS1_3repE0EEENS1_30default_config_static_selectorELNS0_4arch9wavefront6targetE0EEEvS10_: ; @_ZN7rocprim17ROCPRIM_400000_NS6detail17trampoline_kernelINS0_14default_configENS1_21merge_config_selectorINS0_5tupleIJxxEEENS0_10empty_typeEEEZNS1_10merge_implIS3_NS0_12zip_iteratorINS5_IJN6thrust23THRUST_200600_302600_NS6detail15normal_iteratorINSC_10device_ptrIKxEEEESI_EEEEESK_NSA_INS5_IJNSE_INSF_IxEEEESM_EEEEEPS7_SP_SP_NSC_11hip_rocprim7__merge17predicate_wrapperIxxNSC_7greaterIxEEEEEE10hipError_tPvRmT0_T1_T2_T3_T4_T5_mmT6_P12ihipStream_tbEUlT_E_NS1_11comp_targetILNS1_3genE2ELNS1_11target_archE906ELNS1_3gpuE6ELNS1_3repE0EEENS1_30default_config_static_selectorELNS0_4arch9wavefront6targetE0EEEvS10_
; %bb.0:
	.section	.rodata,"a",@progbits
	.p2align	6, 0x0
	.amdhsa_kernel _ZN7rocprim17ROCPRIM_400000_NS6detail17trampoline_kernelINS0_14default_configENS1_21merge_config_selectorINS0_5tupleIJxxEEENS0_10empty_typeEEEZNS1_10merge_implIS3_NS0_12zip_iteratorINS5_IJN6thrust23THRUST_200600_302600_NS6detail15normal_iteratorINSC_10device_ptrIKxEEEESI_EEEEESK_NSA_INS5_IJNSE_INSF_IxEEEESM_EEEEEPS7_SP_SP_NSC_11hip_rocprim7__merge17predicate_wrapperIxxNSC_7greaterIxEEEEEE10hipError_tPvRmT0_T1_T2_T3_T4_T5_mmT6_P12ihipStream_tbEUlT_E_NS1_11comp_targetILNS1_3genE2ELNS1_11target_archE906ELNS1_3gpuE6ELNS1_3repE0EEENS1_30default_config_static_selectorELNS0_4arch9wavefront6targetE0EEEvS10_
		.amdhsa_group_segment_fixed_size 0
		.amdhsa_private_segment_fixed_size 0
		.amdhsa_kernarg_size 64
		.amdhsa_user_sgpr_count 2
		.amdhsa_user_sgpr_dispatch_ptr 0
		.amdhsa_user_sgpr_queue_ptr 0
		.amdhsa_user_sgpr_kernarg_segment_ptr 1
		.amdhsa_user_sgpr_dispatch_id 0
		.amdhsa_user_sgpr_kernarg_preload_length 0
		.amdhsa_user_sgpr_kernarg_preload_offset 0
		.amdhsa_user_sgpr_private_segment_size 0
		.amdhsa_wavefront_size32 1
		.amdhsa_uses_dynamic_stack 0
		.amdhsa_enable_private_segment 0
		.amdhsa_system_sgpr_workgroup_id_x 1
		.amdhsa_system_sgpr_workgroup_id_y 0
		.amdhsa_system_sgpr_workgroup_id_z 0
		.amdhsa_system_sgpr_workgroup_info 0
		.amdhsa_system_vgpr_workitem_id 0
		.amdhsa_next_free_vgpr 1
		.amdhsa_next_free_sgpr 1
		.amdhsa_named_barrier_count 0
		.amdhsa_reserve_vcc 0
		.amdhsa_float_round_mode_32 0
		.amdhsa_float_round_mode_16_64 0
		.amdhsa_float_denorm_mode_32 3
		.amdhsa_float_denorm_mode_16_64 3
		.amdhsa_fp16_overflow 0
		.amdhsa_memory_ordered 1
		.amdhsa_forward_progress 1
		.amdhsa_inst_pref_size 0
		.amdhsa_round_robin_scheduling 0
		.amdhsa_exception_fp_ieee_invalid_op 0
		.amdhsa_exception_fp_denorm_src 0
		.amdhsa_exception_fp_ieee_div_zero 0
		.amdhsa_exception_fp_ieee_overflow 0
		.amdhsa_exception_fp_ieee_underflow 0
		.amdhsa_exception_fp_ieee_inexact 0
		.amdhsa_exception_int_div_zero 0
	.end_amdhsa_kernel
	.section	.text._ZN7rocprim17ROCPRIM_400000_NS6detail17trampoline_kernelINS0_14default_configENS1_21merge_config_selectorINS0_5tupleIJxxEEENS0_10empty_typeEEEZNS1_10merge_implIS3_NS0_12zip_iteratorINS5_IJN6thrust23THRUST_200600_302600_NS6detail15normal_iteratorINSC_10device_ptrIKxEEEESI_EEEEESK_NSA_INS5_IJNSE_INSF_IxEEEESM_EEEEEPS7_SP_SP_NSC_11hip_rocprim7__merge17predicate_wrapperIxxNSC_7greaterIxEEEEEE10hipError_tPvRmT0_T1_T2_T3_T4_T5_mmT6_P12ihipStream_tbEUlT_E_NS1_11comp_targetILNS1_3genE2ELNS1_11target_archE906ELNS1_3gpuE6ELNS1_3repE0EEENS1_30default_config_static_selectorELNS0_4arch9wavefront6targetE0EEEvS10_,"axG",@progbits,_ZN7rocprim17ROCPRIM_400000_NS6detail17trampoline_kernelINS0_14default_configENS1_21merge_config_selectorINS0_5tupleIJxxEEENS0_10empty_typeEEEZNS1_10merge_implIS3_NS0_12zip_iteratorINS5_IJN6thrust23THRUST_200600_302600_NS6detail15normal_iteratorINSC_10device_ptrIKxEEEESI_EEEEESK_NSA_INS5_IJNSE_INSF_IxEEEESM_EEEEEPS7_SP_SP_NSC_11hip_rocprim7__merge17predicate_wrapperIxxNSC_7greaterIxEEEEEE10hipError_tPvRmT0_T1_T2_T3_T4_T5_mmT6_P12ihipStream_tbEUlT_E_NS1_11comp_targetILNS1_3genE2ELNS1_11target_archE906ELNS1_3gpuE6ELNS1_3repE0EEENS1_30default_config_static_selectorELNS0_4arch9wavefront6targetE0EEEvS10_,comdat
.Lfunc_end411:
	.size	_ZN7rocprim17ROCPRIM_400000_NS6detail17trampoline_kernelINS0_14default_configENS1_21merge_config_selectorINS0_5tupleIJxxEEENS0_10empty_typeEEEZNS1_10merge_implIS3_NS0_12zip_iteratorINS5_IJN6thrust23THRUST_200600_302600_NS6detail15normal_iteratorINSC_10device_ptrIKxEEEESI_EEEEESK_NSA_INS5_IJNSE_INSF_IxEEEESM_EEEEEPS7_SP_SP_NSC_11hip_rocprim7__merge17predicate_wrapperIxxNSC_7greaterIxEEEEEE10hipError_tPvRmT0_T1_T2_T3_T4_T5_mmT6_P12ihipStream_tbEUlT_E_NS1_11comp_targetILNS1_3genE2ELNS1_11target_archE906ELNS1_3gpuE6ELNS1_3repE0EEENS1_30default_config_static_selectorELNS0_4arch9wavefront6targetE0EEEvS10_, .Lfunc_end411-_ZN7rocprim17ROCPRIM_400000_NS6detail17trampoline_kernelINS0_14default_configENS1_21merge_config_selectorINS0_5tupleIJxxEEENS0_10empty_typeEEEZNS1_10merge_implIS3_NS0_12zip_iteratorINS5_IJN6thrust23THRUST_200600_302600_NS6detail15normal_iteratorINSC_10device_ptrIKxEEEESI_EEEEESK_NSA_INS5_IJNSE_INSF_IxEEEESM_EEEEEPS7_SP_SP_NSC_11hip_rocprim7__merge17predicate_wrapperIxxNSC_7greaterIxEEEEEE10hipError_tPvRmT0_T1_T2_T3_T4_T5_mmT6_P12ihipStream_tbEUlT_E_NS1_11comp_targetILNS1_3genE2ELNS1_11target_archE906ELNS1_3gpuE6ELNS1_3repE0EEENS1_30default_config_static_selectorELNS0_4arch9wavefront6targetE0EEEvS10_
                                        ; -- End function
	.set _ZN7rocprim17ROCPRIM_400000_NS6detail17trampoline_kernelINS0_14default_configENS1_21merge_config_selectorINS0_5tupleIJxxEEENS0_10empty_typeEEEZNS1_10merge_implIS3_NS0_12zip_iteratorINS5_IJN6thrust23THRUST_200600_302600_NS6detail15normal_iteratorINSC_10device_ptrIKxEEEESI_EEEEESK_NSA_INS5_IJNSE_INSF_IxEEEESM_EEEEEPS7_SP_SP_NSC_11hip_rocprim7__merge17predicate_wrapperIxxNSC_7greaterIxEEEEEE10hipError_tPvRmT0_T1_T2_T3_T4_T5_mmT6_P12ihipStream_tbEUlT_E_NS1_11comp_targetILNS1_3genE2ELNS1_11target_archE906ELNS1_3gpuE6ELNS1_3repE0EEENS1_30default_config_static_selectorELNS0_4arch9wavefront6targetE0EEEvS10_.num_vgpr, 0
	.set _ZN7rocprim17ROCPRIM_400000_NS6detail17trampoline_kernelINS0_14default_configENS1_21merge_config_selectorINS0_5tupleIJxxEEENS0_10empty_typeEEEZNS1_10merge_implIS3_NS0_12zip_iteratorINS5_IJN6thrust23THRUST_200600_302600_NS6detail15normal_iteratorINSC_10device_ptrIKxEEEESI_EEEEESK_NSA_INS5_IJNSE_INSF_IxEEEESM_EEEEEPS7_SP_SP_NSC_11hip_rocprim7__merge17predicate_wrapperIxxNSC_7greaterIxEEEEEE10hipError_tPvRmT0_T1_T2_T3_T4_T5_mmT6_P12ihipStream_tbEUlT_E_NS1_11comp_targetILNS1_3genE2ELNS1_11target_archE906ELNS1_3gpuE6ELNS1_3repE0EEENS1_30default_config_static_selectorELNS0_4arch9wavefront6targetE0EEEvS10_.num_agpr, 0
	.set _ZN7rocprim17ROCPRIM_400000_NS6detail17trampoline_kernelINS0_14default_configENS1_21merge_config_selectorINS0_5tupleIJxxEEENS0_10empty_typeEEEZNS1_10merge_implIS3_NS0_12zip_iteratorINS5_IJN6thrust23THRUST_200600_302600_NS6detail15normal_iteratorINSC_10device_ptrIKxEEEESI_EEEEESK_NSA_INS5_IJNSE_INSF_IxEEEESM_EEEEEPS7_SP_SP_NSC_11hip_rocprim7__merge17predicate_wrapperIxxNSC_7greaterIxEEEEEE10hipError_tPvRmT0_T1_T2_T3_T4_T5_mmT6_P12ihipStream_tbEUlT_E_NS1_11comp_targetILNS1_3genE2ELNS1_11target_archE906ELNS1_3gpuE6ELNS1_3repE0EEENS1_30default_config_static_selectorELNS0_4arch9wavefront6targetE0EEEvS10_.numbered_sgpr, 0
	.set _ZN7rocprim17ROCPRIM_400000_NS6detail17trampoline_kernelINS0_14default_configENS1_21merge_config_selectorINS0_5tupleIJxxEEENS0_10empty_typeEEEZNS1_10merge_implIS3_NS0_12zip_iteratorINS5_IJN6thrust23THRUST_200600_302600_NS6detail15normal_iteratorINSC_10device_ptrIKxEEEESI_EEEEESK_NSA_INS5_IJNSE_INSF_IxEEEESM_EEEEEPS7_SP_SP_NSC_11hip_rocprim7__merge17predicate_wrapperIxxNSC_7greaterIxEEEEEE10hipError_tPvRmT0_T1_T2_T3_T4_T5_mmT6_P12ihipStream_tbEUlT_E_NS1_11comp_targetILNS1_3genE2ELNS1_11target_archE906ELNS1_3gpuE6ELNS1_3repE0EEENS1_30default_config_static_selectorELNS0_4arch9wavefront6targetE0EEEvS10_.num_named_barrier, 0
	.set _ZN7rocprim17ROCPRIM_400000_NS6detail17trampoline_kernelINS0_14default_configENS1_21merge_config_selectorINS0_5tupleIJxxEEENS0_10empty_typeEEEZNS1_10merge_implIS3_NS0_12zip_iteratorINS5_IJN6thrust23THRUST_200600_302600_NS6detail15normal_iteratorINSC_10device_ptrIKxEEEESI_EEEEESK_NSA_INS5_IJNSE_INSF_IxEEEESM_EEEEEPS7_SP_SP_NSC_11hip_rocprim7__merge17predicate_wrapperIxxNSC_7greaterIxEEEEEE10hipError_tPvRmT0_T1_T2_T3_T4_T5_mmT6_P12ihipStream_tbEUlT_E_NS1_11comp_targetILNS1_3genE2ELNS1_11target_archE906ELNS1_3gpuE6ELNS1_3repE0EEENS1_30default_config_static_selectorELNS0_4arch9wavefront6targetE0EEEvS10_.private_seg_size, 0
	.set _ZN7rocprim17ROCPRIM_400000_NS6detail17trampoline_kernelINS0_14default_configENS1_21merge_config_selectorINS0_5tupleIJxxEEENS0_10empty_typeEEEZNS1_10merge_implIS3_NS0_12zip_iteratorINS5_IJN6thrust23THRUST_200600_302600_NS6detail15normal_iteratorINSC_10device_ptrIKxEEEESI_EEEEESK_NSA_INS5_IJNSE_INSF_IxEEEESM_EEEEEPS7_SP_SP_NSC_11hip_rocprim7__merge17predicate_wrapperIxxNSC_7greaterIxEEEEEE10hipError_tPvRmT0_T1_T2_T3_T4_T5_mmT6_P12ihipStream_tbEUlT_E_NS1_11comp_targetILNS1_3genE2ELNS1_11target_archE906ELNS1_3gpuE6ELNS1_3repE0EEENS1_30default_config_static_selectorELNS0_4arch9wavefront6targetE0EEEvS10_.uses_vcc, 0
	.set _ZN7rocprim17ROCPRIM_400000_NS6detail17trampoline_kernelINS0_14default_configENS1_21merge_config_selectorINS0_5tupleIJxxEEENS0_10empty_typeEEEZNS1_10merge_implIS3_NS0_12zip_iteratorINS5_IJN6thrust23THRUST_200600_302600_NS6detail15normal_iteratorINSC_10device_ptrIKxEEEESI_EEEEESK_NSA_INS5_IJNSE_INSF_IxEEEESM_EEEEEPS7_SP_SP_NSC_11hip_rocprim7__merge17predicate_wrapperIxxNSC_7greaterIxEEEEEE10hipError_tPvRmT0_T1_T2_T3_T4_T5_mmT6_P12ihipStream_tbEUlT_E_NS1_11comp_targetILNS1_3genE2ELNS1_11target_archE906ELNS1_3gpuE6ELNS1_3repE0EEENS1_30default_config_static_selectorELNS0_4arch9wavefront6targetE0EEEvS10_.uses_flat_scratch, 0
	.set _ZN7rocprim17ROCPRIM_400000_NS6detail17trampoline_kernelINS0_14default_configENS1_21merge_config_selectorINS0_5tupleIJxxEEENS0_10empty_typeEEEZNS1_10merge_implIS3_NS0_12zip_iteratorINS5_IJN6thrust23THRUST_200600_302600_NS6detail15normal_iteratorINSC_10device_ptrIKxEEEESI_EEEEESK_NSA_INS5_IJNSE_INSF_IxEEEESM_EEEEEPS7_SP_SP_NSC_11hip_rocprim7__merge17predicate_wrapperIxxNSC_7greaterIxEEEEEE10hipError_tPvRmT0_T1_T2_T3_T4_T5_mmT6_P12ihipStream_tbEUlT_E_NS1_11comp_targetILNS1_3genE2ELNS1_11target_archE906ELNS1_3gpuE6ELNS1_3repE0EEENS1_30default_config_static_selectorELNS0_4arch9wavefront6targetE0EEEvS10_.has_dyn_sized_stack, 0
	.set _ZN7rocprim17ROCPRIM_400000_NS6detail17trampoline_kernelINS0_14default_configENS1_21merge_config_selectorINS0_5tupleIJxxEEENS0_10empty_typeEEEZNS1_10merge_implIS3_NS0_12zip_iteratorINS5_IJN6thrust23THRUST_200600_302600_NS6detail15normal_iteratorINSC_10device_ptrIKxEEEESI_EEEEESK_NSA_INS5_IJNSE_INSF_IxEEEESM_EEEEEPS7_SP_SP_NSC_11hip_rocprim7__merge17predicate_wrapperIxxNSC_7greaterIxEEEEEE10hipError_tPvRmT0_T1_T2_T3_T4_T5_mmT6_P12ihipStream_tbEUlT_E_NS1_11comp_targetILNS1_3genE2ELNS1_11target_archE906ELNS1_3gpuE6ELNS1_3repE0EEENS1_30default_config_static_selectorELNS0_4arch9wavefront6targetE0EEEvS10_.has_recursion, 0
	.set _ZN7rocprim17ROCPRIM_400000_NS6detail17trampoline_kernelINS0_14default_configENS1_21merge_config_selectorINS0_5tupleIJxxEEENS0_10empty_typeEEEZNS1_10merge_implIS3_NS0_12zip_iteratorINS5_IJN6thrust23THRUST_200600_302600_NS6detail15normal_iteratorINSC_10device_ptrIKxEEEESI_EEEEESK_NSA_INS5_IJNSE_INSF_IxEEEESM_EEEEEPS7_SP_SP_NSC_11hip_rocprim7__merge17predicate_wrapperIxxNSC_7greaterIxEEEEEE10hipError_tPvRmT0_T1_T2_T3_T4_T5_mmT6_P12ihipStream_tbEUlT_E_NS1_11comp_targetILNS1_3genE2ELNS1_11target_archE906ELNS1_3gpuE6ELNS1_3repE0EEENS1_30default_config_static_selectorELNS0_4arch9wavefront6targetE0EEEvS10_.has_indirect_call, 0
	.section	.AMDGPU.csdata,"",@progbits
; Kernel info:
; codeLenInByte = 0
; TotalNumSgprs: 0
; NumVgprs: 0
; ScratchSize: 0
; MemoryBound: 0
; FloatMode: 240
; IeeeMode: 1
; LDSByteSize: 0 bytes/workgroup (compile time only)
; SGPRBlocks: 0
; VGPRBlocks: 0
; NumSGPRsForWavesPerEU: 1
; NumVGPRsForWavesPerEU: 1
; NamedBarCnt: 0
; Occupancy: 16
; WaveLimiterHint : 0
; COMPUTE_PGM_RSRC2:SCRATCH_EN: 0
; COMPUTE_PGM_RSRC2:USER_SGPR: 2
; COMPUTE_PGM_RSRC2:TRAP_HANDLER: 0
; COMPUTE_PGM_RSRC2:TGID_X_EN: 1
; COMPUTE_PGM_RSRC2:TGID_Y_EN: 0
; COMPUTE_PGM_RSRC2:TGID_Z_EN: 0
; COMPUTE_PGM_RSRC2:TIDIG_COMP_CNT: 0
	.section	.text._ZN7rocprim17ROCPRIM_400000_NS6detail17trampoline_kernelINS0_14default_configENS1_21merge_config_selectorINS0_5tupleIJxxEEENS0_10empty_typeEEEZNS1_10merge_implIS3_NS0_12zip_iteratorINS5_IJN6thrust23THRUST_200600_302600_NS6detail15normal_iteratorINSC_10device_ptrIKxEEEESI_EEEEESK_NSA_INS5_IJNSE_INSF_IxEEEESM_EEEEEPS7_SP_SP_NSC_11hip_rocprim7__merge17predicate_wrapperIxxNSC_7greaterIxEEEEEE10hipError_tPvRmT0_T1_T2_T3_T4_T5_mmT6_P12ihipStream_tbEUlT_E_NS1_11comp_targetILNS1_3genE10ELNS1_11target_archE1201ELNS1_3gpuE5ELNS1_3repE0EEENS1_30default_config_static_selectorELNS0_4arch9wavefront6targetE0EEEvS10_,"axG",@progbits,_ZN7rocprim17ROCPRIM_400000_NS6detail17trampoline_kernelINS0_14default_configENS1_21merge_config_selectorINS0_5tupleIJxxEEENS0_10empty_typeEEEZNS1_10merge_implIS3_NS0_12zip_iteratorINS5_IJN6thrust23THRUST_200600_302600_NS6detail15normal_iteratorINSC_10device_ptrIKxEEEESI_EEEEESK_NSA_INS5_IJNSE_INSF_IxEEEESM_EEEEEPS7_SP_SP_NSC_11hip_rocprim7__merge17predicate_wrapperIxxNSC_7greaterIxEEEEEE10hipError_tPvRmT0_T1_T2_T3_T4_T5_mmT6_P12ihipStream_tbEUlT_E_NS1_11comp_targetILNS1_3genE10ELNS1_11target_archE1201ELNS1_3gpuE5ELNS1_3repE0EEENS1_30default_config_static_selectorELNS0_4arch9wavefront6targetE0EEEvS10_,comdat
	.protected	_ZN7rocprim17ROCPRIM_400000_NS6detail17trampoline_kernelINS0_14default_configENS1_21merge_config_selectorINS0_5tupleIJxxEEENS0_10empty_typeEEEZNS1_10merge_implIS3_NS0_12zip_iteratorINS5_IJN6thrust23THRUST_200600_302600_NS6detail15normal_iteratorINSC_10device_ptrIKxEEEESI_EEEEESK_NSA_INS5_IJNSE_INSF_IxEEEESM_EEEEEPS7_SP_SP_NSC_11hip_rocprim7__merge17predicate_wrapperIxxNSC_7greaterIxEEEEEE10hipError_tPvRmT0_T1_T2_T3_T4_T5_mmT6_P12ihipStream_tbEUlT_E_NS1_11comp_targetILNS1_3genE10ELNS1_11target_archE1201ELNS1_3gpuE5ELNS1_3repE0EEENS1_30default_config_static_selectorELNS0_4arch9wavefront6targetE0EEEvS10_ ; -- Begin function _ZN7rocprim17ROCPRIM_400000_NS6detail17trampoline_kernelINS0_14default_configENS1_21merge_config_selectorINS0_5tupleIJxxEEENS0_10empty_typeEEEZNS1_10merge_implIS3_NS0_12zip_iteratorINS5_IJN6thrust23THRUST_200600_302600_NS6detail15normal_iteratorINSC_10device_ptrIKxEEEESI_EEEEESK_NSA_INS5_IJNSE_INSF_IxEEEESM_EEEEEPS7_SP_SP_NSC_11hip_rocprim7__merge17predicate_wrapperIxxNSC_7greaterIxEEEEEE10hipError_tPvRmT0_T1_T2_T3_T4_T5_mmT6_P12ihipStream_tbEUlT_E_NS1_11comp_targetILNS1_3genE10ELNS1_11target_archE1201ELNS1_3gpuE5ELNS1_3repE0EEENS1_30default_config_static_selectorELNS0_4arch9wavefront6targetE0EEEvS10_
	.globl	_ZN7rocprim17ROCPRIM_400000_NS6detail17trampoline_kernelINS0_14default_configENS1_21merge_config_selectorINS0_5tupleIJxxEEENS0_10empty_typeEEEZNS1_10merge_implIS3_NS0_12zip_iteratorINS5_IJN6thrust23THRUST_200600_302600_NS6detail15normal_iteratorINSC_10device_ptrIKxEEEESI_EEEEESK_NSA_INS5_IJNSE_INSF_IxEEEESM_EEEEEPS7_SP_SP_NSC_11hip_rocprim7__merge17predicate_wrapperIxxNSC_7greaterIxEEEEEE10hipError_tPvRmT0_T1_T2_T3_T4_T5_mmT6_P12ihipStream_tbEUlT_E_NS1_11comp_targetILNS1_3genE10ELNS1_11target_archE1201ELNS1_3gpuE5ELNS1_3repE0EEENS1_30default_config_static_selectorELNS0_4arch9wavefront6targetE0EEEvS10_
	.p2align	8
	.type	_ZN7rocprim17ROCPRIM_400000_NS6detail17trampoline_kernelINS0_14default_configENS1_21merge_config_selectorINS0_5tupleIJxxEEENS0_10empty_typeEEEZNS1_10merge_implIS3_NS0_12zip_iteratorINS5_IJN6thrust23THRUST_200600_302600_NS6detail15normal_iteratorINSC_10device_ptrIKxEEEESI_EEEEESK_NSA_INS5_IJNSE_INSF_IxEEEESM_EEEEEPS7_SP_SP_NSC_11hip_rocprim7__merge17predicate_wrapperIxxNSC_7greaterIxEEEEEE10hipError_tPvRmT0_T1_T2_T3_T4_T5_mmT6_P12ihipStream_tbEUlT_E_NS1_11comp_targetILNS1_3genE10ELNS1_11target_archE1201ELNS1_3gpuE5ELNS1_3repE0EEENS1_30default_config_static_selectorELNS0_4arch9wavefront6targetE0EEEvS10_,@function
_ZN7rocprim17ROCPRIM_400000_NS6detail17trampoline_kernelINS0_14default_configENS1_21merge_config_selectorINS0_5tupleIJxxEEENS0_10empty_typeEEEZNS1_10merge_implIS3_NS0_12zip_iteratorINS5_IJN6thrust23THRUST_200600_302600_NS6detail15normal_iteratorINSC_10device_ptrIKxEEEESI_EEEEESK_NSA_INS5_IJNSE_INSF_IxEEEESM_EEEEEPS7_SP_SP_NSC_11hip_rocprim7__merge17predicate_wrapperIxxNSC_7greaterIxEEEEEE10hipError_tPvRmT0_T1_T2_T3_T4_T5_mmT6_P12ihipStream_tbEUlT_E_NS1_11comp_targetILNS1_3genE10ELNS1_11target_archE1201ELNS1_3gpuE5ELNS1_3repE0EEENS1_30default_config_static_selectorELNS0_4arch9wavefront6targetE0EEEvS10_: ; @_ZN7rocprim17ROCPRIM_400000_NS6detail17trampoline_kernelINS0_14default_configENS1_21merge_config_selectorINS0_5tupleIJxxEEENS0_10empty_typeEEEZNS1_10merge_implIS3_NS0_12zip_iteratorINS5_IJN6thrust23THRUST_200600_302600_NS6detail15normal_iteratorINSC_10device_ptrIKxEEEESI_EEEEESK_NSA_INS5_IJNSE_INSF_IxEEEESM_EEEEEPS7_SP_SP_NSC_11hip_rocprim7__merge17predicate_wrapperIxxNSC_7greaterIxEEEEEE10hipError_tPvRmT0_T1_T2_T3_T4_T5_mmT6_P12ihipStream_tbEUlT_E_NS1_11comp_targetILNS1_3genE10ELNS1_11target_archE1201ELNS1_3gpuE5ELNS1_3repE0EEENS1_30default_config_static_selectorELNS0_4arch9wavefront6targetE0EEEvS10_
; %bb.0:
	.section	.rodata,"a",@progbits
	.p2align	6, 0x0
	.amdhsa_kernel _ZN7rocprim17ROCPRIM_400000_NS6detail17trampoline_kernelINS0_14default_configENS1_21merge_config_selectorINS0_5tupleIJxxEEENS0_10empty_typeEEEZNS1_10merge_implIS3_NS0_12zip_iteratorINS5_IJN6thrust23THRUST_200600_302600_NS6detail15normal_iteratorINSC_10device_ptrIKxEEEESI_EEEEESK_NSA_INS5_IJNSE_INSF_IxEEEESM_EEEEEPS7_SP_SP_NSC_11hip_rocprim7__merge17predicate_wrapperIxxNSC_7greaterIxEEEEEE10hipError_tPvRmT0_T1_T2_T3_T4_T5_mmT6_P12ihipStream_tbEUlT_E_NS1_11comp_targetILNS1_3genE10ELNS1_11target_archE1201ELNS1_3gpuE5ELNS1_3repE0EEENS1_30default_config_static_selectorELNS0_4arch9wavefront6targetE0EEEvS10_
		.amdhsa_group_segment_fixed_size 0
		.amdhsa_private_segment_fixed_size 0
		.amdhsa_kernarg_size 64
		.amdhsa_user_sgpr_count 2
		.amdhsa_user_sgpr_dispatch_ptr 0
		.amdhsa_user_sgpr_queue_ptr 0
		.amdhsa_user_sgpr_kernarg_segment_ptr 1
		.amdhsa_user_sgpr_dispatch_id 0
		.amdhsa_user_sgpr_kernarg_preload_length 0
		.amdhsa_user_sgpr_kernarg_preload_offset 0
		.amdhsa_user_sgpr_private_segment_size 0
		.amdhsa_wavefront_size32 1
		.amdhsa_uses_dynamic_stack 0
		.amdhsa_enable_private_segment 0
		.amdhsa_system_sgpr_workgroup_id_x 1
		.amdhsa_system_sgpr_workgroup_id_y 0
		.amdhsa_system_sgpr_workgroup_id_z 0
		.amdhsa_system_sgpr_workgroup_info 0
		.amdhsa_system_vgpr_workitem_id 0
		.amdhsa_next_free_vgpr 1
		.amdhsa_next_free_sgpr 1
		.amdhsa_named_barrier_count 0
		.amdhsa_reserve_vcc 0
		.amdhsa_float_round_mode_32 0
		.amdhsa_float_round_mode_16_64 0
		.amdhsa_float_denorm_mode_32 3
		.amdhsa_float_denorm_mode_16_64 3
		.amdhsa_fp16_overflow 0
		.amdhsa_memory_ordered 1
		.amdhsa_forward_progress 1
		.amdhsa_inst_pref_size 0
		.amdhsa_round_robin_scheduling 0
		.amdhsa_exception_fp_ieee_invalid_op 0
		.amdhsa_exception_fp_denorm_src 0
		.amdhsa_exception_fp_ieee_div_zero 0
		.amdhsa_exception_fp_ieee_overflow 0
		.amdhsa_exception_fp_ieee_underflow 0
		.amdhsa_exception_fp_ieee_inexact 0
		.amdhsa_exception_int_div_zero 0
	.end_amdhsa_kernel
	.section	.text._ZN7rocprim17ROCPRIM_400000_NS6detail17trampoline_kernelINS0_14default_configENS1_21merge_config_selectorINS0_5tupleIJxxEEENS0_10empty_typeEEEZNS1_10merge_implIS3_NS0_12zip_iteratorINS5_IJN6thrust23THRUST_200600_302600_NS6detail15normal_iteratorINSC_10device_ptrIKxEEEESI_EEEEESK_NSA_INS5_IJNSE_INSF_IxEEEESM_EEEEEPS7_SP_SP_NSC_11hip_rocprim7__merge17predicate_wrapperIxxNSC_7greaterIxEEEEEE10hipError_tPvRmT0_T1_T2_T3_T4_T5_mmT6_P12ihipStream_tbEUlT_E_NS1_11comp_targetILNS1_3genE10ELNS1_11target_archE1201ELNS1_3gpuE5ELNS1_3repE0EEENS1_30default_config_static_selectorELNS0_4arch9wavefront6targetE0EEEvS10_,"axG",@progbits,_ZN7rocprim17ROCPRIM_400000_NS6detail17trampoline_kernelINS0_14default_configENS1_21merge_config_selectorINS0_5tupleIJxxEEENS0_10empty_typeEEEZNS1_10merge_implIS3_NS0_12zip_iteratorINS5_IJN6thrust23THRUST_200600_302600_NS6detail15normal_iteratorINSC_10device_ptrIKxEEEESI_EEEEESK_NSA_INS5_IJNSE_INSF_IxEEEESM_EEEEEPS7_SP_SP_NSC_11hip_rocprim7__merge17predicate_wrapperIxxNSC_7greaterIxEEEEEE10hipError_tPvRmT0_T1_T2_T3_T4_T5_mmT6_P12ihipStream_tbEUlT_E_NS1_11comp_targetILNS1_3genE10ELNS1_11target_archE1201ELNS1_3gpuE5ELNS1_3repE0EEENS1_30default_config_static_selectorELNS0_4arch9wavefront6targetE0EEEvS10_,comdat
.Lfunc_end412:
	.size	_ZN7rocprim17ROCPRIM_400000_NS6detail17trampoline_kernelINS0_14default_configENS1_21merge_config_selectorINS0_5tupleIJxxEEENS0_10empty_typeEEEZNS1_10merge_implIS3_NS0_12zip_iteratorINS5_IJN6thrust23THRUST_200600_302600_NS6detail15normal_iteratorINSC_10device_ptrIKxEEEESI_EEEEESK_NSA_INS5_IJNSE_INSF_IxEEEESM_EEEEEPS7_SP_SP_NSC_11hip_rocprim7__merge17predicate_wrapperIxxNSC_7greaterIxEEEEEE10hipError_tPvRmT0_T1_T2_T3_T4_T5_mmT6_P12ihipStream_tbEUlT_E_NS1_11comp_targetILNS1_3genE10ELNS1_11target_archE1201ELNS1_3gpuE5ELNS1_3repE0EEENS1_30default_config_static_selectorELNS0_4arch9wavefront6targetE0EEEvS10_, .Lfunc_end412-_ZN7rocprim17ROCPRIM_400000_NS6detail17trampoline_kernelINS0_14default_configENS1_21merge_config_selectorINS0_5tupleIJxxEEENS0_10empty_typeEEEZNS1_10merge_implIS3_NS0_12zip_iteratorINS5_IJN6thrust23THRUST_200600_302600_NS6detail15normal_iteratorINSC_10device_ptrIKxEEEESI_EEEEESK_NSA_INS5_IJNSE_INSF_IxEEEESM_EEEEEPS7_SP_SP_NSC_11hip_rocprim7__merge17predicate_wrapperIxxNSC_7greaterIxEEEEEE10hipError_tPvRmT0_T1_T2_T3_T4_T5_mmT6_P12ihipStream_tbEUlT_E_NS1_11comp_targetILNS1_3genE10ELNS1_11target_archE1201ELNS1_3gpuE5ELNS1_3repE0EEENS1_30default_config_static_selectorELNS0_4arch9wavefront6targetE0EEEvS10_
                                        ; -- End function
	.set _ZN7rocprim17ROCPRIM_400000_NS6detail17trampoline_kernelINS0_14default_configENS1_21merge_config_selectorINS0_5tupleIJxxEEENS0_10empty_typeEEEZNS1_10merge_implIS3_NS0_12zip_iteratorINS5_IJN6thrust23THRUST_200600_302600_NS6detail15normal_iteratorINSC_10device_ptrIKxEEEESI_EEEEESK_NSA_INS5_IJNSE_INSF_IxEEEESM_EEEEEPS7_SP_SP_NSC_11hip_rocprim7__merge17predicate_wrapperIxxNSC_7greaterIxEEEEEE10hipError_tPvRmT0_T1_T2_T3_T4_T5_mmT6_P12ihipStream_tbEUlT_E_NS1_11comp_targetILNS1_3genE10ELNS1_11target_archE1201ELNS1_3gpuE5ELNS1_3repE0EEENS1_30default_config_static_selectorELNS0_4arch9wavefront6targetE0EEEvS10_.num_vgpr, 0
	.set _ZN7rocprim17ROCPRIM_400000_NS6detail17trampoline_kernelINS0_14default_configENS1_21merge_config_selectorINS0_5tupleIJxxEEENS0_10empty_typeEEEZNS1_10merge_implIS3_NS0_12zip_iteratorINS5_IJN6thrust23THRUST_200600_302600_NS6detail15normal_iteratorINSC_10device_ptrIKxEEEESI_EEEEESK_NSA_INS5_IJNSE_INSF_IxEEEESM_EEEEEPS7_SP_SP_NSC_11hip_rocprim7__merge17predicate_wrapperIxxNSC_7greaterIxEEEEEE10hipError_tPvRmT0_T1_T2_T3_T4_T5_mmT6_P12ihipStream_tbEUlT_E_NS1_11comp_targetILNS1_3genE10ELNS1_11target_archE1201ELNS1_3gpuE5ELNS1_3repE0EEENS1_30default_config_static_selectorELNS0_4arch9wavefront6targetE0EEEvS10_.num_agpr, 0
	.set _ZN7rocprim17ROCPRIM_400000_NS6detail17trampoline_kernelINS0_14default_configENS1_21merge_config_selectorINS0_5tupleIJxxEEENS0_10empty_typeEEEZNS1_10merge_implIS3_NS0_12zip_iteratorINS5_IJN6thrust23THRUST_200600_302600_NS6detail15normal_iteratorINSC_10device_ptrIKxEEEESI_EEEEESK_NSA_INS5_IJNSE_INSF_IxEEEESM_EEEEEPS7_SP_SP_NSC_11hip_rocprim7__merge17predicate_wrapperIxxNSC_7greaterIxEEEEEE10hipError_tPvRmT0_T1_T2_T3_T4_T5_mmT6_P12ihipStream_tbEUlT_E_NS1_11comp_targetILNS1_3genE10ELNS1_11target_archE1201ELNS1_3gpuE5ELNS1_3repE0EEENS1_30default_config_static_selectorELNS0_4arch9wavefront6targetE0EEEvS10_.numbered_sgpr, 0
	.set _ZN7rocprim17ROCPRIM_400000_NS6detail17trampoline_kernelINS0_14default_configENS1_21merge_config_selectorINS0_5tupleIJxxEEENS0_10empty_typeEEEZNS1_10merge_implIS3_NS0_12zip_iteratorINS5_IJN6thrust23THRUST_200600_302600_NS6detail15normal_iteratorINSC_10device_ptrIKxEEEESI_EEEEESK_NSA_INS5_IJNSE_INSF_IxEEEESM_EEEEEPS7_SP_SP_NSC_11hip_rocprim7__merge17predicate_wrapperIxxNSC_7greaterIxEEEEEE10hipError_tPvRmT0_T1_T2_T3_T4_T5_mmT6_P12ihipStream_tbEUlT_E_NS1_11comp_targetILNS1_3genE10ELNS1_11target_archE1201ELNS1_3gpuE5ELNS1_3repE0EEENS1_30default_config_static_selectorELNS0_4arch9wavefront6targetE0EEEvS10_.num_named_barrier, 0
	.set _ZN7rocprim17ROCPRIM_400000_NS6detail17trampoline_kernelINS0_14default_configENS1_21merge_config_selectorINS0_5tupleIJxxEEENS0_10empty_typeEEEZNS1_10merge_implIS3_NS0_12zip_iteratorINS5_IJN6thrust23THRUST_200600_302600_NS6detail15normal_iteratorINSC_10device_ptrIKxEEEESI_EEEEESK_NSA_INS5_IJNSE_INSF_IxEEEESM_EEEEEPS7_SP_SP_NSC_11hip_rocprim7__merge17predicate_wrapperIxxNSC_7greaterIxEEEEEE10hipError_tPvRmT0_T1_T2_T3_T4_T5_mmT6_P12ihipStream_tbEUlT_E_NS1_11comp_targetILNS1_3genE10ELNS1_11target_archE1201ELNS1_3gpuE5ELNS1_3repE0EEENS1_30default_config_static_selectorELNS0_4arch9wavefront6targetE0EEEvS10_.private_seg_size, 0
	.set _ZN7rocprim17ROCPRIM_400000_NS6detail17trampoline_kernelINS0_14default_configENS1_21merge_config_selectorINS0_5tupleIJxxEEENS0_10empty_typeEEEZNS1_10merge_implIS3_NS0_12zip_iteratorINS5_IJN6thrust23THRUST_200600_302600_NS6detail15normal_iteratorINSC_10device_ptrIKxEEEESI_EEEEESK_NSA_INS5_IJNSE_INSF_IxEEEESM_EEEEEPS7_SP_SP_NSC_11hip_rocprim7__merge17predicate_wrapperIxxNSC_7greaterIxEEEEEE10hipError_tPvRmT0_T1_T2_T3_T4_T5_mmT6_P12ihipStream_tbEUlT_E_NS1_11comp_targetILNS1_3genE10ELNS1_11target_archE1201ELNS1_3gpuE5ELNS1_3repE0EEENS1_30default_config_static_selectorELNS0_4arch9wavefront6targetE0EEEvS10_.uses_vcc, 0
	.set _ZN7rocprim17ROCPRIM_400000_NS6detail17trampoline_kernelINS0_14default_configENS1_21merge_config_selectorINS0_5tupleIJxxEEENS0_10empty_typeEEEZNS1_10merge_implIS3_NS0_12zip_iteratorINS5_IJN6thrust23THRUST_200600_302600_NS6detail15normal_iteratorINSC_10device_ptrIKxEEEESI_EEEEESK_NSA_INS5_IJNSE_INSF_IxEEEESM_EEEEEPS7_SP_SP_NSC_11hip_rocprim7__merge17predicate_wrapperIxxNSC_7greaterIxEEEEEE10hipError_tPvRmT0_T1_T2_T3_T4_T5_mmT6_P12ihipStream_tbEUlT_E_NS1_11comp_targetILNS1_3genE10ELNS1_11target_archE1201ELNS1_3gpuE5ELNS1_3repE0EEENS1_30default_config_static_selectorELNS0_4arch9wavefront6targetE0EEEvS10_.uses_flat_scratch, 0
	.set _ZN7rocprim17ROCPRIM_400000_NS6detail17trampoline_kernelINS0_14default_configENS1_21merge_config_selectorINS0_5tupleIJxxEEENS0_10empty_typeEEEZNS1_10merge_implIS3_NS0_12zip_iteratorINS5_IJN6thrust23THRUST_200600_302600_NS6detail15normal_iteratorINSC_10device_ptrIKxEEEESI_EEEEESK_NSA_INS5_IJNSE_INSF_IxEEEESM_EEEEEPS7_SP_SP_NSC_11hip_rocprim7__merge17predicate_wrapperIxxNSC_7greaterIxEEEEEE10hipError_tPvRmT0_T1_T2_T3_T4_T5_mmT6_P12ihipStream_tbEUlT_E_NS1_11comp_targetILNS1_3genE10ELNS1_11target_archE1201ELNS1_3gpuE5ELNS1_3repE0EEENS1_30default_config_static_selectorELNS0_4arch9wavefront6targetE0EEEvS10_.has_dyn_sized_stack, 0
	.set _ZN7rocprim17ROCPRIM_400000_NS6detail17trampoline_kernelINS0_14default_configENS1_21merge_config_selectorINS0_5tupleIJxxEEENS0_10empty_typeEEEZNS1_10merge_implIS3_NS0_12zip_iteratorINS5_IJN6thrust23THRUST_200600_302600_NS6detail15normal_iteratorINSC_10device_ptrIKxEEEESI_EEEEESK_NSA_INS5_IJNSE_INSF_IxEEEESM_EEEEEPS7_SP_SP_NSC_11hip_rocprim7__merge17predicate_wrapperIxxNSC_7greaterIxEEEEEE10hipError_tPvRmT0_T1_T2_T3_T4_T5_mmT6_P12ihipStream_tbEUlT_E_NS1_11comp_targetILNS1_3genE10ELNS1_11target_archE1201ELNS1_3gpuE5ELNS1_3repE0EEENS1_30default_config_static_selectorELNS0_4arch9wavefront6targetE0EEEvS10_.has_recursion, 0
	.set _ZN7rocprim17ROCPRIM_400000_NS6detail17trampoline_kernelINS0_14default_configENS1_21merge_config_selectorINS0_5tupleIJxxEEENS0_10empty_typeEEEZNS1_10merge_implIS3_NS0_12zip_iteratorINS5_IJN6thrust23THRUST_200600_302600_NS6detail15normal_iteratorINSC_10device_ptrIKxEEEESI_EEEEESK_NSA_INS5_IJNSE_INSF_IxEEEESM_EEEEEPS7_SP_SP_NSC_11hip_rocprim7__merge17predicate_wrapperIxxNSC_7greaterIxEEEEEE10hipError_tPvRmT0_T1_T2_T3_T4_T5_mmT6_P12ihipStream_tbEUlT_E_NS1_11comp_targetILNS1_3genE10ELNS1_11target_archE1201ELNS1_3gpuE5ELNS1_3repE0EEENS1_30default_config_static_selectorELNS0_4arch9wavefront6targetE0EEEvS10_.has_indirect_call, 0
	.section	.AMDGPU.csdata,"",@progbits
; Kernel info:
; codeLenInByte = 0
; TotalNumSgprs: 0
; NumVgprs: 0
; ScratchSize: 0
; MemoryBound: 0
; FloatMode: 240
; IeeeMode: 1
; LDSByteSize: 0 bytes/workgroup (compile time only)
; SGPRBlocks: 0
; VGPRBlocks: 0
; NumSGPRsForWavesPerEU: 1
; NumVGPRsForWavesPerEU: 1
; NamedBarCnt: 0
; Occupancy: 16
; WaveLimiterHint : 0
; COMPUTE_PGM_RSRC2:SCRATCH_EN: 0
; COMPUTE_PGM_RSRC2:USER_SGPR: 2
; COMPUTE_PGM_RSRC2:TRAP_HANDLER: 0
; COMPUTE_PGM_RSRC2:TGID_X_EN: 1
; COMPUTE_PGM_RSRC2:TGID_Y_EN: 0
; COMPUTE_PGM_RSRC2:TGID_Z_EN: 0
; COMPUTE_PGM_RSRC2:TIDIG_COMP_CNT: 0
	.section	.text._ZN7rocprim17ROCPRIM_400000_NS6detail17trampoline_kernelINS0_14default_configENS1_21merge_config_selectorINS0_5tupleIJxxEEENS0_10empty_typeEEEZNS1_10merge_implIS3_NS0_12zip_iteratorINS5_IJN6thrust23THRUST_200600_302600_NS6detail15normal_iteratorINSC_10device_ptrIKxEEEESI_EEEEESK_NSA_INS5_IJNSE_INSF_IxEEEESM_EEEEEPS7_SP_SP_NSC_11hip_rocprim7__merge17predicate_wrapperIxxNSC_7greaterIxEEEEEE10hipError_tPvRmT0_T1_T2_T3_T4_T5_mmT6_P12ihipStream_tbEUlT_E_NS1_11comp_targetILNS1_3genE10ELNS1_11target_archE1200ELNS1_3gpuE4ELNS1_3repE0EEENS1_30default_config_static_selectorELNS0_4arch9wavefront6targetE0EEEvS10_,"axG",@progbits,_ZN7rocprim17ROCPRIM_400000_NS6detail17trampoline_kernelINS0_14default_configENS1_21merge_config_selectorINS0_5tupleIJxxEEENS0_10empty_typeEEEZNS1_10merge_implIS3_NS0_12zip_iteratorINS5_IJN6thrust23THRUST_200600_302600_NS6detail15normal_iteratorINSC_10device_ptrIKxEEEESI_EEEEESK_NSA_INS5_IJNSE_INSF_IxEEEESM_EEEEEPS7_SP_SP_NSC_11hip_rocprim7__merge17predicate_wrapperIxxNSC_7greaterIxEEEEEE10hipError_tPvRmT0_T1_T2_T3_T4_T5_mmT6_P12ihipStream_tbEUlT_E_NS1_11comp_targetILNS1_3genE10ELNS1_11target_archE1200ELNS1_3gpuE4ELNS1_3repE0EEENS1_30default_config_static_selectorELNS0_4arch9wavefront6targetE0EEEvS10_,comdat
	.protected	_ZN7rocprim17ROCPRIM_400000_NS6detail17trampoline_kernelINS0_14default_configENS1_21merge_config_selectorINS0_5tupleIJxxEEENS0_10empty_typeEEEZNS1_10merge_implIS3_NS0_12zip_iteratorINS5_IJN6thrust23THRUST_200600_302600_NS6detail15normal_iteratorINSC_10device_ptrIKxEEEESI_EEEEESK_NSA_INS5_IJNSE_INSF_IxEEEESM_EEEEEPS7_SP_SP_NSC_11hip_rocprim7__merge17predicate_wrapperIxxNSC_7greaterIxEEEEEE10hipError_tPvRmT0_T1_T2_T3_T4_T5_mmT6_P12ihipStream_tbEUlT_E_NS1_11comp_targetILNS1_3genE10ELNS1_11target_archE1200ELNS1_3gpuE4ELNS1_3repE0EEENS1_30default_config_static_selectorELNS0_4arch9wavefront6targetE0EEEvS10_ ; -- Begin function _ZN7rocprim17ROCPRIM_400000_NS6detail17trampoline_kernelINS0_14default_configENS1_21merge_config_selectorINS0_5tupleIJxxEEENS0_10empty_typeEEEZNS1_10merge_implIS3_NS0_12zip_iteratorINS5_IJN6thrust23THRUST_200600_302600_NS6detail15normal_iteratorINSC_10device_ptrIKxEEEESI_EEEEESK_NSA_INS5_IJNSE_INSF_IxEEEESM_EEEEEPS7_SP_SP_NSC_11hip_rocprim7__merge17predicate_wrapperIxxNSC_7greaterIxEEEEEE10hipError_tPvRmT0_T1_T2_T3_T4_T5_mmT6_P12ihipStream_tbEUlT_E_NS1_11comp_targetILNS1_3genE10ELNS1_11target_archE1200ELNS1_3gpuE4ELNS1_3repE0EEENS1_30default_config_static_selectorELNS0_4arch9wavefront6targetE0EEEvS10_
	.globl	_ZN7rocprim17ROCPRIM_400000_NS6detail17trampoline_kernelINS0_14default_configENS1_21merge_config_selectorINS0_5tupleIJxxEEENS0_10empty_typeEEEZNS1_10merge_implIS3_NS0_12zip_iteratorINS5_IJN6thrust23THRUST_200600_302600_NS6detail15normal_iteratorINSC_10device_ptrIKxEEEESI_EEEEESK_NSA_INS5_IJNSE_INSF_IxEEEESM_EEEEEPS7_SP_SP_NSC_11hip_rocprim7__merge17predicate_wrapperIxxNSC_7greaterIxEEEEEE10hipError_tPvRmT0_T1_T2_T3_T4_T5_mmT6_P12ihipStream_tbEUlT_E_NS1_11comp_targetILNS1_3genE10ELNS1_11target_archE1200ELNS1_3gpuE4ELNS1_3repE0EEENS1_30default_config_static_selectorELNS0_4arch9wavefront6targetE0EEEvS10_
	.p2align	8
	.type	_ZN7rocprim17ROCPRIM_400000_NS6detail17trampoline_kernelINS0_14default_configENS1_21merge_config_selectorINS0_5tupleIJxxEEENS0_10empty_typeEEEZNS1_10merge_implIS3_NS0_12zip_iteratorINS5_IJN6thrust23THRUST_200600_302600_NS6detail15normal_iteratorINSC_10device_ptrIKxEEEESI_EEEEESK_NSA_INS5_IJNSE_INSF_IxEEEESM_EEEEEPS7_SP_SP_NSC_11hip_rocprim7__merge17predicate_wrapperIxxNSC_7greaterIxEEEEEE10hipError_tPvRmT0_T1_T2_T3_T4_T5_mmT6_P12ihipStream_tbEUlT_E_NS1_11comp_targetILNS1_3genE10ELNS1_11target_archE1200ELNS1_3gpuE4ELNS1_3repE0EEENS1_30default_config_static_selectorELNS0_4arch9wavefront6targetE0EEEvS10_,@function
_ZN7rocprim17ROCPRIM_400000_NS6detail17trampoline_kernelINS0_14default_configENS1_21merge_config_selectorINS0_5tupleIJxxEEENS0_10empty_typeEEEZNS1_10merge_implIS3_NS0_12zip_iteratorINS5_IJN6thrust23THRUST_200600_302600_NS6detail15normal_iteratorINSC_10device_ptrIKxEEEESI_EEEEESK_NSA_INS5_IJNSE_INSF_IxEEEESM_EEEEEPS7_SP_SP_NSC_11hip_rocprim7__merge17predicate_wrapperIxxNSC_7greaterIxEEEEEE10hipError_tPvRmT0_T1_T2_T3_T4_T5_mmT6_P12ihipStream_tbEUlT_E_NS1_11comp_targetILNS1_3genE10ELNS1_11target_archE1200ELNS1_3gpuE4ELNS1_3repE0EEENS1_30default_config_static_selectorELNS0_4arch9wavefront6targetE0EEEvS10_: ; @_ZN7rocprim17ROCPRIM_400000_NS6detail17trampoline_kernelINS0_14default_configENS1_21merge_config_selectorINS0_5tupleIJxxEEENS0_10empty_typeEEEZNS1_10merge_implIS3_NS0_12zip_iteratorINS5_IJN6thrust23THRUST_200600_302600_NS6detail15normal_iteratorINSC_10device_ptrIKxEEEESI_EEEEESK_NSA_INS5_IJNSE_INSF_IxEEEESM_EEEEEPS7_SP_SP_NSC_11hip_rocprim7__merge17predicate_wrapperIxxNSC_7greaterIxEEEEEE10hipError_tPvRmT0_T1_T2_T3_T4_T5_mmT6_P12ihipStream_tbEUlT_E_NS1_11comp_targetILNS1_3genE10ELNS1_11target_archE1200ELNS1_3gpuE4ELNS1_3repE0EEENS1_30default_config_static_selectorELNS0_4arch9wavefront6targetE0EEEvS10_
; %bb.0:
	.section	.rodata,"a",@progbits
	.p2align	6, 0x0
	.amdhsa_kernel _ZN7rocprim17ROCPRIM_400000_NS6detail17trampoline_kernelINS0_14default_configENS1_21merge_config_selectorINS0_5tupleIJxxEEENS0_10empty_typeEEEZNS1_10merge_implIS3_NS0_12zip_iteratorINS5_IJN6thrust23THRUST_200600_302600_NS6detail15normal_iteratorINSC_10device_ptrIKxEEEESI_EEEEESK_NSA_INS5_IJNSE_INSF_IxEEEESM_EEEEEPS7_SP_SP_NSC_11hip_rocprim7__merge17predicate_wrapperIxxNSC_7greaterIxEEEEEE10hipError_tPvRmT0_T1_T2_T3_T4_T5_mmT6_P12ihipStream_tbEUlT_E_NS1_11comp_targetILNS1_3genE10ELNS1_11target_archE1200ELNS1_3gpuE4ELNS1_3repE0EEENS1_30default_config_static_selectorELNS0_4arch9wavefront6targetE0EEEvS10_
		.amdhsa_group_segment_fixed_size 0
		.amdhsa_private_segment_fixed_size 0
		.amdhsa_kernarg_size 64
		.amdhsa_user_sgpr_count 2
		.amdhsa_user_sgpr_dispatch_ptr 0
		.amdhsa_user_sgpr_queue_ptr 0
		.amdhsa_user_sgpr_kernarg_segment_ptr 1
		.amdhsa_user_sgpr_dispatch_id 0
		.amdhsa_user_sgpr_kernarg_preload_length 0
		.amdhsa_user_sgpr_kernarg_preload_offset 0
		.amdhsa_user_sgpr_private_segment_size 0
		.amdhsa_wavefront_size32 1
		.amdhsa_uses_dynamic_stack 0
		.amdhsa_enable_private_segment 0
		.amdhsa_system_sgpr_workgroup_id_x 1
		.amdhsa_system_sgpr_workgroup_id_y 0
		.amdhsa_system_sgpr_workgroup_id_z 0
		.amdhsa_system_sgpr_workgroup_info 0
		.amdhsa_system_vgpr_workitem_id 0
		.amdhsa_next_free_vgpr 1
		.amdhsa_next_free_sgpr 1
		.amdhsa_named_barrier_count 0
		.amdhsa_reserve_vcc 0
		.amdhsa_float_round_mode_32 0
		.amdhsa_float_round_mode_16_64 0
		.amdhsa_float_denorm_mode_32 3
		.amdhsa_float_denorm_mode_16_64 3
		.amdhsa_fp16_overflow 0
		.amdhsa_memory_ordered 1
		.amdhsa_forward_progress 1
		.amdhsa_inst_pref_size 0
		.amdhsa_round_robin_scheduling 0
		.amdhsa_exception_fp_ieee_invalid_op 0
		.amdhsa_exception_fp_denorm_src 0
		.amdhsa_exception_fp_ieee_div_zero 0
		.amdhsa_exception_fp_ieee_overflow 0
		.amdhsa_exception_fp_ieee_underflow 0
		.amdhsa_exception_fp_ieee_inexact 0
		.amdhsa_exception_int_div_zero 0
	.end_amdhsa_kernel
	.section	.text._ZN7rocprim17ROCPRIM_400000_NS6detail17trampoline_kernelINS0_14default_configENS1_21merge_config_selectorINS0_5tupleIJxxEEENS0_10empty_typeEEEZNS1_10merge_implIS3_NS0_12zip_iteratorINS5_IJN6thrust23THRUST_200600_302600_NS6detail15normal_iteratorINSC_10device_ptrIKxEEEESI_EEEEESK_NSA_INS5_IJNSE_INSF_IxEEEESM_EEEEEPS7_SP_SP_NSC_11hip_rocprim7__merge17predicate_wrapperIxxNSC_7greaterIxEEEEEE10hipError_tPvRmT0_T1_T2_T3_T4_T5_mmT6_P12ihipStream_tbEUlT_E_NS1_11comp_targetILNS1_3genE10ELNS1_11target_archE1200ELNS1_3gpuE4ELNS1_3repE0EEENS1_30default_config_static_selectorELNS0_4arch9wavefront6targetE0EEEvS10_,"axG",@progbits,_ZN7rocprim17ROCPRIM_400000_NS6detail17trampoline_kernelINS0_14default_configENS1_21merge_config_selectorINS0_5tupleIJxxEEENS0_10empty_typeEEEZNS1_10merge_implIS3_NS0_12zip_iteratorINS5_IJN6thrust23THRUST_200600_302600_NS6detail15normal_iteratorINSC_10device_ptrIKxEEEESI_EEEEESK_NSA_INS5_IJNSE_INSF_IxEEEESM_EEEEEPS7_SP_SP_NSC_11hip_rocprim7__merge17predicate_wrapperIxxNSC_7greaterIxEEEEEE10hipError_tPvRmT0_T1_T2_T3_T4_T5_mmT6_P12ihipStream_tbEUlT_E_NS1_11comp_targetILNS1_3genE10ELNS1_11target_archE1200ELNS1_3gpuE4ELNS1_3repE0EEENS1_30default_config_static_selectorELNS0_4arch9wavefront6targetE0EEEvS10_,comdat
.Lfunc_end413:
	.size	_ZN7rocprim17ROCPRIM_400000_NS6detail17trampoline_kernelINS0_14default_configENS1_21merge_config_selectorINS0_5tupleIJxxEEENS0_10empty_typeEEEZNS1_10merge_implIS3_NS0_12zip_iteratorINS5_IJN6thrust23THRUST_200600_302600_NS6detail15normal_iteratorINSC_10device_ptrIKxEEEESI_EEEEESK_NSA_INS5_IJNSE_INSF_IxEEEESM_EEEEEPS7_SP_SP_NSC_11hip_rocprim7__merge17predicate_wrapperIxxNSC_7greaterIxEEEEEE10hipError_tPvRmT0_T1_T2_T3_T4_T5_mmT6_P12ihipStream_tbEUlT_E_NS1_11comp_targetILNS1_3genE10ELNS1_11target_archE1200ELNS1_3gpuE4ELNS1_3repE0EEENS1_30default_config_static_selectorELNS0_4arch9wavefront6targetE0EEEvS10_, .Lfunc_end413-_ZN7rocprim17ROCPRIM_400000_NS6detail17trampoline_kernelINS0_14default_configENS1_21merge_config_selectorINS0_5tupleIJxxEEENS0_10empty_typeEEEZNS1_10merge_implIS3_NS0_12zip_iteratorINS5_IJN6thrust23THRUST_200600_302600_NS6detail15normal_iteratorINSC_10device_ptrIKxEEEESI_EEEEESK_NSA_INS5_IJNSE_INSF_IxEEEESM_EEEEEPS7_SP_SP_NSC_11hip_rocprim7__merge17predicate_wrapperIxxNSC_7greaterIxEEEEEE10hipError_tPvRmT0_T1_T2_T3_T4_T5_mmT6_P12ihipStream_tbEUlT_E_NS1_11comp_targetILNS1_3genE10ELNS1_11target_archE1200ELNS1_3gpuE4ELNS1_3repE0EEENS1_30default_config_static_selectorELNS0_4arch9wavefront6targetE0EEEvS10_
                                        ; -- End function
	.set _ZN7rocprim17ROCPRIM_400000_NS6detail17trampoline_kernelINS0_14default_configENS1_21merge_config_selectorINS0_5tupleIJxxEEENS0_10empty_typeEEEZNS1_10merge_implIS3_NS0_12zip_iteratorINS5_IJN6thrust23THRUST_200600_302600_NS6detail15normal_iteratorINSC_10device_ptrIKxEEEESI_EEEEESK_NSA_INS5_IJNSE_INSF_IxEEEESM_EEEEEPS7_SP_SP_NSC_11hip_rocprim7__merge17predicate_wrapperIxxNSC_7greaterIxEEEEEE10hipError_tPvRmT0_T1_T2_T3_T4_T5_mmT6_P12ihipStream_tbEUlT_E_NS1_11comp_targetILNS1_3genE10ELNS1_11target_archE1200ELNS1_3gpuE4ELNS1_3repE0EEENS1_30default_config_static_selectorELNS0_4arch9wavefront6targetE0EEEvS10_.num_vgpr, 0
	.set _ZN7rocprim17ROCPRIM_400000_NS6detail17trampoline_kernelINS0_14default_configENS1_21merge_config_selectorINS0_5tupleIJxxEEENS0_10empty_typeEEEZNS1_10merge_implIS3_NS0_12zip_iteratorINS5_IJN6thrust23THRUST_200600_302600_NS6detail15normal_iteratorINSC_10device_ptrIKxEEEESI_EEEEESK_NSA_INS5_IJNSE_INSF_IxEEEESM_EEEEEPS7_SP_SP_NSC_11hip_rocprim7__merge17predicate_wrapperIxxNSC_7greaterIxEEEEEE10hipError_tPvRmT0_T1_T2_T3_T4_T5_mmT6_P12ihipStream_tbEUlT_E_NS1_11comp_targetILNS1_3genE10ELNS1_11target_archE1200ELNS1_3gpuE4ELNS1_3repE0EEENS1_30default_config_static_selectorELNS0_4arch9wavefront6targetE0EEEvS10_.num_agpr, 0
	.set _ZN7rocprim17ROCPRIM_400000_NS6detail17trampoline_kernelINS0_14default_configENS1_21merge_config_selectorINS0_5tupleIJxxEEENS0_10empty_typeEEEZNS1_10merge_implIS3_NS0_12zip_iteratorINS5_IJN6thrust23THRUST_200600_302600_NS6detail15normal_iteratorINSC_10device_ptrIKxEEEESI_EEEEESK_NSA_INS5_IJNSE_INSF_IxEEEESM_EEEEEPS7_SP_SP_NSC_11hip_rocprim7__merge17predicate_wrapperIxxNSC_7greaterIxEEEEEE10hipError_tPvRmT0_T1_T2_T3_T4_T5_mmT6_P12ihipStream_tbEUlT_E_NS1_11comp_targetILNS1_3genE10ELNS1_11target_archE1200ELNS1_3gpuE4ELNS1_3repE0EEENS1_30default_config_static_selectorELNS0_4arch9wavefront6targetE0EEEvS10_.numbered_sgpr, 0
	.set _ZN7rocprim17ROCPRIM_400000_NS6detail17trampoline_kernelINS0_14default_configENS1_21merge_config_selectorINS0_5tupleIJxxEEENS0_10empty_typeEEEZNS1_10merge_implIS3_NS0_12zip_iteratorINS5_IJN6thrust23THRUST_200600_302600_NS6detail15normal_iteratorINSC_10device_ptrIKxEEEESI_EEEEESK_NSA_INS5_IJNSE_INSF_IxEEEESM_EEEEEPS7_SP_SP_NSC_11hip_rocprim7__merge17predicate_wrapperIxxNSC_7greaterIxEEEEEE10hipError_tPvRmT0_T1_T2_T3_T4_T5_mmT6_P12ihipStream_tbEUlT_E_NS1_11comp_targetILNS1_3genE10ELNS1_11target_archE1200ELNS1_3gpuE4ELNS1_3repE0EEENS1_30default_config_static_selectorELNS0_4arch9wavefront6targetE0EEEvS10_.num_named_barrier, 0
	.set _ZN7rocprim17ROCPRIM_400000_NS6detail17trampoline_kernelINS0_14default_configENS1_21merge_config_selectorINS0_5tupleIJxxEEENS0_10empty_typeEEEZNS1_10merge_implIS3_NS0_12zip_iteratorINS5_IJN6thrust23THRUST_200600_302600_NS6detail15normal_iteratorINSC_10device_ptrIKxEEEESI_EEEEESK_NSA_INS5_IJNSE_INSF_IxEEEESM_EEEEEPS7_SP_SP_NSC_11hip_rocprim7__merge17predicate_wrapperIxxNSC_7greaterIxEEEEEE10hipError_tPvRmT0_T1_T2_T3_T4_T5_mmT6_P12ihipStream_tbEUlT_E_NS1_11comp_targetILNS1_3genE10ELNS1_11target_archE1200ELNS1_3gpuE4ELNS1_3repE0EEENS1_30default_config_static_selectorELNS0_4arch9wavefront6targetE0EEEvS10_.private_seg_size, 0
	.set _ZN7rocprim17ROCPRIM_400000_NS6detail17trampoline_kernelINS0_14default_configENS1_21merge_config_selectorINS0_5tupleIJxxEEENS0_10empty_typeEEEZNS1_10merge_implIS3_NS0_12zip_iteratorINS5_IJN6thrust23THRUST_200600_302600_NS6detail15normal_iteratorINSC_10device_ptrIKxEEEESI_EEEEESK_NSA_INS5_IJNSE_INSF_IxEEEESM_EEEEEPS7_SP_SP_NSC_11hip_rocprim7__merge17predicate_wrapperIxxNSC_7greaterIxEEEEEE10hipError_tPvRmT0_T1_T2_T3_T4_T5_mmT6_P12ihipStream_tbEUlT_E_NS1_11comp_targetILNS1_3genE10ELNS1_11target_archE1200ELNS1_3gpuE4ELNS1_3repE0EEENS1_30default_config_static_selectorELNS0_4arch9wavefront6targetE0EEEvS10_.uses_vcc, 0
	.set _ZN7rocprim17ROCPRIM_400000_NS6detail17trampoline_kernelINS0_14default_configENS1_21merge_config_selectorINS0_5tupleIJxxEEENS0_10empty_typeEEEZNS1_10merge_implIS3_NS0_12zip_iteratorINS5_IJN6thrust23THRUST_200600_302600_NS6detail15normal_iteratorINSC_10device_ptrIKxEEEESI_EEEEESK_NSA_INS5_IJNSE_INSF_IxEEEESM_EEEEEPS7_SP_SP_NSC_11hip_rocprim7__merge17predicate_wrapperIxxNSC_7greaterIxEEEEEE10hipError_tPvRmT0_T1_T2_T3_T4_T5_mmT6_P12ihipStream_tbEUlT_E_NS1_11comp_targetILNS1_3genE10ELNS1_11target_archE1200ELNS1_3gpuE4ELNS1_3repE0EEENS1_30default_config_static_selectorELNS0_4arch9wavefront6targetE0EEEvS10_.uses_flat_scratch, 0
	.set _ZN7rocprim17ROCPRIM_400000_NS6detail17trampoline_kernelINS0_14default_configENS1_21merge_config_selectorINS0_5tupleIJxxEEENS0_10empty_typeEEEZNS1_10merge_implIS3_NS0_12zip_iteratorINS5_IJN6thrust23THRUST_200600_302600_NS6detail15normal_iteratorINSC_10device_ptrIKxEEEESI_EEEEESK_NSA_INS5_IJNSE_INSF_IxEEEESM_EEEEEPS7_SP_SP_NSC_11hip_rocprim7__merge17predicate_wrapperIxxNSC_7greaterIxEEEEEE10hipError_tPvRmT0_T1_T2_T3_T4_T5_mmT6_P12ihipStream_tbEUlT_E_NS1_11comp_targetILNS1_3genE10ELNS1_11target_archE1200ELNS1_3gpuE4ELNS1_3repE0EEENS1_30default_config_static_selectorELNS0_4arch9wavefront6targetE0EEEvS10_.has_dyn_sized_stack, 0
	.set _ZN7rocprim17ROCPRIM_400000_NS6detail17trampoline_kernelINS0_14default_configENS1_21merge_config_selectorINS0_5tupleIJxxEEENS0_10empty_typeEEEZNS1_10merge_implIS3_NS0_12zip_iteratorINS5_IJN6thrust23THRUST_200600_302600_NS6detail15normal_iteratorINSC_10device_ptrIKxEEEESI_EEEEESK_NSA_INS5_IJNSE_INSF_IxEEEESM_EEEEEPS7_SP_SP_NSC_11hip_rocprim7__merge17predicate_wrapperIxxNSC_7greaterIxEEEEEE10hipError_tPvRmT0_T1_T2_T3_T4_T5_mmT6_P12ihipStream_tbEUlT_E_NS1_11comp_targetILNS1_3genE10ELNS1_11target_archE1200ELNS1_3gpuE4ELNS1_3repE0EEENS1_30default_config_static_selectorELNS0_4arch9wavefront6targetE0EEEvS10_.has_recursion, 0
	.set _ZN7rocprim17ROCPRIM_400000_NS6detail17trampoline_kernelINS0_14default_configENS1_21merge_config_selectorINS0_5tupleIJxxEEENS0_10empty_typeEEEZNS1_10merge_implIS3_NS0_12zip_iteratorINS5_IJN6thrust23THRUST_200600_302600_NS6detail15normal_iteratorINSC_10device_ptrIKxEEEESI_EEEEESK_NSA_INS5_IJNSE_INSF_IxEEEESM_EEEEEPS7_SP_SP_NSC_11hip_rocprim7__merge17predicate_wrapperIxxNSC_7greaterIxEEEEEE10hipError_tPvRmT0_T1_T2_T3_T4_T5_mmT6_P12ihipStream_tbEUlT_E_NS1_11comp_targetILNS1_3genE10ELNS1_11target_archE1200ELNS1_3gpuE4ELNS1_3repE0EEENS1_30default_config_static_selectorELNS0_4arch9wavefront6targetE0EEEvS10_.has_indirect_call, 0
	.section	.AMDGPU.csdata,"",@progbits
; Kernel info:
; codeLenInByte = 0
; TotalNumSgprs: 0
; NumVgprs: 0
; ScratchSize: 0
; MemoryBound: 0
; FloatMode: 240
; IeeeMode: 1
; LDSByteSize: 0 bytes/workgroup (compile time only)
; SGPRBlocks: 0
; VGPRBlocks: 0
; NumSGPRsForWavesPerEU: 1
; NumVGPRsForWavesPerEU: 1
; NamedBarCnt: 0
; Occupancy: 16
; WaveLimiterHint : 0
; COMPUTE_PGM_RSRC2:SCRATCH_EN: 0
; COMPUTE_PGM_RSRC2:USER_SGPR: 2
; COMPUTE_PGM_RSRC2:TRAP_HANDLER: 0
; COMPUTE_PGM_RSRC2:TGID_X_EN: 1
; COMPUTE_PGM_RSRC2:TGID_Y_EN: 0
; COMPUTE_PGM_RSRC2:TGID_Z_EN: 0
; COMPUTE_PGM_RSRC2:TIDIG_COMP_CNT: 0
	.section	.text._ZN7rocprim17ROCPRIM_400000_NS6detail17trampoline_kernelINS0_14default_configENS1_21merge_config_selectorINS0_5tupleIJxxEEENS0_10empty_typeEEEZNS1_10merge_implIS3_NS0_12zip_iteratorINS5_IJN6thrust23THRUST_200600_302600_NS6detail15normal_iteratorINSC_10device_ptrIKxEEEESI_EEEEESK_NSA_INS5_IJNSE_INSF_IxEEEESM_EEEEEPS7_SP_SP_NSC_11hip_rocprim7__merge17predicate_wrapperIxxNSC_7greaterIxEEEEEE10hipError_tPvRmT0_T1_T2_T3_T4_T5_mmT6_P12ihipStream_tbEUlT_E_NS1_11comp_targetILNS1_3genE9ELNS1_11target_archE1100ELNS1_3gpuE3ELNS1_3repE0EEENS1_30default_config_static_selectorELNS0_4arch9wavefront6targetE0EEEvS10_,"axG",@progbits,_ZN7rocprim17ROCPRIM_400000_NS6detail17trampoline_kernelINS0_14default_configENS1_21merge_config_selectorINS0_5tupleIJxxEEENS0_10empty_typeEEEZNS1_10merge_implIS3_NS0_12zip_iteratorINS5_IJN6thrust23THRUST_200600_302600_NS6detail15normal_iteratorINSC_10device_ptrIKxEEEESI_EEEEESK_NSA_INS5_IJNSE_INSF_IxEEEESM_EEEEEPS7_SP_SP_NSC_11hip_rocprim7__merge17predicate_wrapperIxxNSC_7greaterIxEEEEEE10hipError_tPvRmT0_T1_T2_T3_T4_T5_mmT6_P12ihipStream_tbEUlT_E_NS1_11comp_targetILNS1_3genE9ELNS1_11target_archE1100ELNS1_3gpuE3ELNS1_3repE0EEENS1_30default_config_static_selectorELNS0_4arch9wavefront6targetE0EEEvS10_,comdat
	.protected	_ZN7rocprim17ROCPRIM_400000_NS6detail17trampoline_kernelINS0_14default_configENS1_21merge_config_selectorINS0_5tupleIJxxEEENS0_10empty_typeEEEZNS1_10merge_implIS3_NS0_12zip_iteratorINS5_IJN6thrust23THRUST_200600_302600_NS6detail15normal_iteratorINSC_10device_ptrIKxEEEESI_EEEEESK_NSA_INS5_IJNSE_INSF_IxEEEESM_EEEEEPS7_SP_SP_NSC_11hip_rocprim7__merge17predicate_wrapperIxxNSC_7greaterIxEEEEEE10hipError_tPvRmT0_T1_T2_T3_T4_T5_mmT6_P12ihipStream_tbEUlT_E_NS1_11comp_targetILNS1_3genE9ELNS1_11target_archE1100ELNS1_3gpuE3ELNS1_3repE0EEENS1_30default_config_static_selectorELNS0_4arch9wavefront6targetE0EEEvS10_ ; -- Begin function _ZN7rocprim17ROCPRIM_400000_NS6detail17trampoline_kernelINS0_14default_configENS1_21merge_config_selectorINS0_5tupleIJxxEEENS0_10empty_typeEEEZNS1_10merge_implIS3_NS0_12zip_iteratorINS5_IJN6thrust23THRUST_200600_302600_NS6detail15normal_iteratorINSC_10device_ptrIKxEEEESI_EEEEESK_NSA_INS5_IJNSE_INSF_IxEEEESM_EEEEEPS7_SP_SP_NSC_11hip_rocprim7__merge17predicate_wrapperIxxNSC_7greaterIxEEEEEE10hipError_tPvRmT0_T1_T2_T3_T4_T5_mmT6_P12ihipStream_tbEUlT_E_NS1_11comp_targetILNS1_3genE9ELNS1_11target_archE1100ELNS1_3gpuE3ELNS1_3repE0EEENS1_30default_config_static_selectorELNS0_4arch9wavefront6targetE0EEEvS10_
	.globl	_ZN7rocprim17ROCPRIM_400000_NS6detail17trampoline_kernelINS0_14default_configENS1_21merge_config_selectorINS0_5tupleIJxxEEENS0_10empty_typeEEEZNS1_10merge_implIS3_NS0_12zip_iteratorINS5_IJN6thrust23THRUST_200600_302600_NS6detail15normal_iteratorINSC_10device_ptrIKxEEEESI_EEEEESK_NSA_INS5_IJNSE_INSF_IxEEEESM_EEEEEPS7_SP_SP_NSC_11hip_rocprim7__merge17predicate_wrapperIxxNSC_7greaterIxEEEEEE10hipError_tPvRmT0_T1_T2_T3_T4_T5_mmT6_P12ihipStream_tbEUlT_E_NS1_11comp_targetILNS1_3genE9ELNS1_11target_archE1100ELNS1_3gpuE3ELNS1_3repE0EEENS1_30default_config_static_selectorELNS0_4arch9wavefront6targetE0EEEvS10_
	.p2align	8
	.type	_ZN7rocprim17ROCPRIM_400000_NS6detail17trampoline_kernelINS0_14default_configENS1_21merge_config_selectorINS0_5tupleIJxxEEENS0_10empty_typeEEEZNS1_10merge_implIS3_NS0_12zip_iteratorINS5_IJN6thrust23THRUST_200600_302600_NS6detail15normal_iteratorINSC_10device_ptrIKxEEEESI_EEEEESK_NSA_INS5_IJNSE_INSF_IxEEEESM_EEEEEPS7_SP_SP_NSC_11hip_rocprim7__merge17predicate_wrapperIxxNSC_7greaterIxEEEEEE10hipError_tPvRmT0_T1_T2_T3_T4_T5_mmT6_P12ihipStream_tbEUlT_E_NS1_11comp_targetILNS1_3genE9ELNS1_11target_archE1100ELNS1_3gpuE3ELNS1_3repE0EEENS1_30default_config_static_selectorELNS0_4arch9wavefront6targetE0EEEvS10_,@function
_ZN7rocprim17ROCPRIM_400000_NS6detail17trampoline_kernelINS0_14default_configENS1_21merge_config_selectorINS0_5tupleIJxxEEENS0_10empty_typeEEEZNS1_10merge_implIS3_NS0_12zip_iteratorINS5_IJN6thrust23THRUST_200600_302600_NS6detail15normal_iteratorINSC_10device_ptrIKxEEEESI_EEEEESK_NSA_INS5_IJNSE_INSF_IxEEEESM_EEEEEPS7_SP_SP_NSC_11hip_rocprim7__merge17predicate_wrapperIxxNSC_7greaterIxEEEEEE10hipError_tPvRmT0_T1_T2_T3_T4_T5_mmT6_P12ihipStream_tbEUlT_E_NS1_11comp_targetILNS1_3genE9ELNS1_11target_archE1100ELNS1_3gpuE3ELNS1_3repE0EEENS1_30default_config_static_selectorELNS0_4arch9wavefront6targetE0EEEvS10_: ; @_ZN7rocprim17ROCPRIM_400000_NS6detail17trampoline_kernelINS0_14default_configENS1_21merge_config_selectorINS0_5tupleIJxxEEENS0_10empty_typeEEEZNS1_10merge_implIS3_NS0_12zip_iteratorINS5_IJN6thrust23THRUST_200600_302600_NS6detail15normal_iteratorINSC_10device_ptrIKxEEEESI_EEEEESK_NSA_INS5_IJNSE_INSF_IxEEEESM_EEEEEPS7_SP_SP_NSC_11hip_rocprim7__merge17predicate_wrapperIxxNSC_7greaterIxEEEEEE10hipError_tPvRmT0_T1_T2_T3_T4_T5_mmT6_P12ihipStream_tbEUlT_E_NS1_11comp_targetILNS1_3genE9ELNS1_11target_archE1100ELNS1_3gpuE3ELNS1_3repE0EEENS1_30default_config_static_selectorELNS0_4arch9wavefront6targetE0EEEvS10_
; %bb.0:
	.section	.rodata,"a",@progbits
	.p2align	6, 0x0
	.amdhsa_kernel _ZN7rocprim17ROCPRIM_400000_NS6detail17trampoline_kernelINS0_14default_configENS1_21merge_config_selectorINS0_5tupleIJxxEEENS0_10empty_typeEEEZNS1_10merge_implIS3_NS0_12zip_iteratorINS5_IJN6thrust23THRUST_200600_302600_NS6detail15normal_iteratorINSC_10device_ptrIKxEEEESI_EEEEESK_NSA_INS5_IJNSE_INSF_IxEEEESM_EEEEEPS7_SP_SP_NSC_11hip_rocprim7__merge17predicate_wrapperIxxNSC_7greaterIxEEEEEE10hipError_tPvRmT0_T1_T2_T3_T4_T5_mmT6_P12ihipStream_tbEUlT_E_NS1_11comp_targetILNS1_3genE9ELNS1_11target_archE1100ELNS1_3gpuE3ELNS1_3repE0EEENS1_30default_config_static_selectorELNS0_4arch9wavefront6targetE0EEEvS10_
		.amdhsa_group_segment_fixed_size 0
		.amdhsa_private_segment_fixed_size 0
		.amdhsa_kernarg_size 64
		.amdhsa_user_sgpr_count 2
		.amdhsa_user_sgpr_dispatch_ptr 0
		.amdhsa_user_sgpr_queue_ptr 0
		.amdhsa_user_sgpr_kernarg_segment_ptr 1
		.amdhsa_user_sgpr_dispatch_id 0
		.amdhsa_user_sgpr_kernarg_preload_length 0
		.amdhsa_user_sgpr_kernarg_preload_offset 0
		.amdhsa_user_sgpr_private_segment_size 0
		.amdhsa_wavefront_size32 1
		.amdhsa_uses_dynamic_stack 0
		.amdhsa_enable_private_segment 0
		.amdhsa_system_sgpr_workgroup_id_x 1
		.amdhsa_system_sgpr_workgroup_id_y 0
		.amdhsa_system_sgpr_workgroup_id_z 0
		.amdhsa_system_sgpr_workgroup_info 0
		.amdhsa_system_vgpr_workitem_id 0
		.amdhsa_next_free_vgpr 1
		.amdhsa_next_free_sgpr 1
		.amdhsa_named_barrier_count 0
		.amdhsa_reserve_vcc 0
		.amdhsa_float_round_mode_32 0
		.amdhsa_float_round_mode_16_64 0
		.amdhsa_float_denorm_mode_32 3
		.amdhsa_float_denorm_mode_16_64 3
		.amdhsa_fp16_overflow 0
		.amdhsa_memory_ordered 1
		.amdhsa_forward_progress 1
		.amdhsa_inst_pref_size 0
		.amdhsa_round_robin_scheduling 0
		.amdhsa_exception_fp_ieee_invalid_op 0
		.amdhsa_exception_fp_denorm_src 0
		.amdhsa_exception_fp_ieee_div_zero 0
		.amdhsa_exception_fp_ieee_overflow 0
		.amdhsa_exception_fp_ieee_underflow 0
		.amdhsa_exception_fp_ieee_inexact 0
		.amdhsa_exception_int_div_zero 0
	.end_amdhsa_kernel
	.section	.text._ZN7rocprim17ROCPRIM_400000_NS6detail17trampoline_kernelINS0_14default_configENS1_21merge_config_selectorINS0_5tupleIJxxEEENS0_10empty_typeEEEZNS1_10merge_implIS3_NS0_12zip_iteratorINS5_IJN6thrust23THRUST_200600_302600_NS6detail15normal_iteratorINSC_10device_ptrIKxEEEESI_EEEEESK_NSA_INS5_IJNSE_INSF_IxEEEESM_EEEEEPS7_SP_SP_NSC_11hip_rocprim7__merge17predicate_wrapperIxxNSC_7greaterIxEEEEEE10hipError_tPvRmT0_T1_T2_T3_T4_T5_mmT6_P12ihipStream_tbEUlT_E_NS1_11comp_targetILNS1_3genE9ELNS1_11target_archE1100ELNS1_3gpuE3ELNS1_3repE0EEENS1_30default_config_static_selectorELNS0_4arch9wavefront6targetE0EEEvS10_,"axG",@progbits,_ZN7rocprim17ROCPRIM_400000_NS6detail17trampoline_kernelINS0_14default_configENS1_21merge_config_selectorINS0_5tupleIJxxEEENS0_10empty_typeEEEZNS1_10merge_implIS3_NS0_12zip_iteratorINS5_IJN6thrust23THRUST_200600_302600_NS6detail15normal_iteratorINSC_10device_ptrIKxEEEESI_EEEEESK_NSA_INS5_IJNSE_INSF_IxEEEESM_EEEEEPS7_SP_SP_NSC_11hip_rocprim7__merge17predicate_wrapperIxxNSC_7greaterIxEEEEEE10hipError_tPvRmT0_T1_T2_T3_T4_T5_mmT6_P12ihipStream_tbEUlT_E_NS1_11comp_targetILNS1_3genE9ELNS1_11target_archE1100ELNS1_3gpuE3ELNS1_3repE0EEENS1_30default_config_static_selectorELNS0_4arch9wavefront6targetE0EEEvS10_,comdat
.Lfunc_end414:
	.size	_ZN7rocprim17ROCPRIM_400000_NS6detail17trampoline_kernelINS0_14default_configENS1_21merge_config_selectorINS0_5tupleIJxxEEENS0_10empty_typeEEEZNS1_10merge_implIS3_NS0_12zip_iteratorINS5_IJN6thrust23THRUST_200600_302600_NS6detail15normal_iteratorINSC_10device_ptrIKxEEEESI_EEEEESK_NSA_INS5_IJNSE_INSF_IxEEEESM_EEEEEPS7_SP_SP_NSC_11hip_rocprim7__merge17predicate_wrapperIxxNSC_7greaterIxEEEEEE10hipError_tPvRmT0_T1_T2_T3_T4_T5_mmT6_P12ihipStream_tbEUlT_E_NS1_11comp_targetILNS1_3genE9ELNS1_11target_archE1100ELNS1_3gpuE3ELNS1_3repE0EEENS1_30default_config_static_selectorELNS0_4arch9wavefront6targetE0EEEvS10_, .Lfunc_end414-_ZN7rocprim17ROCPRIM_400000_NS6detail17trampoline_kernelINS0_14default_configENS1_21merge_config_selectorINS0_5tupleIJxxEEENS0_10empty_typeEEEZNS1_10merge_implIS3_NS0_12zip_iteratorINS5_IJN6thrust23THRUST_200600_302600_NS6detail15normal_iteratorINSC_10device_ptrIKxEEEESI_EEEEESK_NSA_INS5_IJNSE_INSF_IxEEEESM_EEEEEPS7_SP_SP_NSC_11hip_rocprim7__merge17predicate_wrapperIxxNSC_7greaterIxEEEEEE10hipError_tPvRmT0_T1_T2_T3_T4_T5_mmT6_P12ihipStream_tbEUlT_E_NS1_11comp_targetILNS1_3genE9ELNS1_11target_archE1100ELNS1_3gpuE3ELNS1_3repE0EEENS1_30default_config_static_selectorELNS0_4arch9wavefront6targetE0EEEvS10_
                                        ; -- End function
	.set _ZN7rocprim17ROCPRIM_400000_NS6detail17trampoline_kernelINS0_14default_configENS1_21merge_config_selectorINS0_5tupleIJxxEEENS0_10empty_typeEEEZNS1_10merge_implIS3_NS0_12zip_iteratorINS5_IJN6thrust23THRUST_200600_302600_NS6detail15normal_iteratorINSC_10device_ptrIKxEEEESI_EEEEESK_NSA_INS5_IJNSE_INSF_IxEEEESM_EEEEEPS7_SP_SP_NSC_11hip_rocprim7__merge17predicate_wrapperIxxNSC_7greaterIxEEEEEE10hipError_tPvRmT0_T1_T2_T3_T4_T5_mmT6_P12ihipStream_tbEUlT_E_NS1_11comp_targetILNS1_3genE9ELNS1_11target_archE1100ELNS1_3gpuE3ELNS1_3repE0EEENS1_30default_config_static_selectorELNS0_4arch9wavefront6targetE0EEEvS10_.num_vgpr, 0
	.set _ZN7rocprim17ROCPRIM_400000_NS6detail17trampoline_kernelINS0_14default_configENS1_21merge_config_selectorINS0_5tupleIJxxEEENS0_10empty_typeEEEZNS1_10merge_implIS3_NS0_12zip_iteratorINS5_IJN6thrust23THRUST_200600_302600_NS6detail15normal_iteratorINSC_10device_ptrIKxEEEESI_EEEEESK_NSA_INS5_IJNSE_INSF_IxEEEESM_EEEEEPS7_SP_SP_NSC_11hip_rocprim7__merge17predicate_wrapperIxxNSC_7greaterIxEEEEEE10hipError_tPvRmT0_T1_T2_T3_T4_T5_mmT6_P12ihipStream_tbEUlT_E_NS1_11comp_targetILNS1_3genE9ELNS1_11target_archE1100ELNS1_3gpuE3ELNS1_3repE0EEENS1_30default_config_static_selectorELNS0_4arch9wavefront6targetE0EEEvS10_.num_agpr, 0
	.set _ZN7rocprim17ROCPRIM_400000_NS6detail17trampoline_kernelINS0_14default_configENS1_21merge_config_selectorINS0_5tupleIJxxEEENS0_10empty_typeEEEZNS1_10merge_implIS3_NS0_12zip_iteratorINS5_IJN6thrust23THRUST_200600_302600_NS6detail15normal_iteratorINSC_10device_ptrIKxEEEESI_EEEEESK_NSA_INS5_IJNSE_INSF_IxEEEESM_EEEEEPS7_SP_SP_NSC_11hip_rocprim7__merge17predicate_wrapperIxxNSC_7greaterIxEEEEEE10hipError_tPvRmT0_T1_T2_T3_T4_T5_mmT6_P12ihipStream_tbEUlT_E_NS1_11comp_targetILNS1_3genE9ELNS1_11target_archE1100ELNS1_3gpuE3ELNS1_3repE0EEENS1_30default_config_static_selectorELNS0_4arch9wavefront6targetE0EEEvS10_.numbered_sgpr, 0
	.set _ZN7rocprim17ROCPRIM_400000_NS6detail17trampoline_kernelINS0_14default_configENS1_21merge_config_selectorINS0_5tupleIJxxEEENS0_10empty_typeEEEZNS1_10merge_implIS3_NS0_12zip_iteratorINS5_IJN6thrust23THRUST_200600_302600_NS6detail15normal_iteratorINSC_10device_ptrIKxEEEESI_EEEEESK_NSA_INS5_IJNSE_INSF_IxEEEESM_EEEEEPS7_SP_SP_NSC_11hip_rocprim7__merge17predicate_wrapperIxxNSC_7greaterIxEEEEEE10hipError_tPvRmT0_T1_T2_T3_T4_T5_mmT6_P12ihipStream_tbEUlT_E_NS1_11comp_targetILNS1_3genE9ELNS1_11target_archE1100ELNS1_3gpuE3ELNS1_3repE0EEENS1_30default_config_static_selectorELNS0_4arch9wavefront6targetE0EEEvS10_.num_named_barrier, 0
	.set _ZN7rocprim17ROCPRIM_400000_NS6detail17trampoline_kernelINS0_14default_configENS1_21merge_config_selectorINS0_5tupleIJxxEEENS0_10empty_typeEEEZNS1_10merge_implIS3_NS0_12zip_iteratorINS5_IJN6thrust23THRUST_200600_302600_NS6detail15normal_iteratorINSC_10device_ptrIKxEEEESI_EEEEESK_NSA_INS5_IJNSE_INSF_IxEEEESM_EEEEEPS7_SP_SP_NSC_11hip_rocprim7__merge17predicate_wrapperIxxNSC_7greaterIxEEEEEE10hipError_tPvRmT0_T1_T2_T3_T4_T5_mmT6_P12ihipStream_tbEUlT_E_NS1_11comp_targetILNS1_3genE9ELNS1_11target_archE1100ELNS1_3gpuE3ELNS1_3repE0EEENS1_30default_config_static_selectorELNS0_4arch9wavefront6targetE0EEEvS10_.private_seg_size, 0
	.set _ZN7rocprim17ROCPRIM_400000_NS6detail17trampoline_kernelINS0_14default_configENS1_21merge_config_selectorINS0_5tupleIJxxEEENS0_10empty_typeEEEZNS1_10merge_implIS3_NS0_12zip_iteratorINS5_IJN6thrust23THRUST_200600_302600_NS6detail15normal_iteratorINSC_10device_ptrIKxEEEESI_EEEEESK_NSA_INS5_IJNSE_INSF_IxEEEESM_EEEEEPS7_SP_SP_NSC_11hip_rocprim7__merge17predicate_wrapperIxxNSC_7greaterIxEEEEEE10hipError_tPvRmT0_T1_T2_T3_T4_T5_mmT6_P12ihipStream_tbEUlT_E_NS1_11comp_targetILNS1_3genE9ELNS1_11target_archE1100ELNS1_3gpuE3ELNS1_3repE0EEENS1_30default_config_static_selectorELNS0_4arch9wavefront6targetE0EEEvS10_.uses_vcc, 0
	.set _ZN7rocprim17ROCPRIM_400000_NS6detail17trampoline_kernelINS0_14default_configENS1_21merge_config_selectorINS0_5tupleIJxxEEENS0_10empty_typeEEEZNS1_10merge_implIS3_NS0_12zip_iteratorINS5_IJN6thrust23THRUST_200600_302600_NS6detail15normal_iteratorINSC_10device_ptrIKxEEEESI_EEEEESK_NSA_INS5_IJNSE_INSF_IxEEEESM_EEEEEPS7_SP_SP_NSC_11hip_rocprim7__merge17predicate_wrapperIxxNSC_7greaterIxEEEEEE10hipError_tPvRmT0_T1_T2_T3_T4_T5_mmT6_P12ihipStream_tbEUlT_E_NS1_11comp_targetILNS1_3genE9ELNS1_11target_archE1100ELNS1_3gpuE3ELNS1_3repE0EEENS1_30default_config_static_selectorELNS0_4arch9wavefront6targetE0EEEvS10_.uses_flat_scratch, 0
	.set _ZN7rocprim17ROCPRIM_400000_NS6detail17trampoline_kernelINS0_14default_configENS1_21merge_config_selectorINS0_5tupleIJxxEEENS0_10empty_typeEEEZNS1_10merge_implIS3_NS0_12zip_iteratorINS5_IJN6thrust23THRUST_200600_302600_NS6detail15normal_iteratorINSC_10device_ptrIKxEEEESI_EEEEESK_NSA_INS5_IJNSE_INSF_IxEEEESM_EEEEEPS7_SP_SP_NSC_11hip_rocprim7__merge17predicate_wrapperIxxNSC_7greaterIxEEEEEE10hipError_tPvRmT0_T1_T2_T3_T4_T5_mmT6_P12ihipStream_tbEUlT_E_NS1_11comp_targetILNS1_3genE9ELNS1_11target_archE1100ELNS1_3gpuE3ELNS1_3repE0EEENS1_30default_config_static_selectorELNS0_4arch9wavefront6targetE0EEEvS10_.has_dyn_sized_stack, 0
	.set _ZN7rocprim17ROCPRIM_400000_NS6detail17trampoline_kernelINS0_14default_configENS1_21merge_config_selectorINS0_5tupleIJxxEEENS0_10empty_typeEEEZNS1_10merge_implIS3_NS0_12zip_iteratorINS5_IJN6thrust23THRUST_200600_302600_NS6detail15normal_iteratorINSC_10device_ptrIKxEEEESI_EEEEESK_NSA_INS5_IJNSE_INSF_IxEEEESM_EEEEEPS7_SP_SP_NSC_11hip_rocprim7__merge17predicate_wrapperIxxNSC_7greaterIxEEEEEE10hipError_tPvRmT0_T1_T2_T3_T4_T5_mmT6_P12ihipStream_tbEUlT_E_NS1_11comp_targetILNS1_3genE9ELNS1_11target_archE1100ELNS1_3gpuE3ELNS1_3repE0EEENS1_30default_config_static_selectorELNS0_4arch9wavefront6targetE0EEEvS10_.has_recursion, 0
	.set _ZN7rocprim17ROCPRIM_400000_NS6detail17trampoline_kernelINS0_14default_configENS1_21merge_config_selectorINS0_5tupleIJxxEEENS0_10empty_typeEEEZNS1_10merge_implIS3_NS0_12zip_iteratorINS5_IJN6thrust23THRUST_200600_302600_NS6detail15normal_iteratorINSC_10device_ptrIKxEEEESI_EEEEESK_NSA_INS5_IJNSE_INSF_IxEEEESM_EEEEEPS7_SP_SP_NSC_11hip_rocprim7__merge17predicate_wrapperIxxNSC_7greaterIxEEEEEE10hipError_tPvRmT0_T1_T2_T3_T4_T5_mmT6_P12ihipStream_tbEUlT_E_NS1_11comp_targetILNS1_3genE9ELNS1_11target_archE1100ELNS1_3gpuE3ELNS1_3repE0EEENS1_30default_config_static_selectorELNS0_4arch9wavefront6targetE0EEEvS10_.has_indirect_call, 0
	.section	.AMDGPU.csdata,"",@progbits
; Kernel info:
; codeLenInByte = 0
; TotalNumSgprs: 0
; NumVgprs: 0
; ScratchSize: 0
; MemoryBound: 0
; FloatMode: 240
; IeeeMode: 1
; LDSByteSize: 0 bytes/workgroup (compile time only)
; SGPRBlocks: 0
; VGPRBlocks: 0
; NumSGPRsForWavesPerEU: 1
; NumVGPRsForWavesPerEU: 1
; NamedBarCnt: 0
; Occupancy: 16
; WaveLimiterHint : 0
; COMPUTE_PGM_RSRC2:SCRATCH_EN: 0
; COMPUTE_PGM_RSRC2:USER_SGPR: 2
; COMPUTE_PGM_RSRC2:TRAP_HANDLER: 0
; COMPUTE_PGM_RSRC2:TGID_X_EN: 1
; COMPUTE_PGM_RSRC2:TGID_Y_EN: 0
; COMPUTE_PGM_RSRC2:TGID_Z_EN: 0
; COMPUTE_PGM_RSRC2:TIDIG_COMP_CNT: 0
	.section	.text._ZN7rocprim17ROCPRIM_400000_NS6detail17trampoline_kernelINS0_14default_configENS1_21merge_config_selectorINS0_5tupleIJxxEEENS0_10empty_typeEEEZNS1_10merge_implIS3_NS0_12zip_iteratorINS5_IJN6thrust23THRUST_200600_302600_NS6detail15normal_iteratorINSC_10device_ptrIKxEEEESI_EEEEESK_NSA_INS5_IJNSE_INSF_IxEEEESM_EEEEEPS7_SP_SP_NSC_11hip_rocprim7__merge17predicate_wrapperIxxNSC_7greaterIxEEEEEE10hipError_tPvRmT0_T1_T2_T3_T4_T5_mmT6_P12ihipStream_tbEUlT_E_NS1_11comp_targetILNS1_3genE8ELNS1_11target_archE1030ELNS1_3gpuE2ELNS1_3repE0EEENS1_30default_config_static_selectorELNS0_4arch9wavefront6targetE0EEEvS10_,"axG",@progbits,_ZN7rocprim17ROCPRIM_400000_NS6detail17trampoline_kernelINS0_14default_configENS1_21merge_config_selectorINS0_5tupleIJxxEEENS0_10empty_typeEEEZNS1_10merge_implIS3_NS0_12zip_iteratorINS5_IJN6thrust23THRUST_200600_302600_NS6detail15normal_iteratorINSC_10device_ptrIKxEEEESI_EEEEESK_NSA_INS5_IJNSE_INSF_IxEEEESM_EEEEEPS7_SP_SP_NSC_11hip_rocprim7__merge17predicate_wrapperIxxNSC_7greaterIxEEEEEE10hipError_tPvRmT0_T1_T2_T3_T4_T5_mmT6_P12ihipStream_tbEUlT_E_NS1_11comp_targetILNS1_3genE8ELNS1_11target_archE1030ELNS1_3gpuE2ELNS1_3repE0EEENS1_30default_config_static_selectorELNS0_4arch9wavefront6targetE0EEEvS10_,comdat
	.protected	_ZN7rocprim17ROCPRIM_400000_NS6detail17trampoline_kernelINS0_14default_configENS1_21merge_config_selectorINS0_5tupleIJxxEEENS0_10empty_typeEEEZNS1_10merge_implIS3_NS0_12zip_iteratorINS5_IJN6thrust23THRUST_200600_302600_NS6detail15normal_iteratorINSC_10device_ptrIKxEEEESI_EEEEESK_NSA_INS5_IJNSE_INSF_IxEEEESM_EEEEEPS7_SP_SP_NSC_11hip_rocprim7__merge17predicate_wrapperIxxNSC_7greaterIxEEEEEE10hipError_tPvRmT0_T1_T2_T3_T4_T5_mmT6_P12ihipStream_tbEUlT_E_NS1_11comp_targetILNS1_3genE8ELNS1_11target_archE1030ELNS1_3gpuE2ELNS1_3repE0EEENS1_30default_config_static_selectorELNS0_4arch9wavefront6targetE0EEEvS10_ ; -- Begin function _ZN7rocprim17ROCPRIM_400000_NS6detail17trampoline_kernelINS0_14default_configENS1_21merge_config_selectorINS0_5tupleIJxxEEENS0_10empty_typeEEEZNS1_10merge_implIS3_NS0_12zip_iteratorINS5_IJN6thrust23THRUST_200600_302600_NS6detail15normal_iteratorINSC_10device_ptrIKxEEEESI_EEEEESK_NSA_INS5_IJNSE_INSF_IxEEEESM_EEEEEPS7_SP_SP_NSC_11hip_rocprim7__merge17predicate_wrapperIxxNSC_7greaterIxEEEEEE10hipError_tPvRmT0_T1_T2_T3_T4_T5_mmT6_P12ihipStream_tbEUlT_E_NS1_11comp_targetILNS1_3genE8ELNS1_11target_archE1030ELNS1_3gpuE2ELNS1_3repE0EEENS1_30default_config_static_selectorELNS0_4arch9wavefront6targetE0EEEvS10_
	.globl	_ZN7rocprim17ROCPRIM_400000_NS6detail17trampoline_kernelINS0_14default_configENS1_21merge_config_selectorINS0_5tupleIJxxEEENS0_10empty_typeEEEZNS1_10merge_implIS3_NS0_12zip_iteratorINS5_IJN6thrust23THRUST_200600_302600_NS6detail15normal_iteratorINSC_10device_ptrIKxEEEESI_EEEEESK_NSA_INS5_IJNSE_INSF_IxEEEESM_EEEEEPS7_SP_SP_NSC_11hip_rocprim7__merge17predicate_wrapperIxxNSC_7greaterIxEEEEEE10hipError_tPvRmT0_T1_T2_T3_T4_T5_mmT6_P12ihipStream_tbEUlT_E_NS1_11comp_targetILNS1_3genE8ELNS1_11target_archE1030ELNS1_3gpuE2ELNS1_3repE0EEENS1_30default_config_static_selectorELNS0_4arch9wavefront6targetE0EEEvS10_
	.p2align	8
	.type	_ZN7rocprim17ROCPRIM_400000_NS6detail17trampoline_kernelINS0_14default_configENS1_21merge_config_selectorINS0_5tupleIJxxEEENS0_10empty_typeEEEZNS1_10merge_implIS3_NS0_12zip_iteratorINS5_IJN6thrust23THRUST_200600_302600_NS6detail15normal_iteratorINSC_10device_ptrIKxEEEESI_EEEEESK_NSA_INS5_IJNSE_INSF_IxEEEESM_EEEEEPS7_SP_SP_NSC_11hip_rocprim7__merge17predicate_wrapperIxxNSC_7greaterIxEEEEEE10hipError_tPvRmT0_T1_T2_T3_T4_T5_mmT6_P12ihipStream_tbEUlT_E_NS1_11comp_targetILNS1_3genE8ELNS1_11target_archE1030ELNS1_3gpuE2ELNS1_3repE0EEENS1_30default_config_static_selectorELNS0_4arch9wavefront6targetE0EEEvS10_,@function
_ZN7rocprim17ROCPRIM_400000_NS6detail17trampoline_kernelINS0_14default_configENS1_21merge_config_selectorINS0_5tupleIJxxEEENS0_10empty_typeEEEZNS1_10merge_implIS3_NS0_12zip_iteratorINS5_IJN6thrust23THRUST_200600_302600_NS6detail15normal_iteratorINSC_10device_ptrIKxEEEESI_EEEEESK_NSA_INS5_IJNSE_INSF_IxEEEESM_EEEEEPS7_SP_SP_NSC_11hip_rocprim7__merge17predicate_wrapperIxxNSC_7greaterIxEEEEEE10hipError_tPvRmT0_T1_T2_T3_T4_T5_mmT6_P12ihipStream_tbEUlT_E_NS1_11comp_targetILNS1_3genE8ELNS1_11target_archE1030ELNS1_3gpuE2ELNS1_3repE0EEENS1_30default_config_static_selectorELNS0_4arch9wavefront6targetE0EEEvS10_: ; @_ZN7rocprim17ROCPRIM_400000_NS6detail17trampoline_kernelINS0_14default_configENS1_21merge_config_selectorINS0_5tupleIJxxEEENS0_10empty_typeEEEZNS1_10merge_implIS3_NS0_12zip_iteratorINS5_IJN6thrust23THRUST_200600_302600_NS6detail15normal_iteratorINSC_10device_ptrIKxEEEESI_EEEEESK_NSA_INS5_IJNSE_INSF_IxEEEESM_EEEEEPS7_SP_SP_NSC_11hip_rocprim7__merge17predicate_wrapperIxxNSC_7greaterIxEEEEEE10hipError_tPvRmT0_T1_T2_T3_T4_T5_mmT6_P12ihipStream_tbEUlT_E_NS1_11comp_targetILNS1_3genE8ELNS1_11target_archE1030ELNS1_3gpuE2ELNS1_3repE0EEENS1_30default_config_static_selectorELNS0_4arch9wavefront6targetE0EEEvS10_
; %bb.0:
	.section	.rodata,"a",@progbits
	.p2align	6, 0x0
	.amdhsa_kernel _ZN7rocprim17ROCPRIM_400000_NS6detail17trampoline_kernelINS0_14default_configENS1_21merge_config_selectorINS0_5tupleIJxxEEENS0_10empty_typeEEEZNS1_10merge_implIS3_NS0_12zip_iteratorINS5_IJN6thrust23THRUST_200600_302600_NS6detail15normal_iteratorINSC_10device_ptrIKxEEEESI_EEEEESK_NSA_INS5_IJNSE_INSF_IxEEEESM_EEEEEPS7_SP_SP_NSC_11hip_rocprim7__merge17predicate_wrapperIxxNSC_7greaterIxEEEEEE10hipError_tPvRmT0_T1_T2_T3_T4_T5_mmT6_P12ihipStream_tbEUlT_E_NS1_11comp_targetILNS1_3genE8ELNS1_11target_archE1030ELNS1_3gpuE2ELNS1_3repE0EEENS1_30default_config_static_selectorELNS0_4arch9wavefront6targetE0EEEvS10_
		.amdhsa_group_segment_fixed_size 0
		.amdhsa_private_segment_fixed_size 0
		.amdhsa_kernarg_size 64
		.amdhsa_user_sgpr_count 2
		.amdhsa_user_sgpr_dispatch_ptr 0
		.amdhsa_user_sgpr_queue_ptr 0
		.amdhsa_user_sgpr_kernarg_segment_ptr 1
		.amdhsa_user_sgpr_dispatch_id 0
		.amdhsa_user_sgpr_kernarg_preload_length 0
		.amdhsa_user_sgpr_kernarg_preload_offset 0
		.amdhsa_user_sgpr_private_segment_size 0
		.amdhsa_wavefront_size32 1
		.amdhsa_uses_dynamic_stack 0
		.amdhsa_enable_private_segment 0
		.amdhsa_system_sgpr_workgroup_id_x 1
		.amdhsa_system_sgpr_workgroup_id_y 0
		.amdhsa_system_sgpr_workgroup_id_z 0
		.amdhsa_system_sgpr_workgroup_info 0
		.amdhsa_system_vgpr_workitem_id 0
		.amdhsa_next_free_vgpr 1
		.amdhsa_next_free_sgpr 1
		.amdhsa_named_barrier_count 0
		.amdhsa_reserve_vcc 0
		.amdhsa_float_round_mode_32 0
		.amdhsa_float_round_mode_16_64 0
		.amdhsa_float_denorm_mode_32 3
		.amdhsa_float_denorm_mode_16_64 3
		.amdhsa_fp16_overflow 0
		.amdhsa_memory_ordered 1
		.amdhsa_forward_progress 1
		.amdhsa_inst_pref_size 0
		.amdhsa_round_robin_scheduling 0
		.amdhsa_exception_fp_ieee_invalid_op 0
		.amdhsa_exception_fp_denorm_src 0
		.amdhsa_exception_fp_ieee_div_zero 0
		.amdhsa_exception_fp_ieee_overflow 0
		.amdhsa_exception_fp_ieee_underflow 0
		.amdhsa_exception_fp_ieee_inexact 0
		.amdhsa_exception_int_div_zero 0
	.end_amdhsa_kernel
	.section	.text._ZN7rocprim17ROCPRIM_400000_NS6detail17trampoline_kernelINS0_14default_configENS1_21merge_config_selectorINS0_5tupleIJxxEEENS0_10empty_typeEEEZNS1_10merge_implIS3_NS0_12zip_iteratorINS5_IJN6thrust23THRUST_200600_302600_NS6detail15normal_iteratorINSC_10device_ptrIKxEEEESI_EEEEESK_NSA_INS5_IJNSE_INSF_IxEEEESM_EEEEEPS7_SP_SP_NSC_11hip_rocprim7__merge17predicate_wrapperIxxNSC_7greaterIxEEEEEE10hipError_tPvRmT0_T1_T2_T3_T4_T5_mmT6_P12ihipStream_tbEUlT_E_NS1_11comp_targetILNS1_3genE8ELNS1_11target_archE1030ELNS1_3gpuE2ELNS1_3repE0EEENS1_30default_config_static_selectorELNS0_4arch9wavefront6targetE0EEEvS10_,"axG",@progbits,_ZN7rocprim17ROCPRIM_400000_NS6detail17trampoline_kernelINS0_14default_configENS1_21merge_config_selectorINS0_5tupleIJxxEEENS0_10empty_typeEEEZNS1_10merge_implIS3_NS0_12zip_iteratorINS5_IJN6thrust23THRUST_200600_302600_NS6detail15normal_iteratorINSC_10device_ptrIKxEEEESI_EEEEESK_NSA_INS5_IJNSE_INSF_IxEEEESM_EEEEEPS7_SP_SP_NSC_11hip_rocprim7__merge17predicate_wrapperIxxNSC_7greaterIxEEEEEE10hipError_tPvRmT0_T1_T2_T3_T4_T5_mmT6_P12ihipStream_tbEUlT_E_NS1_11comp_targetILNS1_3genE8ELNS1_11target_archE1030ELNS1_3gpuE2ELNS1_3repE0EEENS1_30default_config_static_selectorELNS0_4arch9wavefront6targetE0EEEvS10_,comdat
.Lfunc_end415:
	.size	_ZN7rocprim17ROCPRIM_400000_NS6detail17trampoline_kernelINS0_14default_configENS1_21merge_config_selectorINS0_5tupleIJxxEEENS0_10empty_typeEEEZNS1_10merge_implIS3_NS0_12zip_iteratorINS5_IJN6thrust23THRUST_200600_302600_NS6detail15normal_iteratorINSC_10device_ptrIKxEEEESI_EEEEESK_NSA_INS5_IJNSE_INSF_IxEEEESM_EEEEEPS7_SP_SP_NSC_11hip_rocprim7__merge17predicate_wrapperIxxNSC_7greaterIxEEEEEE10hipError_tPvRmT0_T1_T2_T3_T4_T5_mmT6_P12ihipStream_tbEUlT_E_NS1_11comp_targetILNS1_3genE8ELNS1_11target_archE1030ELNS1_3gpuE2ELNS1_3repE0EEENS1_30default_config_static_selectorELNS0_4arch9wavefront6targetE0EEEvS10_, .Lfunc_end415-_ZN7rocprim17ROCPRIM_400000_NS6detail17trampoline_kernelINS0_14default_configENS1_21merge_config_selectorINS0_5tupleIJxxEEENS0_10empty_typeEEEZNS1_10merge_implIS3_NS0_12zip_iteratorINS5_IJN6thrust23THRUST_200600_302600_NS6detail15normal_iteratorINSC_10device_ptrIKxEEEESI_EEEEESK_NSA_INS5_IJNSE_INSF_IxEEEESM_EEEEEPS7_SP_SP_NSC_11hip_rocprim7__merge17predicate_wrapperIxxNSC_7greaterIxEEEEEE10hipError_tPvRmT0_T1_T2_T3_T4_T5_mmT6_P12ihipStream_tbEUlT_E_NS1_11comp_targetILNS1_3genE8ELNS1_11target_archE1030ELNS1_3gpuE2ELNS1_3repE0EEENS1_30default_config_static_selectorELNS0_4arch9wavefront6targetE0EEEvS10_
                                        ; -- End function
	.set _ZN7rocprim17ROCPRIM_400000_NS6detail17trampoline_kernelINS0_14default_configENS1_21merge_config_selectorINS0_5tupleIJxxEEENS0_10empty_typeEEEZNS1_10merge_implIS3_NS0_12zip_iteratorINS5_IJN6thrust23THRUST_200600_302600_NS6detail15normal_iteratorINSC_10device_ptrIKxEEEESI_EEEEESK_NSA_INS5_IJNSE_INSF_IxEEEESM_EEEEEPS7_SP_SP_NSC_11hip_rocprim7__merge17predicate_wrapperIxxNSC_7greaterIxEEEEEE10hipError_tPvRmT0_T1_T2_T3_T4_T5_mmT6_P12ihipStream_tbEUlT_E_NS1_11comp_targetILNS1_3genE8ELNS1_11target_archE1030ELNS1_3gpuE2ELNS1_3repE0EEENS1_30default_config_static_selectorELNS0_4arch9wavefront6targetE0EEEvS10_.num_vgpr, 0
	.set _ZN7rocprim17ROCPRIM_400000_NS6detail17trampoline_kernelINS0_14default_configENS1_21merge_config_selectorINS0_5tupleIJxxEEENS0_10empty_typeEEEZNS1_10merge_implIS3_NS0_12zip_iteratorINS5_IJN6thrust23THRUST_200600_302600_NS6detail15normal_iteratorINSC_10device_ptrIKxEEEESI_EEEEESK_NSA_INS5_IJNSE_INSF_IxEEEESM_EEEEEPS7_SP_SP_NSC_11hip_rocprim7__merge17predicate_wrapperIxxNSC_7greaterIxEEEEEE10hipError_tPvRmT0_T1_T2_T3_T4_T5_mmT6_P12ihipStream_tbEUlT_E_NS1_11comp_targetILNS1_3genE8ELNS1_11target_archE1030ELNS1_3gpuE2ELNS1_3repE0EEENS1_30default_config_static_selectorELNS0_4arch9wavefront6targetE0EEEvS10_.num_agpr, 0
	.set _ZN7rocprim17ROCPRIM_400000_NS6detail17trampoline_kernelINS0_14default_configENS1_21merge_config_selectorINS0_5tupleIJxxEEENS0_10empty_typeEEEZNS1_10merge_implIS3_NS0_12zip_iteratorINS5_IJN6thrust23THRUST_200600_302600_NS6detail15normal_iteratorINSC_10device_ptrIKxEEEESI_EEEEESK_NSA_INS5_IJNSE_INSF_IxEEEESM_EEEEEPS7_SP_SP_NSC_11hip_rocprim7__merge17predicate_wrapperIxxNSC_7greaterIxEEEEEE10hipError_tPvRmT0_T1_T2_T3_T4_T5_mmT6_P12ihipStream_tbEUlT_E_NS1_11comp_targetILNS1_3genE8ELNS1_11target_archE1030ELNS1_3gpuE2ELNS1_3repE0EEENS1_30default_config_static_selectorELNS0_4arch9wavefront6targetE0EEEvS10_.numbered_sgpr, 0
	.set _ZN7rocprim17ROCPRIM_400000_NS6detail17trampoline_kernelINS0_14default_configENS1_21merge_config_selectorINS0_5tupleIJxxEEENS0_10empty_typeEEEZNS1_10merge_implIS3_NS0_12zip_iteratorINS5_IJN6thrust23THRUST_200600_302600_NS6detail15normal_iteratorINSC_10device_ptrIKxEEEESI_EEEEESK_NSA_INS5_IJNSE_INSF_IxEEEESM_EEEEEPS7_SP_SP_NSC_11hip_rocprim7__merge17predicate_wrapperIxxNSC_7greaterIxEEEEEE10hipError_tPvRmT0_T1_T2_T3_T4_T5_mmT6_P12ihipStream_tbEUlT_E_NS1_11comp_targetILNS1_3genE8ELNS1_11target_archE1030ELNS1_3gpuE2ELNS1_3repE0EEENS1_30default_config_static_selectorELNS0_4arch9wavefront6targetE0EEEvS10_.num_named_barrier, 0
	.set _ZN7rocprim17ROCPRIM_400000_NS6detail17trampoline_kernelINS0_14default_configENS1_21merge_config_selectorINS0_5tupleIJxxEEENS0_10empty_typeEEEZNS1_10merge_implIS3_NS0_12zip_iteratorINS5_IJN6thrust23THRUST_200600_302600_NS6detail15normal_iteratorINSC_10device_ptrIKxEEEESI_EEEEESK_NSA_INS5_IJNSE_INSF_IxEEEESM_EEEEEPS7_SP_SP_NSC_11hip_rocprim7__merge17predicate_wrapperIxxNSC_7greaterIxEEEEEE10hipError_tPvRmT0_T1_T2_T3_T4_T5_mmT6_P12ihipStream_tbEUlT_E_NS1_11comp_targetILNS1_3genE8ELNS1_11target_archE1030ELNS1_3gpuE2ELNS1_3repE0EEENS1_30default_config_static_selectorELNS0_4arch9wavefront6targetE0EEEvS10_.private_seg_size, 0
	.set _ZN7rocprim17ROCPRIM_400000_NS6detail17trampoline_kernelINS0_14default_configENS1_21merge_config_selectorINS0_5tupleIJxxEEENS0_10empty_typeEEEZNS1_10merge_implIS3_NS0_12zip_iteratorINS5_IJN6thrust23THRUST_200600_302600_NS6detail15normal_iteratorINSC_10device_ptrIKxEEEESI_EEEEESK_NSA_INS5_IJNSE_INSF_IxEEEESM_EEEEEPS7_SP_SP_NSC_11hip_rocprim7__merge17predicate_wrapperIxxNSC_7greaterIxEEEEEE10hipError_tPvRmT0_T1_T2_T3_T4_T5_mmT6_P12ihipStream_tbEUlT_E_NS1_11comp_targetILNS1_3genE8ELNS1_11target_archE1030ELNS1_3gpuE2ELNS1_3repE0EEENS1_30default_config_static_selectorELNS0_4arch9wavefront6targetE0EEEvS10_.uses_vcc, 0
	.set _ZN7rocprim17ROCPRIM_400000_NS6detail17trampoline_kernelINS0_14default_configENS1_21merge_config_selectorINS0_5tupleIJxxEEENS0_10empty_typeEEEZNS1_10merge_implIS3_NS0_12zip_iteratorINS5_IJN6thrust23THRUST_200600_302600_NS6detail15normal_iteratorINSC_10device_ptrIKxEEEESI_EEEEESK_NSA_INS5_IJNSE_INSF_IxEEEESM_EEEEEPS7_SP_SP_NSC_11hip_rocprim7__merge17predicate_wrapperIxxNSC_7greaterIxEEEEEE10hipError_tPvRmT0_T1_T2_T3_T4_T5_mmT6_P12ihipStream_tbEUlT_E_NS1_11comp_targetILNS1_3genE8ELNS1_11target_archE1030ELNS1_3gpuE2ELNS1_3repE0EEENS1_30default_config_static_selectorELNS0_4arch9wavefront6targetE0EEEvS10_.uses_flat_scratch, 0
	.set _ZN7rocprim17ROCPRIM_400000_NS6detail17trampoline_kernelINS0_14default_configENS1_21merge_config_selectorINS0_5tupleIJxxEEENS0_10empty_typeEEEZNS1_10merge_implIS3_NS0_12zip_iteratorINS5_IJN6thrust23THRUST_200600_302600_NS6detail15normal_iteratorINSC_10device_ptrIKxEEEESI_EEEEESK_NSA_INS5_IJNSE_INSF_IxEEEESM_EEEEEPS7_SP_SP_NSC_11hip_rocprim7__merge17predicate_wrapperIxxNSC_7greaterIxEEEEEE10hipError_tPvRmT0_T1_T2_T3_T4_T5_mmT6_P12ihipStream_tbEUlT_E_NS1_11comp_targetILNS1_3genE8ELNS1_11target_archE1030ELNS1_3gpuE2ELNS1_3repE0EEENS1_30default_config_static_selectorELNS0_4arch9wavefront6targetE0EEEvS10_.has_dyn_sized_stack, 0
	.set _ZN7rocprim17ROCPRIM_400000_NS6detail17trampoline_kernelINS0_14default_configENS1_21merge_config_selectorINS0_5tupleIJxxEEENS0_10empty_typeEEEZNS1_10merge_implIS3_NS0_12zip_iteratorINS5_IJN6thrust23THRUST_200600_302600_NS6detail15normal_iteratorINSC_10device_ptrIKxEEEESI_EEEEESK_NSA_INS5_IJNSE_INSF_IxEEEESM_EEEEEPS7_SP_SP_NSC_11hip_rocprim7__merge17predicate_wrapperIxxNSC_7greaterIxEEEEEE10hipError_tPvRmT0_T1_T2_T3_T4_T5_mmT6_P12ihipStream_tbEUlT_E_NS1_11comp_targetILNS1_3genE8ELNS1_11target_archE1030ELNS1_3gpuE2ELNS1_3repE0EEENS1_30default_config_static_selectorELNS0_4arch9wavefront6targetE0EEEvS10_.has_recursion, 0
	.set _ZN7rocprim17ROCPRIM_400000_NS6detail17trampoline_kernelINS0_14default_configENS1_21merge_config_selectorINS0_5tupleIJxxEEENS0_10empty_typeEEEZNS1_10merge_implIS3_NS0_12zip_iteratorINS5_IJN6thrust23THRUST_200600_302600_NS6detail15normal_iteratorINSC_10device_ptrIKxEEEESI_EEEEESK_NSA_INS5_IJNSE_INSF_IxEEEESM_EEEEEPS7_SP_SP_NSC_11hip_rocprim7__merge17predicate_wrapperIxxNSC_7greaterIxEEEEEE10hipError_tPvRmT0_T1_T2_T3_T4_T5_mmT6_P12ihipStream_tbEUlT_E_NS1_11comp_targetILNS1_3genE8ELNS1_11target_archE1030ELNS1_3gpuE2ELNS1_3repE0EEENS1_30default_config_static_selectorELNS0_4arch9wavefront6targetE0EEEvS10_.has_indirect_call, 0
	.section	.AMDGPU.csdata,"",@progbits
; Kernel info:
; codeLenInByte = 0
; TotalNumSgprs: 0
; NumVgprs: 0
; ScratchSize: 0
; MemoryBound: 0
; FloatMode: 240
; IeeeMode: 1
; LDSByteSize: 0 bytes/workgroup (compile time only)
; SGPRBlocks: 0
; VGPRBlocks: 0
; NumSGPRsForWavesPerEU: 1
; NumVGPRsForWavesPerEU: 1
; NamedBarCnt: 0
; Occupancy: 16
; WaveLimiterHint : 0
; COMPUTE_PGM_RSRC2:SCRATCH_EN: 0
; COMPUTE_PGM_RSRC2:USER_SGPR: 2
; COMPUTE_PGM_RSRC2:TRAP_HANDLER: 0
; COMPUTE_PGM_RSRC2:TGID_X_EN: 1
; COMPUTE_PGM_RSRC2:TGID_Y_EN: 0
; COMPUTE_PGM_RSRC2:TGID_Z_EN: 0
; COMPUTE_PGM_RSRC2:TIDIG_COMP_CNT: 0
	.section	.text._ZN7rocprim17ROCPRIM_400000_NS6detail17trampoline_kernelINS0_14default_configENS1_21merge_config_selectorINS0_5tupleIJxxEEENS0_10empty_typeEEEZNS1_10merge_implIS3_NS0_12zip_iteratorINS5_IJN6thrust23THRUST_200600_302600_NS6detail15normal_iteratorINSC_10device_ptrIKxEEEESI_EEEEESK_NSA_INS5_IJNSE_INSF_IxEEEESM_EEEEEPS7_SP_SP_NSC_11hip_rocprim7__merge17predicate_wrapperIxxNSC_7greaterIxEEEEEE10hipError_tPvRmT0_T1_T2_T3_T4_T5_mmT6_P12ihipStream_tbEUlT_E0_NS1_11comp_targetILNS1_3genE0ELNS1_11target_archE4294967295ELNS1_3gpuE0ELNS1_3repE0EEENS1_30default_config_static_selectorELNS0_4arch9wavefront6targetE0EEEvS10_,"axG",@progbits,_ZN7rocprim17ROCPRIM_400000_NS6detail17trampoline_kernelINS0_14default_configENS1_21merge_config_selectorINS0_5tupleIJxxEEENS0_10empty_typeEEEZNS1_10merge_implIS3_NS0_12zip_iteratorINS5_IJN6thrust23THRUST_200600_302600_NS6detail15normal_iteratorINSC_10device_ptrIKxEEEESI_EEEEESK_NSA_INS5_IJNSE_INSF_IxEEEESM_EEEEEPS7_SP_SP_NSC_11hip_rocprim7__merge17predicate_wrapperIxxNSC_7greaterIxEEEEEE10hipError_tPvRmT0_T1_T2_T3_T4_T5_mmT6_P12ihipStream_tbEUlT_E0_NS1_11comp_targetILNS1_3genE0ELNS1_11target_archE4294967295ELNS1_3gpuE0ELNS1_3repE0EEENS1_30default_config_static_selectorELNS0_4arch9wavefront6targetE0EEEvS10_,comdat
	.protected	_ZN7rocprim17ROCPRIM_400000_NS6detail17trampoline_kernelINS0_14default_configENS1_21merge_config_selectorINS0_5tupleIJxxEEENS0_10empty_typeEEEZNS1_10merge_implIS3_NS0_12zip_iteratorINS5_IJN6thrust23THRUST_200600_302600_NS6detail15normal_iteratorINSC_10device_ptrIKxEEEESI_EEEEESK_NSA_INS5_IJNSE_INSF_IxEEEESM_EEEEEPS7_SP_SP_NSC_11hip_rocprim7__merge17predicate_wrapperIxxNSC_7greaterIxEEEEEE10hipError_tPvRmT0_T1_T2_T3_T4_T5_mmT6_P12ihipStream_tbEUlT_E0_NS1_11comp_targetILNS1_3genE0ELNS1_11target_archE4294967295ELNS1_3gpuE0ELNS1_3repE0EEENS1_30default_config_static_selectorELNS0_4arch9wavefront6targetE0EEEvS10_ ; -- Begin function _ZN7rocprim17ROCPRIM_400000_NS6detail17trampoline_kernelINS0_14default_configENS1_21merge_config_selectorINS0_5tupleIJxxEEENS0_10empty_typeEEEZNS1_10merge_implIS3_NS0_12zip_iteratorINS5_IJN6thrust23THRUST_200600_302600_NS6detail15normal_iteratorINSC_10device_ptrIKxEEEESI_EEEEESK_NSA_INS5_IJNSE_INSF_IxEEEESM_EEEEEPS7_SP_SP_NSC_11hip_rocprim7__merge17predicate_wrapperIxxNSC_7greaterIxEEEEEE10hipError_tPvRmT0_T1_T2_T3_T4_T5_mmT6_P12ihipStream_tbEUlT_E0_NS1_11comp_targetILNS1_3genE0ELNS1_11target_archE4294967295ELNS1_3gpuE0ELNS1_3repE0EEENS1_30default_config_static_selectorELNS0_4arch9wavefront6targetE0EEEvS10_
	.globl	_ZN7rocprim17ROCPRIM_400000_NS6detail17trampoline_kernelINS0_14default_configENS1_21merge_config_selectorINS0_5tupleIJxxEEENS0_10empty_typeEEEZNS1_10merge_implIS3_NS0_12zip_iteratorINS5_IJN6thrust23THRUST_200600_302600_NS6detail15normal_iteratorINSC_10device_ptrIKxEEEESI_EEEEESK_NSA_INS5_IJNSE_INSF_IxEEEESM_EEEEEPS7_SP_SP_NSC_11hip_rocprim7__merge17predicate_wrapperIxxNSC_7greaterIxEEEEEE10hipError_tPvRmT0_T1_T2_T3_T4_T5_mmT6_P12ihipStream_tbEUlT_E0_NS1_11comp_targetILNS1_3genE0ELNS1_11target_archE4294967295ELNS1_3gpuE0ELNS1_3repE0EEENS1_30default_config_static_selectorELNS0_4arch9wavefront6targetE0EEEvS10_
	.p2align	8
	.type	_ZN7rocprim17ROCPRIM_400000_NS6detail17trampoline_kernelINS0_14default_configENS1_21merge_config_selectorINS0_5tupleIJxxEEENS0_10empty_typeEEEZNS1_10merge_implIS3_NS0_12zip_iteratorINS5_IJN6thrust23THRUST_200600_302600_NS6detail15normal_iteratorINSC_10device_ptrIKxEEEESI_EEEEESK_NSA_INS5_IJNSE_INSF_IxEEEESM_EEEEEPS7_SP_SP_NSC_11hip_rocprim7__merge17predicate_wrapperIxxNSC_7greaterIxEEEEEE10hipError_tPvRmT0_T1_T2_T3_T4_T5_mmT6_P12ihipStream_tbEUlT_E0_NS1_11comp_targetILNS1_3genE0ELNS1_11target_archE4294967295ELNS1_3gpuE0ELNS1_3repE0EEENS1_30default_config_static_selectorELNS0_4arch9wavefront6targetE0EEEvS10_,@function
_ZN7rocprim17ROCPRIM_400000_NS6detail17trampoline_kernelINS0_14default_configENS1_21merge_config_selectorINS0_5tupleIJxxEEENS0_10empty_typeEEEZNS1_10merge_implIS3_NS0_12zip_iteratorINS5_IJN6thrust23THRUST_200600_302600_NS6detail15normal_iteratorINSC_10device_ptrIKxEEEESI_EEEEESK_NSA_INS5_IJNSE_INSF_IxEEEESM_EEEEEPS7_SP_SP_NSC_11hip_rocprim7__merge17predicate_wrapperIxxNSC_7greaterIxEEEEEE10hipError_tPvRmT0_T1_T2_T3_T4_T5_mmT6_P12ihipStream_tbEUlT_E0_NS1_11comp_targetILNS1_3genE0ELNS1_11target_archE4294967295ELNS1_3gpuE0ELNS1_3repE0EEENS1_30default_config_static_selectorELNS0_4arch9wavefront6targetE0EEEvS10_: ; @_ZN7rocprim17ROCPRIM_400000_NS6detail17trampoline_kernelINS0_14default_configENS1_21merge_config_selectorINS0_5tupleIJxxEEENS0_10empty_typeEEEZNS1_10merge_implIS3_NS0_12zip_iteratorINS5_IJN6thrust23THRUST_200600_302600_NS6detail15normal_iteratorINSC_10device_ptrIKxEEEESI_EEEEESK_NSA_INS5_IJNSE_INSF_IxEEEESM_EEEEEPS7_SP_SP_NSC_11hip_rocprim7__merge17predicate_wrapperIxxNSC_7greaterIxEEEEEE10hipError_tPvRmT0_T1_T2_T3_T4_T5_mmT6_P12ihipStream_tbEUlT_E0_NS1_11comp_targetILNS1_3genE0ELNS1_11target_archE4294967295ELNS1_3gpuE0ELNS1_3repE0EEENS1_30default_config_static_selectorELNS0_4arch9wavefront6targetE0EEEvS10_
; %bb.0:
	s_clause 0x1
	s_load_b128 s[12:15], s[0:1], 0x58
	s_load_b256 s[4:11], s[0:1], 0x8
	s_bfe_u32 s2, ttmp6, 0x4000c
	s_and_b32 s3, ttmp6, 15
	s_add_co_i32 s2, s2, 1
	s_wait_kmcnt 0x0
	s_getreg_b32 s13, hwreg(HW_REG_IB_STS2, 6, 4)
	s_mul_i32 s2, ttmp9, s2
	v_mov_b32_e32 v1, 0
	s_add_co_i32 s3, s3, s2
	s_cmp_eq_u32 s13, 0
	s_cselect_b32 s16, ttmp9, s3
	s_delay_alu instid0(SALU_CYCLE_1) | instskip(SKIP_1) | instid1(SALU_CYCLE_1)
	s_add_co_i32 s3, s16, 1
	s_add_co_i32 s24, s14, s12
	;; [unrolled: 1-line block ×3, first 2 shown]
	s_delay_alu instid0(SALU_CYCLE_1) | instskip(NEXT) | instid1(SALU_CYCLE_1)
	s_lshr_b32 s2, s2, 10
	s_min_u32 s17, s16, s2
	s_min_u32 s3, s3, s2
	s_clause 0x1
	s_load_b32 s2, s[4:5], s17 offset:0x0 scale_offset
	s_load_b32 s20, s[4:5], s3 offset:0x0 scale_offset
	s_load_b128 s[12:15], s[0:1], 0x28
	s_wait_xcnt 0x0
	s_mov_b32 s3, 0
	s_lshl_b32 s4, s16, 10
	s_mov_b32 s17, s3
	s_add_co_i32 s5, s4, 0x400
	s_delay_alu instid0(SALU_CYCLE_1)
	s_min_u32 s5, s24, s5
	s_wait_kmcnt 0x0
	s_sub_co_i32 s16, s4, s2
	s_lshl_b64 s[22:23], s[2:3], 3
	s_sub_co_i32 s2, s20, s2
	s_lshl_b64 s[18:19], s[16:17], 3
	s_add_co_i32 s20, s16, s20
	s_add_nc_u64 s[16:17], s[10:11], s[18:19]
	s_sub_co_i32 s10, s5, s20
	s_mov_b32 s11, s3
	s_add_nc_u64 s[12:13], s[12:13], s[18:19]
	s_add_nc_u64 s[20:21], s[10:11], s[2:3]
	s_mov_b32 s5, exec_lo
	v_cmpx_le_u32_e64 s2, v0
	s_xor_b32 s5, exec_lo, s5
	s_cbranch_execz .LBB416_4
; %bb.1:
	s_mov_b32 s11, exec_lo
	v_cmpx_gt_u64_e64 s[20:21], v[0:1]
	s_cbranch_execz .LBB416_3
; %bb.2:
	v_subrev_nc_u32_e32 v6, s2, v0
	s_clause 0x1
	global_load_b64 v[2:3], v6, s[16:17] scale_offset
	global_load_b64 v[4:5], v6, s[12:13] scale_offset
	s_wait_xcnt 0x0
	v_lshlrev_b32_e32 v6, 4, v0
	s_wait_loadcnt 0x0
	ds_store_b128 v6, v[2:5]
.LBB416_3:
	s_or_b32 exec_lo, exec_lo, s11
.LBB416_4:
	s_or_saveexec_b32 s5, s5
	v_lshlrev_b32_e32 v14, 4, v0
	s_add_nc_u64 s[18:19], s[6:7], s[22:23]
	s_add_nc_u64 s[8:9], s[8:9], s[22:23]
	s_xor_b32 exec_lo, exec_lo, s5
	s_cbranch_execz .LBB416_6
; %bb.5:
	s_clause 0x1
	global_load_b64 v[2:3], v0, s[18:19] scale_offset
	global_load_b64 v[4:5], v0, s[8:9] scale_offset
	s_wait_loadcnt 0x0
	ds_store_b128 v14, v[2:5]
.LBB416_6:
	s_or_b32 exec_lo, exec_lo, s5
	v_or_b32_e32 v12, 0x200, v0
	v_mov_b32_e32 v13, 0
	s_mov_b32 s5, exec_lo
	s_delay_alu instid0(VALU_DEP_2)
	v_cmpx_le_u32_e64 s2, v12
	s_xor_b32 s5, exec_lo, s5
	s_cbranch_execz .LBB416_10
; %bb.7:
	s_mov_b32 s6, exec_lo
	v_cmpx_gt_u64_e64 s[20:21], v[12:13]
	s_cbranch_execz .LBB416_9
; %bb.8:
	v_sub_nc_u64_e64 v[2:3], v[0:1], s[2:3]
	s_delay_alu instid0(VALU_DEP_1) | instskip(NEXT) | instid1(VALU_DEP_1)
	v_lshlrev_b64_e32 v[2:3], 3, v[2:3]
	v_add_nc_u64_e32 v[6:7], s[16:17], v[2:3]
	v_add_nc_u64_e32 v[8:9], s[12:13], v[2:3]
	global_load_b64 v[2:3], v[6:7], off offset:4096
	global_load_b64 v[4:5], v[8:9], off offset:4096
	s_wait_loadcnt 0x0
	ds_store_b128 v14, v[2:5] offset:8192
.LBB416_9:
	s_or_b32 exec_lo, exec_lo, s6
.LBB416_10:
	s_or_saveexec_b32 s3, s5
	s_load_b64 s[6:7], s[0:1], 0x38
	s_xor_b32 exec_lo, exec_lo, s3
	s_cbranch_execz .LBB416_12
; %bb.11:
	s_clause 0x1
	global_load_b64 v[2:3], v0, s[18:19] offset:4096 scale_offset
	global_load_b64 v[4:5], v0, s[8:9] offset:4096 scale_offset
	s_wait_loadcnt 0x0
	ds_store_b128 v14, v[2:5] offset:8192
.LBB416_12:
	s_or_b32 exec_lo, exec_lo, s3
	v_lshlrev_b32_e32 v1, 1, v0
	s_wait_xcnt 0x0
	s_mov_b32 s0, exec_lo
	s_wait_dscnt 0x0
	s_barrier_signal -1
	s_barrier_wait -1
	v_sub_nc_u32_e64 v13, v1, s10 clamp
	v_min_u32_e32 v2, s2, v1
	s_delay_alu instid0(VALU_DEP_1)
	v_cmpx_lt_u32_e64 v13, v2
	s_cbranch_execz .LBB416_16
; %bb.13:
	v_lshlrev_b32_e32 v3, 4, v1
	s_mov_b32 s1, 0
	s_delay_alu instid0(VALU_DEP_1)
	v_lshl_add_u32 v3, s2, 4, v3
.LBB416_14:                             ; =>This Inner Loop Header: Depth=1
	v_add_nc_u32_e32 v4, v2, v13
	s_delay_alu instid0(VALU_DEP_1) | instskip(NEXT) | instid1(VALU_DEP_1)
	v_lshrrev_b32_e32 v8, 1, v4
	v_not_b32_e32 v4, v8
	v_lshlrev_b32_e32 v5, 4, v8
	s_delay_alu instid0(VALU_DEP_2)
	v_lshl_add_u32 v6, v4, 4, v3
	ds_load_b64 v[4:5], v5
	ds_load_b64 v[6:7], v6
	s_wait_dscnt 0x0
	v_cmp_gt_i64_e32 vcc_lo, v[6:7], v[4:5]
	v_add_nc_u32_e32 v4, 1, v8
	s_delay_alu instid0(VALU_DEP_1) | instskip(NEXT) | instid1(VALU_DEP_1)
	v_dual_cndmask_b32 v13, v4, v13 :: v_dual_cndmask_b32 v2, v2, v8
	v_cmp_ge_u32_e32 vcc_lo, v13, v2
	s_or_b32 s1, vcc_lo, s1
	s_delay_alu instid0(SALU_CYCLE_1)
	s_and_not1_b32 exec_lo, exec_lo, s1
	s_cbranch_execnz .LBB416_14
; %bb.15:
	s_or_b32 exec_lo, exec_lo, s1
.LBB416_16:
	s_delay_alu instid0(SALU_CYCLE_1)
	s_or_b32 exec_lo, exec_lo, s0
	v_add_nc_u32_e32 v2, s2, v1
	s_add_co_i32 s5, s10, s2
	v_cmp_ge_u32_e32 vcc_lo, s2, v13
	v_mov_b64_e32 v[4:5], 0
	v_mov_b64_e32 v[8:9], 0
	v_sub_nc_u32_e32 v15, v2, v13
	v_mov_b64_e32 v[6:7], 0
	v_mov_b64_e32 v[2:3], 0
	s_delay_alu instid0(VALU_DEP_3) | instskip(SKIP_1) | instid1(SALU_CYCLE_1)
	v_cmp_ge_u32_e64 s0, s5, v15
	s_or_b32 s0, vcc_lo, s0
	s_and_saveexec_b32 s3, s0
	s_cbranch_execz .LBB416_22
; %bb.17:
	v_mov_b64_e32 v[10:11], 0
	v_mov_b64_e32 v[6:7], 0
	;; [unrolled: 1-line block ×3, first 2 shown]
	v_cmp_gt_u32_e32 vcc_lo, s2, v13
	s_and_saveexec_b32 s0, vcc_lo
; %bb.18:
	v_lshlrev_b32_e32 v2, 4, v13
	ds_load_b128 v[4:7], v2
; %bb.19:
	s_or_b32 exec_lo, exec_lo, s0
	v_mov_b64_e32 v[8:9], 0
	v_cmp_le_u32_e64 s0, s5, v15
	s_mov_b32 s8, exec_lo
	v_cmpx_gt_u32_e64 s5, v15
; %bb.20:
	v_lshlrev_b32_e32 v2, 4, v15
	ds_load_b128 v[8:11], v2
; %bb.21:
	s_or_b32 exec_lo, exec_lo, s8
	s_wait_dscnt 0x0
	v_cmp_le_i64_e64 s1, v[8:9], v[4:5]
	s_and_b32 s1, vcc_lo, s1
	s_delay_alu instid0(SALU_CYCLE_1) | instskip(SKIP_1) | instid1(VALU_DEP_1)
	s_or_b32 vcc_lo, s0, s1
	v_dual_mov_b32 v2, s2 :: v_dual_cndmask_b32 v3, v15, v13
	v_dual_cndmask_b32 v2, s5, v2, vcc_lo :: v_dual_add_nc_u32 v22, 1, v3
	v_cndmask_b32_e32 v3, v9, v5, vcc_lo
	s_delay_alu instid0(VALU_DEP_2) | instskip(NEXT) | instid1(VALU_DEP_1)
	v_add_min_u32_e64 v2, v2, -1, v22
	v_lshlrev_b32_e32 v2, 4, v2
	ds_load_b128 v[16:19], v2
	s_wait_dscnt 0x0
	v_dual_cndmask_b32 v2, v8, v4 :: v_dual_cndmask_b32 v21, v17, v9
	v_dual_cndmask_b32 v20, v16, v8 :: v_dual_cndmask_b32 v17, v5, v17
	v_dual_cndmask_b32 v16, v4, v16, vcc_lo :: v_dual_cndmask_b32 v8, v13, v22, vcc_lo
	v_cndmask_b32_e32 v9, v22, v15, vcc_lo
	v_dual_cndmask_b32 v5, v11, v7 :: v_dual_cndmask_b32 v4, v10, v6
	s_delay_alu instid0(VALU_DEP_3) | instskip(NEXT) | instid1(VALU_DEP_4)
	v_cmp_le_i64_e64 s0, v[20:21], v[16:17]
	v_cmp_gt_u32_e64 s1, s2, v8
	s_delay_alu instid0(VALU_DEP_4) | instskip(SKIP_3) | instid1(SALU_CYCLE_1)
	v_cmp_le_u32_e64 s2, s5, v9
	v_dual_cndmask_b32 v8, v18, v10 :: v_dual_cndmask_b32 v9, v19, v11
	v_dual_cndmask_b32 v10, v7, v19 :: v_dual_cndmask_b32 v11, v6, v18
	s_and_b32 s0, s1, s0
	s_or_b32 vcc_lo, s2, s0
	v_dual_cndmask_b32 v7, v21, v17 :: v_dual_cndmask_b32 v6, v20, v16
	s_delay_alu instid0(VALU_DEP_2)
	v_dual_cndmask_b32 v9, v9, v10 :: v_dual_cndmask_b32 v8, v8, v11
.LBB416_22:
	s_or_b32 exec_lo, exec_lo, s3
	v_and_b32_e32 v10, 0x1f0, v0
	s_mov_b32 s5, 0
	s_sub_co_i32 s8, s24, s4
	s_lshl_b64 s[2:3], s[4:5], 3
	s_cmp_gt_u32 s8, 0x3ff
	v_lshl_add_u32 v10, v1, 4, v10
	v_lshrrev_b32_e32 v1, 1, v12
	s_add_nc_u64 s[0:1], s[14:15], s[2:3]
	s_wait_kmcnt 0x0
	s_add_nc_u64 s[2:3], s[6:7], s[2:3]
	s_barrier_signal -1
	s_barrier_wait -1
	ds_store_b128 v10, v[2:5]
	ds_store_b128 v10, v[6:9] offset:16
	s_wait_dscnt 0x0
	s_cbranch_scc0 .LBB416_24
; %bb.23:
	v_and_b32_e32 v3, 0x1f0, v1
	v_lshrrev_b32_e32 v2, 1, v0
	s_barrier_signal -1
	s_barrier_wait -1
	s_delay_alu instid0(VALU_DEP_2) | instskip(NEXT) | instid1(VALU_DEP_2)
	v_add_nc_u32_e32 v3, v3, v14
	v_and_b32_e32 v2, 0xf0, v2
	s_mov_b32 s5, -1
	s_delay_alu instid0(VALU_DEP_1)
	v_add_nc_u32_e32 v2, v2, v14
	ds_load_b128 v[6:9], v2
	ds_load_b128 v[2:5], v3 offset:8192
	s_wait_dscnt 0x1
	s_clause 0x1
	global_store_b64 v0, v[6:7], s[0:1] scale_offset
	global_store_b64 v0, v[8:9], s[2:3] scale_offset
	s_cbranch_execz .LBB416_25
	s_branch .LBB416_28
.LBB416_24:
                                        ; implicit-def: $vgpr4_vgpr5
.LBB416_25:
	v_and_b32_e32 v1, 0x1f0, v1
	s_barrier_signal -1
	s_barrier_wait -1
	s_wait_storecnt_dscnt 0x0
	s_mov_b32 s4, exec_lo
	v_lshl_add_u32 v1, v0, 4, v1
	ds_load_b128 v[2:5], v1 offset:8192
	s_wait_xcnt 0x0
	v_cmpx_gt_u32_e64 s8, v0
	s_cbranch_execz .LBB416_27
; %bb.26:
	v_lshrrev_b32_e32 v1, 1, v0
	s_delay_alu instid0(VALU_DEP_1) | instskip(NEXT) | instid1(VALU_DEP_1)
	v_and_b32_e32 v1, 0xf0, v1
	v_lshl_add_u32 v1, v0, 4, v1
	ds_load_b128 v[6:9], v1
	s_wait_dscnt 0x0
	s_clause 0x1
	global_store_b64 v0, v[6:7], s[0:1] scale_offset
	global_store_b64 v0, v[8:9], s[2:3] scale_offset
.LBB416_27:
	s_wait_xcnt 0x0
	s_or_b32 exec_lo, exec_lo, s4
	v_cmp_gt_u32_e64 s5, s8, v12
.LBB416_28:
	s_wait_xcnt 0x0
	s_delay_alu instid0(VALU_DEP_1)
	s_and_saveexec_b32 s4, s5
	s_cbranch_execnz .LBB416_30
; %bb.29:
	s_endpgm
.LBB416_30:
	s_wait_dscnt 0x0
	s_clause 0x1
	global_store_b64 v0, v[2:3], s[0:1] offset:4096 scale_offset
	global_store_b64 v0, v[4:5], s[2:3] offset:4096 scale_offset
	s_endpgm
	.section	.rodata,"a",@progbits
	.p2align	6, 0x0
	.amdhsa_kernel _ZN7rocprim17ROCPRIM_400000_NS6detail17trampoline_kernelINS0_14default_configENS1_21merge_config_selectorINS0_5tupleIJxxEEENS0_10empty_typeEEEZNS1_10merge_implIS3_NS0_12zip_iteratorINS5_IJN6thrust23THRUST_200600_302600_NS6detail15normal_iteratorINSC_10device_ptrIKxEEEESI_EEEEESK_NSA_INS5_IJNSE_INSF_IxEEEESM_EEEEEPS7_SP_SP_NSC_11hip_rocprim7__merge17predicate_wrapperIxxNSC_7greaterIxEEEEEE10hipError_tPvRmT0_T1_T2_T3_T4_T5_mmT6_P12ihipStream_tbEUlT_E0_NS1_11comp_targetILNS1_3genE0ELNS1_11target_archE4294967295ELNS1_3gpuE0ELNS1_3repE0EEENS1_30default_config_static_selectorELNS0_4arch9wavefront6targetE0EEEvS10_
		.amdhsa_group_segment_fixed_size 16896
		.amdhsa_private_segment_fixed_size 0
		.amdhsa_kernarg_size 112
		.amdhsa_user_sgpr_count 2
		.amdhsa_user_sgpr_dispatch_ptr 0
		.amdhsa_user_sgpr_queue_ptr 0
		.amdhsa_user_sgpr_kernarg_segment_ptr 1
		.amdhsa_user_sgpr_dispatch_id 0
		.amdhsa_user_sgpr_kernarg_preload_length 0
		.amdhsa_user_sgpr_kernarg_preload_offset 0
		.amdhsa_user_sgpr_private_segment_size 0
		.amdhsa_wavefront_size32 1
		.amdhsa_uses_dynamic_stack 0
		.amdhsa_enable_private_segment 0
		.amdhsa_system_sgpr_workgroup_id_x 1
		.amdhsa_system_sgpr_workgroup_id_y 0
		.amdhsa_system_sgpr_workgroup_id_z 0
		.amdhsa_system_sgpr_workgroup_info 0
		.amdhsa_system_vgpr_workitem_id 0
		.amdhsa_next_free_vgpr 23
		.amdhsa_next_free_sgpr 25
		.amdhsa_named_barrier_count 0
		.amdhsa_reserve_vcc 1
		.amdhsa_float_round_mode_32 0
		.amdhsa_float_round_mode_16_64 0
		.amdhsa_float_denorm_mode_32 3
		.amdhsa_float_denorm_mode_16_64 3
		.amdhsa_fp16_overflow 0
		.amdhsa_memory_ordered 1
		.amdhsa_forward_progress 1
		.amdhsa_inst_pref_size 12
		.amdhsa_round_robin_scheduling 0
		.amdhsa_exception_fp_ieee_invalid_op 0
		.amdhsa_exception_fp_denorm_src 0
		.amdhsa_exception_fp_ieee_div_zero 0
		.amdhsa_exception_fp_ieee_overflow 0
		.amdhsa_exception_fp_ieee_underflow 0
		.amdhsa_exception_fp_ieee_inexact 0
		.amdhsa_exception_int_div_zero 0
	.end_amdhsa_kernel
	.section	.text._ZN7rocprim17ROCPRIM_400000_NS6detail17trampoline_kernelINS0_14default_configENS1_21merge_config_selectorINS0_5tupleIJxxEEENS0_10empty_typeEEEZNS1_10merge_implIS3_NS0_12zip_iteratorINS5_IJN6thrust23THRUST_200600_302600_NS6detail15normal_iteratorINSC_10device_ptrIKxEEEESI_EEEEESK_NSA_INS5_IJNSE_INSF_IxEEEESM_EEEEEPS7_SP_SP_NSC_11hip_rocprim7__merge17predicate_wrapperIxxNSC_7greaterIxEEEEEE10hipError_tPvRmT0_T1_T2_T3_T4_T5_mmT6_P12ihipStream_tbEUlT_E0_NS1_11comp_targetILNS1_3genE0ELNS1_11target_archE4294967295ELNS1_3gpuE0ELNS1_3repE0EEENS1_30default_config_static_selectorELNS0_4arch9wavefront6targetE0EEEvS10_,"axG",@progbits,_ZN7rocprim17ROCPRIM_400000_NS6detail17trampoline_kernelINS0_14default_configENS1_21merge_config_selectorINS0_5tupleIJxxEEENS0_10empty_typeEEEZNS1_10merge_implIS3_NS0_12zip_iteratorINS5_IJN6thrust23THRUST_200600_302600_NS6detail15normal_iteratorINSC_10device_ptrIKxEEEESI_EEEEESK_NSA_INS5_IJNSE_INSF_IxEEEESM_EEEEEPS7_SP_SP_NSC_11hip_rocprim7__merge17predicate_wrapperIxxNSC_7greaterIxEEEEEE10hipError_tPvRmT0_T1_T2_T3_T4_T5_mmT6_P12ihipStream_tbEUlT_E0_NS1_11comp_targetILNS1_3genE0ELNS1_11target_archE4294967295ELNS1_3gpuE0ELNS1_3repE0EEENS1_30default_config_static_selectorELNS0_4arch9wavefront6targetE0EEEvS10_,comdat
.Lfunc_end416:
	.size	_ZN7rocprim17ROCPRIM_400000_NS6detail17trampoline_kernelINS0_14default_configENS1_21merge_config_selectorINS0_5tupleIJxxEEENS0_10empty_typeEEEZNS1_10merge_implIS3_NS0_12zip_iteratorINS5_IJN6thrust23THRUST_200600_302600_NS6detail15normal_iteratorINSC_10device_ptrIKxEEEESI_EEEEESK_NSA_INS5_IJNSE_INSF_IxEEEESM_EEEEEPS7_SP_SP_NSC_11hip_rocprim7__merge17predicate_wrapperIxxNSC_7greaterIxEEEEEE10hipError_tPvRmT0_T1_T2_T3_T4_T5_mmT6_P12ihipStream_tbEUlT_E0_NS1_11comp_targetILNS1_3genE0ELNS1_11target_archE4294967295ELNS1_3gpuE0ELNS1_3repE0EEENS1_30default_config_static_selectorELNS0_4arch9wavefront6targetE0EEEvS10_, .Lfunc_end416-_ZN7rocprim17ROCPRIM_400000_NS6detail17trampoline_kernelINS0_14default_configENS1_21merge_config_selectorINS0_5tupleIJxxEEENS0_10empty_typeEEEZNS1_10merge_implIS3_NS0_12zip_iteratorINS5_IJN6thrust23THRUST_200600_302600_NS6detail15normal_iteratorINSC_10device_ptrIKxEEEESI_EEEEESK_NSA_INS5_IJNSE_INSF_IxEEEESM_EEEEEPS7_SP_SP_NSC_11hip_rocprim7__merge17predicate_wrapperIxxNSC_7greaterIxEEEEEE10hipError_tPvRmT0_T1_T2_T3_T4_T5_mmT6_P12ihipStream_tbEUlT_E0_NS1_11comp_targetILNS1_3genE0ELNS1_11target_archE4294967295ELNS1_3gpuE0ELNS1_3repE0EEENS1_30default_config_static_selectorELNS0_4arch9wavefront6targetE0EEEvS10_
                                        ; -- End function
	.set _ZN7rocprim17ROCPRIM_400000_NS6detail17trampoline_kernelINS0_14default_configENS1_21merge_config_selectorINS0_5tupleIJxxEEENS0_10empty_typeEEEZNS1_10merge_implIS3_NS0_12zip_iteratorINS5_IJN6thrust23THRUST_200600_302600_NS6detail15normal_iteratorINSC_10device_ptrIKxEEEESI_EEEEESK_NSA_INS5_IJNSE_INSF_IxEEEESM_EEEEEPS7_SP_SP_NSC_11hip_rocprim7__merge17predicate_wrapperIxxNSC_7greaterIxEEEEEE10hipError_tPvRmT0_T1_T2_T3_T4_T5_mmT6_P12ihipStream_tbEUlT_E0_NS1_11comp_targetILNS1_3genE0ELNS1_11target_archE4294967295ELNS1_3gpuE0ELNS1_3repE0EEENS1_30default_config_static_selectorELNS0_4arch9wavefront6targetE0EEEvS10_.num_vgpr, 23
	.set _ZN7rocprim17ROCPRIM_400000_NS6detail17trampoline_kernelINS0_14default_configENS1_21merge_config_selectorINS0_5tupleIJxxEEENS0_10empty_typeEEEZNS1_10merge_implIS3_NS0_12zip_iteratorINS5_IJN6thrust23THRUST_200600_302600_NS6detail15normal_iteratorINSC_10device_ptrIKxEEEESI_EEEEESK_NSA_INS5_IJNSE_INSF_IxEEEESM_EEEEEPS7_SP_SP_NSC_11hip_rocprim7__merge17predicate_wrapperIxxNSC_7greaterIxEEEEEE10hipError_tPvRmT0_T1_T2_T3_T4_T5_mmT6_P12ihipStream_tbEUlT_E0_NS1_11comp_targetILNS1_3genE0ELNS1_11target_archE4294967295ELNS1_3gpuE0ELNS1_3repE0EEENS1_30default_config_static_selectorELNS0_4arch9wavefront6targetE0EEEvS10_.num_agpr, 0
	.set _ZN7rocprim17ROCPRIM_400000_NS6detail17trampoline_kernelINS0_14default_configENS1_21merge_config_selectorINS0_5tupleIJxxEEENS0_10empty_typeEEEZNS1_10merge_implIS3_NS0_12zip_iteratorINS5_IJN6thrust23THRUST_200600_302600_NS6detail15normal_iteratorINSC_10device_ptrIKxEEEESI_EEEEESK_NSA_INS5_IJNSE_INSF_IxEEEESM_EEEEEPS7_SP_SP_NSC_11hip_rocprim7__merge17predicate_wrapperIxxNSC_7greaterIxEEEEEE10hipError_tPvRmT0_T1_T2_T3_T4_T5_mmT6_P12ihipStream_tbEUlT_E0_NS1_11comp_targetILNS1_3genE0ELNS1_11target_archE4294967295ELNS1_3gpuE0ELNS1_3repE0EEENS1_30default_config_static_selectorELNS0_4arch9wavefront6targetE0EEEvS10_.numbered_sgpr, 25
	.set _ZN7rocprim17ROCPRIM_400000_NS6detail17trampoline_kernelINS0_14default_configENS1_21merge_config_selectorINS0_5tupleIJxxEEENS0_10empty_typeEEEZNS1_10merge_implIS3_NS0_12zip_iteratorINS5_IJN6thrust23THRUST_200600_302600_NS6detail15normal_iteratorINSC_10device_ptrIKxEEEESI_EEEEESK_NSA_INS5_IJNSE_INSF_IxEEEESM_EEEEEPS7_SP_SP_NSC_11hip_rocprim7__merge17predicate_wrapperIxxNSC_7greaterIxEEEEEE10hipError_tPvRmT0_T1_T2_T3_T4_T5_mmT6_P12ihipStream_tbEUlT_E0_NS1_11comp_targetILNS1_3genE0ELNS1_11target_archE4294967295ELNS1_3gpuE0ELNS1_3repE0EEENS1_30default_config_static_selectorELNS0_4arch9wavefront6targetE0EEEvS10_.num_named_barrier, 0
	.set _ZN7rocprim17ROCPRIM_400000_NS6detail17trampoline_kernelINS0_14default_configENS1_21merge_config_selectorINS0_5tupleIJxxEEENS0_10empty_typeEEEZNS1_10merge_implIS3_NS0_12zip_iteratorINS5_IJN6thrust23THRUST_200600_302600_NS6detail15normal_iteratorINSC_10device_ptrIKxEEEESI_EEEEESK_NSA_INS5_IJNSE_INSF_IxEEEESM_EEEEEPS7_SP_SP_NSC_11hip_rocprim7__merge17predicate_wrapperIxxNSC_7greaterIxEEEEEE10hipError_tPvRmT0_T1_T2_T3_T4_T5_mmT6_P12ihipStream_tbEUlT_E0_NS1_11comp_targetILNS1_3genE0ELNS1_11target_archE4294967295ELNS1_3gpuE0ELNS1_3repE0EEENS1_30default_config_static_selectorELNS0_4arch9wavefront6targetE0EEEvS10_.private_seg_size, 0
	.set _ZN7rocprim17ROCPRIM_400000_NS6detail17trampoline_kernelINS0_14default_configENS1_21merge_config_selectorINS0_5tupleIJxxEEENS0_10empty_typeEEEZNS1_10merge_implIS3_NS0_12zip_iteratorINS5_IJN6thrust23THRUST_200600_302600_NS6detail15normal_iteratorINSC_10device_ptrIKxEEEESI_EEEEESK_NSA_INS5_IJNSE_INSF_IxEEEESM_EEEEEPS7_SP_SP_NSC_11hip_rocprim7__merge17predicate_wrapperIxxNSC_7greaterIxEEEEEE10hipError_tPvRmT0_T1_T2_T3_T4_T5_mmT6_P12ihipStream_tbEUlT_E0_NS1_11comp_targetILNS1_3genE0ELNS1_11target_archE4294967295ELNS1_3gpuE0ELNS1_3repE0EEENS1_30default_config_static_selectorELNS0_4arch9wavefront6targetE0EEEvS10_.uses_vcc, 1
	.set _ZN7rocprim17ROCPRIM_400000_NS6detail17trampoline_kernelINS0_14default_configENS1_21merge_config_selectorINS0_5tupleIJxxEEENS0_10empty_typeEEEZNS1_10merge_implIS3_NS0_12zip_iteratorINS5_IJN6thrust23THRUST_200600_302600_NS6detail15normal_iteratorINSC_10device_ptrIKxEEEESI_EEEEESK_NSA_INS5_IJNSE_INSF_IxEEEESM_EEEEEPS7_SP_SP_NSC_11hip_rocprim7__merge17predicate_wrapperIxxNSC_7greaterIxEEEEEE10hipError_tPvRmT0_T1_T2_T3_T4_T5_mmT6_P12ihipStream_tbEUlT_E0_NS1_11comp_targetILNS1_3genE0ELNS1_11target_archE4294967295ELNS1_3gpuE0ELNS1_3repE0EEENS1_30default_config_static_selectorELNS0_4arch9wavefront6targetE0EEEvS10_.uses_flat_scratch, 0
	.set _ZN7rocprim17ROCPRIM_400000_NS6detail17trampoline_kernelINS0_14default_configENS1_21merge_config_selectorINS0_5tupleIJxxEEENS0_10empty_typeEEEZNS1_10merge_implIS3_NS0_12zip_iteratorINS5_IJN6thrust23THRUST_200600_302600_NS6detail15normal_iteratorINSC_10device_ptrIKxEEEESI_EEEEESK_NSA_INS5_IJNSE_INSF_IxEEEESM_EEEEEPS7_SP_SP_NSC_11hip_rocprim7__merge17predicate_wrapperIxxNSC_7greaterIxEEEEEE10hipError_tPvRmT0_T1_T2_T3_T4_T5_mmT6_P12ihipStream_tbEUlT_E0_NS1_11comp_targetILNS1_3genE0ELNS1_11target_archE4294967295ELNS1_3gpuE0ELNS1_3repE0EEENS1_30default_config_static_selectorELNS0_4arch9wavefront6targetE0EEEvS10_.has_dyn_sized_stack, 0
	.set _ZN7rocprim17ROCPRIM_400000_NS6detail17trampoline_kernelINS0_14default_configENS1_21merge_config_selectorINS0_5tupleIJxxEEENS0_10empty_typeEEEZNS1_10merge_implIS3_NS0_12zip_iteratorINS5_IJN6thrust23THRUST_200600_302600_NS6detail15normal_iteratorINSC_10device_ptrIKxEEEESI_EEEEESK_NSA_INS5_IJNSE_INSF_IxEEEESM_EEEEEPS7_SP_SP_NSC_11hip_rocprim7__merge17predicate_wrapperIxxNSC_7greaterIxEEEEEE10hipError_tPvRmT0_T1_T2_T3_T4_T5_mmT6_P12ihipStream_tbEUlT_E0_NS1_11comp_targetILNS1_3genE0ELNS1_11target_archE4294967295ELNS1_3gpuE0ELNS1_3repE0EEENS1_30default_config_static_selectorELNS0_4arch9wavefront6targetE0EEEvS10_.has_recursion, 0
	.set _ZN7rocprim17ROCPRIM_400000_NS6detail17trampoline_kernelINS0_14default_configENS1_21merge_config_selectorINS0_5tupleIJxxEEENS0_10empty_typeEEEZNS1_10merge_implIS3_NS0_12zip_iteratorINS5_IJN6thrust23THRUST_200600_302600_NS6detail15normal_iteratorINSC_10device_ptrIKxEEEESI_EEEEESK_NSA_INS5_IJNSE_INSF_IxEEEESM_EEEEEPS7_SP_SP_NSC_11hip_rocprim7__merge17predicate_wrapperIxxNSC_7greaterIxEEEEEE10hipError_tPvRmT0_T1_T2_T3_T4_T5_mmT6_P12ihipStream_tbEUlT_E0_NS1_11comp_targetILNS1_3genE0ELNS1_11target_archE4294967295ELNS1_3gpuE0ELNS1_3repE0EEENS1_30default_config_static_selectorELNS0_4arch9wavefront6targetE0EEEvS10_.has_indirect_call, 0
	.section	.AMDGPU.csdata,"",@progbits
; Kernel info:
; codeLenInByte = 1428
; TotalNumSgprs: 27
; NumVgprs: 23
; ScratchSize: 0
; MemoryBound: 0
; FloatMode: 240
; IeeeMode: 1
; LDSByteSize: 16896 bytes/workgroup (compile time only)
; SGPRBlocks: 0
; VGPRBlocks: 1
; NumSGPRsForWavesPerEU: 27
; NumVGPRsForWavesPerEU: 23
; NamedBarCnt: 0
; Occupancy: 16
; WaveLimiterHint : 1
; COMPUTE_PGM_RSRC2:SCRATCH_EN: 0
; COMPUTE_PGM_RSRC2:USER_SGPR: 2
; COMPUTE_PGM_RSRC2:TRAP_HANDLER: 0
; COMPUTE_PGM_RSRC2:TGID_X_EN: 1
; COMPUTE_PGM_RSRC2:TGID_Y_EN: 0
; COMPUTE_PGM_RSRC2:TGID_Z_EN: 0
; COMPUTE_PGM_RSRC2:TIDIG_COMP_CNT: 0
	.section	.text._ZN7rocprim17ROCPRIM_400000_NS6detail17trampoline_kernelINS0_14default_configENS1_21merge_config_selectorINS0_5tupleIJxxEEENS0_10empty_typeEEEZNS1_10merge_implIS3_NS0_12zip_iteratorINS5_IJN6thrust23THRUST_200600_302600_NS6detail15normal_iteratorINSC_10device_ptrIKxEEEESI_EEEEESK_NSA_INS5_IJNSE_INSF_IxEEEESM_EEEEEPS7_SP_SP_NSC_11hip_rocprim7__merge17predicate_wrapperIxxNSC_7greaterIxEEEEEE10hipError_tPvRmT0_T1_T2_T3_T4_T5_mmT6_P12ihipStream_tbEUlT_E0_NS1_11comp_targetILNS1_3genE5ELNS1_11target_archE942ELNS1_3gpuE9ELNS1_3repE0EEENS1_30default_config_static_selectorELNS0_4arch9wavefront6targetE0EEEvS10_,"axG",@progbits,_ZN7rocprim17ROCPRIM_400000_NS6detail17trampoline_kernelINS0_14default_configENS1_21merge_config_selectorINS0_5tupleIJxxEEENS0_10empty_typeEEEZNS1_10merge_implIS3_NS0_12zip_iteratorINS5_IJN6thrust23THRUST_200600_302600_NS6detail15normal_iteratorINSC_10device_ptrIKxEEEESI_EEEEESK_NSA_INS5_IJNSE_INSF_IxEEEESM_EEEEEPS7_SP_SP_NSC_11hip_rocprim7__merge17predicate_wrapperIxxNSC_7greaterIxEEEEEE10hipError_tPvRmT0_T1_T2_T3_T4_T5_mmT6_P12ihipStream_tbEUlT_E0_NS1_11comp_targetILNS1_3genE5ELNS1_11target_archE942ELNS1_3gpuE9ELNS1_3repE0EEENS1_30default_config_static_selectorELNS0_4arch9wavefront6targetE0EEEvS10_,comdat
	.protected	_ZN7rocprim17ROCPRIM_400000_NS6detail17trampoline_kernelINS0_14default_configENS1_21merge_config_selectorINS0_5tupleIJxxEEENS0_10empty_typeEEEZNS1_10merge_implIS3_NS0_12zip_iteratorINS5_IJN6thrust23THRUST_200600_302600_NS6detail15normal_iteratorINSC_10device_ptrIKxEEEESI_EEEEESK_NSA_INS5_IJNSE_INSF_IxEEEESM_EEEEEPS7_SP_SP_NSC_11hip_rocprim7__merge17predicate_wrapperIxxNSC_7greaterIxEEEEEE10hipError_tPvRmT0_T1_T2_T3_T4_T5_mmT6_P12ihipStream_tbEUlT_E0_NS1_11comp_targetILNS1_3genE5ELNS1_11target_archE942ELNS1_3gpuE9ELNS1_3repE0EEENS1_30default_config_static_selectorELNS0_4arch9wavefront6targetE0EEEvS10_ ; -- Begin function _ZN7rocprim17ROCPRIM_400000_NS6detail17trampoline_kernelINS0_14default_configENS1_21merge_config_selectorINS0_5tupleIJxxEEENS0_10empty_typeEEEZNS1_10merge_implIS3_NS0_12zip_iteratorINS5_IJN6thrust23THRUST_200600_302600_NS6detail15normal_iteratorINSC_10device_ptrIKxEEEESI_EEEEESK_NSA_INS5_IJNSE_INSF_IxEEEESM_EEEEEPS7_SP_SP_NSC_11hip_rocprim7__merge17predicate_wrapperIxxNSC_7greaterIxEEEEEE10hipError_tPvRmT0_T1_T2_T3_T4_T5_mmT6_P12ihipStream_tbEUlT_E0_NS1_11comp_targetILNS1_3genE5ELNS1_11target_archE942ELNS1_3gpuE9ELNS1_3repE0EEENS1_30default_config_static_selectorELNS0_4arch9wavefront6targetE0EEEvS10_
	.globl	_ZN7rocprim17ROCPRIM_400000_NS6detail17trampoline_kernelINS0_14default_configENS1_21merge_config_selectorINS0_5tupleIJxxEEENS0_10empty_typeEEEZNS1_10merge_implIS3_NS0_12zip_iteratorINS5_IJN6thrust23THRUST_200600_302600_NS6detail15normal_iteratorINSC_10device_ptrIKxEEEESI_EEEEESK_NSA_INS5_IJNSE_INSF_IxEEEESM_EEEEEPS7_SP_SP_NSC_11hip_rocprim7__merge17predicate_wrapperIxxNSC_7greaterIxEEEEEE10hipError_tPvRmT0_T1_T2_T3_T4_T5_mmT6_P12ihipStream_tbEUlT_E0_NS1_11comp_targetILNS1_3genE5ELNS1_11target_archE942ELNS1_3gpuE9ELNS1_3repE0EEENS1_30default_config_static_selectorELNS0_4arch9wavefront6targetE0EEEvS10_
	.p2align	8
	.type	_ZN7rocprim17ROCPRIM_400000_NS6detail17trampoline_kernelINS0_14default_configENS1_21merge_config_selectorINS0_5tupleIJxxEEENS0_10empty_typeEEEZNS1_10merge_implIS3_NS0_12zip_iteratorINS5_IJN6thrust23THRUST_200600_302600_NS6detail15normal_iteratorINSC_10device_ptrIKxEEEESI_EEEEESK_NSA_INS5_IJNSE_INSF_IxEEEESM_EEEEEPS7_SP_SP_NSC_11hip_rocprim7__merge17predicate_wrapperIxxNSC_7greaterIxEEEEEE10hipError_tPvRmT0_T1_T2_T3_T4_T5_mmT6_P12ihipStream_tbEUlT_E0_NS1_11comp_targetILNS1_3genE5ELNS1_11target_archE942ELNS1_3gpuE9ELNS1_3repE0EEENS1_30default_config_static_selectorELNS0_4arch9wavefront6targetE0EEEvS10_,@function
_ZN7rocprim17ROCPRIM_400000_NS6detail17trampoline_kernelINS0_14default_configENS1_21merge_config_selectorINS0_5tupleIJxxEEENS0_10empty_typeEEEZNS1_10merge_implIS3_NS0_12zip_iteratorINS5_IJN6thrust23THRUST_200600_302600_NS6detail15normal_iteratorINSC_10device_ptrIKxEEEESI_EEEEESK_NSA_INS5_IJNSE_INSF_IxEEEESM_EEEEEPS7_SP_SP_NSC_11hip_rocprim7__merge17predicate_wrapperIxxNSC_7greaterIxEEEEEE10hipError_tPvRmT0_T1_T2_T3_T4_T5_mmT6_P12ihipStream_tbEUlT_E0_NS1_11comp_targetILNS1_3genE5ELNS1_11target_archE942ELNS1_3gpuE9ELNS1_3repE0EEENS1_30default_config_static_selectorELNS0_4arch9wavefront6targetE0EEEvS10_: ; @_ZN7rocprim17ROCPRIM_400000_NS6detail17trampoline_kernelINS0_14default_configENS1_21merge_config_selectorINS0_5tupleIJxxEEENS0_10empty_typeEEEZNS1_10merge_implIS3_NS0_12zip_iteratorINS5_IJN6thrust23THRUST_200600_302600_NS6detail15normal_iteratorINSC_10device_ptrIKxEEEESI_EEEEESK_NSA_INS5_IJNSE_INSF_IxEEEESM_EEEEEPS7_SP_SP_NSC_11hip_rocprim7__merge17predicate_wrapperIxxNSC_7greaterIxEEEEEE10hipError_tPvRmT0_T1_T2_T3_T4_T5_mmT6_P12ihipStream_tbEUlT_E0_NS1_11comp_targetILNS1_3genE5ELNS1_11target_archE942ELNS1_3gpuE9ELNS1_3repE0EEENS1_30default_config_static_selectorELNS0_4arch9wavefront6targetE0EEEvS10_
; %bb.0:
	.section	.rodata,"a",@progbits
	.p2align	6, 0x0
	.amdhsa_kernel _ZN7rocprim17ROCPRIM_400000_NS6detail17trampoline_kernelINS0_14default_configENS1_21merge_config_selectorINS0_5tupleIJxxEEENS0_10empty_typeEEEZNS1_10merge_implIS3_NS0_12zip_iteratorINS5_IJN6thrust23THRUST_200600_302600_NS6detail15normal_iteratorINSC_10device_ptrIKxEEEESI_EEEEESK_NSA_INS5_IJNSE_INSF_IxEEEESM_EEEEEPS7_SP_SP_NSC_11hip_rocprim7__merge17predicate_wrapperIxxNSC_7greaterIxEEEEEE10hipError_tPvRmT0_T1_T2_T3_T4_T5_mmT6_P12ihipStream_tbEUlT_E0_NS1_11comp_targetILNS1_3genE5ELNS1_11target_archE942ELNS1_3gpuE9ELNS1_3repE0EEENS1_30default_config_static_selectorELNS0_4arch9wavefront6targetE0EEEvS10_
		.amdhsa_group_segment_fixed_size 0
		.amdhsa_private_segment_fixed_size 0
		.amdhsa_kernarg_size 112
		.amdhsa_user_sgpr_count 2
		.amdhsa_user_sgpr_dispatch_ptr 0
		.amdhsa_user_sgpr_queue_ptr 0
		.amdhsa_user_sgpr_kernarg_segment_ptr 1
		.amdhsa_user_sgpr_dispatch_id 0
		.amdhsa_user_sgpr_kernarg_preload_length 0
		.amdhsa_user_sgpr_kernarg_preload_offset 0
		.amdhsa_user_sgpr_private_segment_size 0
		.amdhsa_wavefront_size32 1
		.amdhsa_uses_dynamic_stack 0
		.amdhsa_enable_private_segment 0
		.amdhsa_system_sgpr_workgroup_id_x 1
		.amdhsa_system_sgpr_workgroup_id_y 0
		.amdhsa_system_sgpr_workgroup_id_z 0
		.amdhsa_system_sgpr_workgroup_info 0
		.amdhsa_system_vgpr_workitem_id 0
		.amdhsa_next_free_vgpr 1
		.amdhsa_next_free_sgpr 1
		.amdhsa_named_barrier_count 0
		.amdhsa_reserve_vcc 0
		.amdhsa_float_round_mode_32 0
		.amdhsa_float_round_mode_16_64 0
		.amdhsa_float_denorm_mode_32 3
		.amdhsa_float_denorm_mode_16_64 3
		.amdhsa_fp16_overflow 0
		.amdhsa_memory_ordered 1
		.amdhsa_forward_progress 1
		.amdhsa_inst_pref_size 0
		.amdhsa_round_robin_scheduling 0
		.amdhsa_exception_fp_ieee_invalid_op 0
		.amdhsa_exception_fp_denorm_src 0
		.amdhsa_exception_fp_ieee_div_zero 0
		.amdhsa_exception_fp_ieee_overflow 0
		.amdhsa_exception_fp_ieee_underflow 0
		.amdhsa_exception_fp_ieee_inexact 0
		.amdhsa_exception_int_div_zero 0
	.end_amdhsa_kernel
	.section	.text._ZN7rocprim17ROCPRIM_400000_NS6detail17trampoline_kernelINS0_14default_configENS1_21merge_config_selectorINS0_5tupleIJxxEEENS0_10empty_typeEEEZNS1_10merge_implIS3_NS0_12zip_iteratorINS5_IJN6thrust23THRUST_200600_302600_NS6detail15normal_iteratorINSC_10device_ptrIKxEEEESI_EEEEESK_NSA_INS5_IJNSE_INSF_IxEEEESM_EEEEEPS7_SP_SP_NSC_11hip_rocprim7__merge17predicate_wrapperIxxNSC_7greaterIxEEEEEE10hipError_tPvRmT0_T1_T2_T3_T4_T5_mmT6_P12ihipStream_tbEUlT_E0_NS1_11comp_targetILNS1_3genE5ELNS1_11target_archE942ELNS1_3gpuE9ELNS1_3repE0EEENS1_30default_config_static_selectorELNS0_4arch9wavefront6targetE0EEEvS10_,"axG",@progbits,_ZN7rocprim17ROCPRIM_400000_NS6detail17trampoline_kernelINS0_14default_configENS1_21merge_config_selectorINS0_5tupleIJxxEEENS0_10empty_typeEEEZNS1_10merge_implIS3_NS0_12zip_iteratorINS5_IJN6thrust23THRUST_200600_302600_NS6detail15normal_iteratorINSC_10device_ptrIKxEEEESI_EEEEESK_NSA_INS5_IJNSE_INSF_IxEEEESM_EEEEEPS7_SP_SP_NSC_11hip_rocprim7__merge17predicate_wrapperIxxNSC_7greaterIxEEEEEE10hipError_tPvRmT0_T1_T2_T3_T4_T5_mmT6_P12ihipStream_tbEUlT_E0_NS1_11comp_targetILNS1_3genE5ELNS1_11target_archE942ELNS1_3gpuE9ELNS1_3repE0EEENS1_30default_config_static_selectorELNS0_4arch9wavefront6targetE0EEEvS10_,comdat
.Lfunc_end417:
	.size	_ZN7rocprim17ROCPRIM_400000_NS6detail17trampoline_kernelINS0_14default_configENS1_21merge_config_selectorINS0_5tupleIJxxEEENS0_10empty_typeEEEZNS1_10merge_implIS3_NS0_12zip_iteratorINS5_IJN6thrust23THRUST_200600_302600_NS6detail15normal_iteratorINSC_10device_ptrIKxEEEESI_EEEEESK_NSA_INS5_IJNSE_INSF_IxEEEESM_EEEEEPS7_SP_SP_NSC_11hip_rocprim7__merge17predicate_wrapperIxxNSC_7greaterIxEEEEEE10hipError_tPvRmT0_T1_T2_T3_T4_T5_mmT6_P12ihipStream_tbEUlT_E0_NS1_11comp_targetILNS1_3genE5ELNS1_11target_archE942ELNS1_3gpuE9ELNS1_3repE0EEENS1_30default_config_static_selectorELNS0_4arch9wavefront6targetE0EEEvS10_, .Lfunc_end417-_ZN7rocprim17ROCPRIM_400000_NS6detail17trampoline_kernelINS0_14default_configENS1_21merge_config_selectorINS0_5tupleIJxxEEENS0_10empty_typeEEEZNS1_10merge_implIS3_NS0_12zip_iteratorINS5_IJN6thrust23THRUST_200600_302600_NS6detail15normal_iteratorINSC_10device_ptrIKxEEEESI_EEEEESK_NSA_INS5_IJNSE_INSF_IxEEEESM_EEEEEPS7_SP_SP_NSC_11hip_rocprim7__merge17predicate_wrapperIxxNSC_7greaterIxEEEEEE10hipError_tPvRmT0_T1_T2_T3_T4_T5_mmT6_P12ihipStream_tbEUlT_E0_NS1_11comp_targetILNS1_3genE5ELNS1_11target_archE942ELNS1_3gpuE9ELNS1_3repE0EEENS1_30default_config_static_selectorELNS0_4arch9wavefront6targetE0EEEvS10_
                                        ; -- End function
	.set _ZN7rocprim17ROCPRIM_400000_NS6detail17trampoline_kernelINS0_14default_configENS1_21merge_config_selectorINS0_5tupleIJxxEEENS0_10empty_typeEEEZNS1_10merge_implIS3_NS0_12zip_iteratorINS5_IJN6thrust23THRUST_200600_302600_NS6detail15normal_iteratorINSC_10device_ptrIKxEEEESI_EEEEESK_NSA_INS5_IJNSE_INSF_IxEEEESM_EEEEEPS7_SP_SP_NSC_11hip_rocprim7__merge17predicate_wrapperIxxNSC_7greaterIxEEEEEE10hipError_tPvRmT0_T1_T2_T3_T4_T5_mmT6_P12ihipStream_tbEUlT_E0_NS1_11comp_targetILNS1_3genE5ELNS1_11target_archE942ELNS1_3gpuE9ELNS1_3repE0EEENS1_30default_config_static_selectorELNS0_4arch9wavefront6targetE0EEEvS10_.num_vgpr, 0
	.set _ZN7rocprim17ROCPRIM_400000_NS6detail17trampoline_kernelINS0_14default_configENS1_21merge_config_selectorINS0_5tupleIJxxEEENS0_10empty_typeEEEZNS1_10merge_implIS3_NS0_12zip_iteratorINS5_IJN6thrust23THRUST_200600_302600_NS6detail15normal_iteratorINSC_10device_ptrIKxEEEESI_EEEEESK_NSA_INS5_IJNSE_INSF_IxEEEESM_EEEEEPS7_SP_SP_NSC_11hip_rocprim7__merge17predicate_wrapperIxxNSC_7greaterIxEEEEEE10hipError_tPvRmT0_T1_T2_T3_T4_T5_mmT6_P12ihipStream_tbEUlT_E0_NS1_11comp_targetILNS1_3genE5ELNS1_11target_archE942ELNS1_3gpuE9ELNS1_3repE0EEENS1_30default_config_static_selectorELNS0_4arch9wavefront6targetE0EEEvS10_.num_agpr, 0
	.set _ZN7rocprim17ROCPRIM_400000_NS6detail17trampoline_kernelINS0_14default_configENS1_21merge_config_selectorINS0_5tupleIJxxEEENS0_10empty_typeEEEZNS1_10merge_implIS3_NS0_12zip_iteratorINS5_IJN6thrust23THRUST_200600_302600_NS6detail15normal_iteratorINSC_10device_ptrIKxEEEESI_EEEEESK_NSA_INS5_IJNSE_INSF_IxEEEESM_EEEEEPS7_SP_SP_NSC_11hip_rocprim7__merge17predicate_wrapperIxxNSC_7greaterIxEEEEEE10hipError_tPvRmT0_T1_T2_T3_T4_T5_mmT6_P12ihipStream_tbEUlT_E0_NS1_11comp_targetILNS1_3genE5ELNS1_11target_archE942ELNS1_3gpuE9ELNS1_3repE0EEENS1_30default_config_static_selectorELNS0_4arch9wavefront6targetE0EEEvS10_.numbered_sgpr, 0
	.set _ZN7rocprim17ROCPRIM_400000_NS6detail17trampoline_kernelINS0_14default_configENS1_21merge_config_selectorINS0_5tupleIJxxEEENS0_10empty_typeEEEZNS1_10merge_implIS3_NS0_12zip_iteratorINS5_IJN6thrust23THRUST_200600_302600_NS6detail15normal_iteratorINSC_10device_ptrIKxEEEESI_EEEEESK_NSA_INS5_IJNSE_INSF_IxEEEESM_EEEEEPS7_SP_SP_NSC_11hip_rocprim7__merge17predicate_wrapperIxxNSC_7greaterIxEEEEEE10hipError_tPvRmT0_T1_T2_T3_T4_T5_mmT6_P12ihipStream_tbEUlT_E0_NS1_11comp_targetILNS1_3genE5ELNS1_11target_archE942ELNS1_3gpuE9ELNS1_3repE0EEENS1_30default_config_static_selectorELNS0_4arch9wavefront6targetE0EEEvS10_.num_named_barrier, 0
	.set _ZN7rocprim17ROCPRIM_400000_NS6detail17trampoline_kernelINS0_14default_configENS1_21merge_config_selectorINS0_5tupleIJxxEEENS0_10empty_typeEEEZNS1_10merge_implIS3_NS0_12zip_iteratorINS5_IJN6thrust23THRUST_200600_302600_NS6detail15normal_iteratorINSC_10device_ptrIKxEEEESI_EEEEESK_NSA_INS5_IJNSE_INSF_IxEEEESM_EEEEEPS7_SP_SP_NSC_11hip_rocprim7__merge17predicate_wrapperIxxNSC_7greaterIxEEEEEE10hipError_tPvRmT0_T1_T2_T3_T4_T5_mmT6_P12ihipStream_tbEUlT_E0_NS1_11comp_targetILNS1_3genE5ELNS1_11target_archE942ELNS1_3gpuE9ELNS1_3repE0EEENS1_30default_config_static_selectorELNS0_4arch9wavefront6targetE0EEEvS10_.private_seg_size, 0
	.set _ZN7rocprim17ROCPRIM_400000_NS6detail17trampoline_kernelINS0_14default_configENS1_21merge_config_selectorINS0_5tupleIJxxEEENS0_10empty_typeEEEZNS1_10merge_implIS3_NS0_12zip_iteratorINS5_IJN6thrust23THRUST_200600_302600_NS6detail15normal_iteratorINSC_10device_ptrIKxEEEESI_EEEEESK_NSA_INS5_IJNSE_INSF_IxEEEESM_EEEEEPS7_SP_SP_NSC_11hip_rocprim7__merge17predicate_wrapperIxxNSC_7greaterIxEEEEEE10hipError_tPvRmT0_T1_T2_T3_T4_T5_mmT6_P12ihipStream_tbEUlT_E0_NS1_11comp_targetILNS1_3genE5ELNS1_11target_archE942ELNS1_3gpuE9ELNS1_3repE0EEENS1_30default_config_static_selectorELNS0_4arch9wavefront6targetE0EEEvS10_.uses_vcc, 0
	.set _ZN7rocprim17ROCPRIM_400000_NS6detail17trampoline_kernelINS0_14default_configENS1_21merge_config_selectorINS0_5tupleIJxxEEENS0_10empty_typeEEEZNS1_10merge_implIS3_NS0_12zip_iteratorINS5_IJN6thrust23THRUST_200600_302600_NS6detail15normal_iteratorINSC_10device_ptrIKxEEEESI_EEEEESK_NSA_INS5_IJNSE_INSF_IxEEEESM_EEEEEPS7_SP_SP_NSC_11hip_rocprim7__merge17predicate_wrapperIxxNSC_7greaterIxEEEEEE10hipError_tPvRmT0_T1_T2_T3_T4_T5_mmT6_P12ihipStream_tbEUlT_E0_NS1_11comp_targetILNS1_3genE5ELNS1_11target_archE942ELNS1_3gpuE9ELNS1_3repE0EEENS1_30default_config_static_selectorELNS0_4arch9wavefront6targetE0EEEvS10_.uses_flat_scratch, 0
	.set _ZN7rocprim17ROCPRIM_400000_NS6detail17trampoline_kernelINS0_14default_configENS1_21merge_config_selectorINS0_5tupleIJxxEEENS0_10empty_typeEEEZNS1_10merge_implIS3_NS0_12zip_iteratorINS5_IJN6thrust23THRUST_200600_302600_NS6detail15normal_iteratorINSC_10device_ptrIKxEEEESI_EEEEESK_NSA_INS5_IJNSE_INSF_IxEEEESM_EEEEEPS7_SP_SP_NSC_11hip_rocprim7__merge17predicate_wrapperIxxNSC_7greaterIxEEEEEE10hipError_tPvRmT0_T1_T2_T3_T4_T5_mmT6_P12ihipStream_tbEUlT_E0_NS1_11comp_targetILNS1_3genE5ELNS1_11target_archE942ELNS1_3gpuE9ELNS1_3repE0EEENS1_30default_config_static_selectorELNS0_4arch9wavefront6targetE0EEEvS10_.has_dyn_sized_stack, 0
	.set _ZN7rocprim17ROCPRIM_400000_NS6detail17trampoline_kernelINS0_14default_configENS1_21merge_config_selectorINS0_5tupleIJxxEEENS0_10empty_typeEEEZNS1_10merge_implIS3_NS0_12zip_iteratorINS5_IJN6thrust23THRUST_200600_302600_NS6detail15normal_iteratorINSC_10device_ptrIKxEEEESI_EEEEESK_NSA_INS5_IJNSE_INSF_IxEEEESM_EEEEEPS7_SP_SP_NSC_11hip_rocprim7__merge17predicate_wrapperIxxNSC_7greaterIxEEEEEE10hipError_tPvRmT0_T1_T2_T3_T4_T5_mmT6_P12ihipStream_tbEUlT_E0_NS1_11comp_targetILNS1_3genE5ELNS1_11target_archE942ELNS1_3gpuE9ELNS1_3repE0EEENS1_30default_config_static_selectorELNS0_4arch9wavefront6targetE0EEEvS10_.has_recursion, 0
	.set _ZN7rocprim17ROCPRIM_400000_NS6detail17trampoline_kernelINS0_14default_configENS1_21merge_config_selectorINS0_5tupleIJxxEEENS0_10empty_typeEEEZNS1_10merge_implIS3_NS0_12zip_iteratorINS5_IJN6thrust23THRUST_200600_302600_NS6detail15normal_iteratorINSC_10device_ptrIKxEEEESI_EEEEESK_NSA_INS5_IJNSE_INSF_IxEEEESM_EEEEEPS7_SP_SP_NSC_11hip_rocprim7__merge17predicate_wrapperIxxNSC_7greaterIxEEEEEE10hipError_tPvRmT0_T1_T2_T3_T4_T5_mmT6_P12ihipStream_tbEUlT_E0_NS1_11comp_targetILNS1_3genE5ELNS1_11target_archE942ELNS1_3gpuE9ELNS1_3repE0EEENS1_30default_config_static_selectorELNS0_4arch9wavefront6targetE0EEEvS10_.has_indirect_call, 0
	.section	.AMDGPU.csdata,"",@progbits
; Kernel info:
; codeLenInByte = 0
; TotalNumSgprs: 0
; NumVgprs: 0
; ScratchSize: 0
; MemoryBound: 0
; FloatMode: 240
; IeeeMode: 1
; LDSByteSize: 0 bytes/workgroup (compile time only)
; SGPRBlocks: 0
; VGPRBlocks: 0
; NumSGPRsForWavesPerEU: 1
; NumVGPRsForWavesPerEU: 1
; NamedBarCnt: 0
; Occupancy: 16
; WaveLimiterHint : 0
; COMPUTE_PGM_RSRC2:SCRATCH_EN: 0
; COMPUTE_PGM_RSRC2:USER_SGPR: 2
; COMPUTE_PGM_RSRC2:TRAP_HANDLER: 0
; COMPUTE_PGM_RSRC2:TGID_X_EN: 1
; COMPUTE_PGM_RSRC2:TGID_Y_EN: 0
; COMPUTE_PGM_RSRC2:TGID_Z_EN: 0
; COMPUTE_PGM_RSRC2:TIDIG_COMP_CNT: 0
	.section	.text._ZN7rocprim17ROCPRIM_400000_NS6detail17trampoline_kernelINS0_14default_configENS1_21merge_config_selectorINS0_5tupleIJxxEEENS0_10empty_typeEEEZNS1_10merge_implIS3_NS0_12zip_iteratorINS5_IJN6thrust23THRUST_200600_302600_NS6detail15normal_iteratorINSC_10device_ptrIKxEEEESI_EEEEESK_NSA_INS5_IJNSE_INSF_IxEEEESM_EEEEEPS7_SP_SP_NSC_11hip_rocprim7__merge17predicate_wrapperIxxNSC_7greaterIxEEEEEE10hipError_tPvRmT0_T1_T2_T3_T4_T5_mmT6_P12ihipStream_tbEUlT_E0_NS1_11comp_targetILNS1_3genE4ELNS1_11target_archE910ELNS1_3gpuE8ELNS1_3repE0EEENS1_30default_config_static_selectorELNS0_4arch9wavefront6targetE0EEEvS10_,"axG",@progbits,_ZN7rocprim17ROCPRIM_400000_NS6detail17trampoline_kernelINS0_14default_configENS1_21merge_config_selectorINS0_5tupleIJxxEEENS0_10empty_typeEEEZNS1_10merge_implIS3_NS0_12zip_iteratorINS5_IJN6thrust23THRUST_200600_302600_NS6detail15normal_iteratorINSC_10device_ptrIKxEEEESI_EEEEESK_NSA_INS5_IJNSE_INSF_IxEEEESM_EEEEEPS7_SP_SP_NSC_11hip_rocprim7__merge17predicate_wrapperIxxNSC_7greaterIxEEEEEE10hipError_tPvRmT0_T1_T2_T3_T4_T5_mmT6_P12ihipStream_tbEUlT_E0_NS1_11comp_targetILNS1_3genE4ELNS1_11target_archE910ELNS1_3gpuE8ELNS1_3repE0EEENS1_30default_config_static_selectorELNS0_4arch9wavefront6targetE0EEEvS10_,comdat
	.protected	_ZN7rocprim17ROCPRIM_400000_NS6detail17trampoline_kernelINS0_14default_configENS1_21merge_config_selectorINS0_5tupleIJxxEEENS0_10empty_typeEEEZNS1_10merge_implIS3_NS0_12zip_iteratorINS5_IJN6thrust23THRUST_200600_302600_NS6detail15normal_iteratorINSC_10device_ptrIKxEEEESI_EEEEESK_NSA_INS5_IJNSE_INSF_IxEEEESM_EEEEEPS7_SP_SP_NSC_11hip_rocprim7__merge17predicate_wrapperIxxNSC_7greaterIxEEEEEE10hipError_tPvRmT0_T1_T2_T3_T4_T5_mmT6_P12ihipStream_tbEUlT_E0_NS1_11comp_targetILNS1_3genE4ELNS1_11target_archE910ELNS1_3gpuE8ELNS1_3repE0EEENS1_30default_config_static_selectorELNS0_4arch9wavefront6targetE0EEEvS10_ ; -- Begin function _ZN7rocprim17ROCPRIM_400000_NS6detail17trampoline_kernelINS0_14default_configENS1_21merge_config_selectorINS0_5tupleIJxxEEENS0_10empty_typeEEEZNS1_10merge_implIS3_NS0_12zip_iteratorINS5_IJN6thrust23THRUST_200600_302600_NS6detail15normal_iteratorINSC_10device_ptrIKxEEEESI_EEEEESK_NSA_INS5_IJNSE_INSF_IxEEEESM_EEEEEPS7_SP_SP_NSC_11hip_rocprim7__merge17predicate_wrapperIxxNSC_7greaterIxEEEEEE10hipError_tPvRmT0_T1_T2_T3_T4_T5_mmT6_P12ihipStream_tbEUlT_E0_NS1_11comp_targetILNS1_3genE4ELNS1_11target_archE910ELNS1_3gpuE8ELNS1_3repE0EEENS1_30default_config_static_selectorELNS0_4arch9wavefront6targetE0EEEvS10_
	.globl	_ZN7rocprim17ROCPRIM_400000_NS6detail17trampoline_kernelINS0_14default_configENS1_21merge_config_selectorINS0_5tupleIJxxEEENS0_10empty_typeEEEZNS1_10merge_implIS3_NS0_12zip_iteratorINS5_IJN6thrust23THRUST_200600_302600_NS6detail15normal_iteratorINSC_10device_ptrIKxEEEESI_EEEEESK_NSA_INS5_IJNSE_INSF_IxEEEESM_EEEEEPS7_SP_SP_NSC_11hip_rocprim7__merge17predicate_wrapperIxxNSC_7greaterIxEEEEEE10hipError_tPvRmT0_T1_T2_T3_T4_T5_mmT6_P12ihipStream_tbEUlT_E0_NS1_11comp_targetILNS1_3genE4ELNS1_11target_archE910ELNS1_3gpuE8ELNS1_3repE0EEENS1_30default_config_static_selectorELNS0_4arch9wavefront6targetE0EEEvS10_
	.p2align	8
	.type	_ZN7rocprim17ROCPRIM_400000_NS6detail17trampoline_kernelINS0_14default_configENS1_21merge_config_selectorINS0_5tupleIJxxEEENS0_10empty_typeEEEZNS1_10merge_implIS3_NS0_12zip_iteratorINS5_IJN6thrust23THRUST_200600_302600_NS6detail15normal_iteratorINSC_10device_ptrIKxEEEESI_EEEEESK_NSA_INS5_IJNSE_INSF_IxEEEESM_EEEEEPS7_SP_SP_NSC_11hip_rocprim7__merge17predicate_wrapperIxxNSC_7greaterIxEEEEEE10hipError_tPvRmT0_T1_T2_T3_T4_T5_mmT6_P12ihipStream_tbEUlT_E0_NS1_11comp_targetILNS1_3genE4ELNS1_11target_archE910ELNS1_3gpuE8ELNS1_3repE0EEENS1_30default_config_static_selectorELNS0_4arch9wavefront6targetE0EEEvS10_,@function
_ZN7rocprim17ROCPRIM_400000_NS6detail17trampoline_kernelINS0_14default_configENS1_21merge_config_selectorINS0_5tupleIJxxEEENS0_10empty_typeEEEZNS1_10merge_implIS3_NS0_12zip_iteratorINS5_IJN6thrust23THRUST_200600_302600_NS6detail15normal_iteratorINSC_10device_ptrIKxEEEESI_EEEEESK_NSA_INS5_IJNSE_INSF_IxEEEESM_EEEEEPS7_SP_SP_NSC_11hip_rocprim7__merge17predicate_wrapperIxxNSC_7greaterIxEEEEEE10hipError_tPvRmT0_T1_T2_T3_T4_T5_mmT6_P12ihipStream_tbEUlT_E0_NS1_11comp_targetILNS1_3genE4ELNS1_11target_archE910ELNS1_3gpuE8ELNS1_3repE0EEENS1_30default_config_static_selectorELNS0_4arch9wavefront6targetE0EEEvS10_: ; @_ZN7rocprim17ROCPRIM_400000_NS6detail17trampoline_kernelINS0_14default_configENS1_21merge_config_selectorINS0_5tupleIJxxEEENS0_10empty_typeEEEZNS1_10merge_implIS3_NS0_12zip_iteratorINS5_IJN6thrust23THRUST_200600_302600_NS6detail15normal_iteratorINSC_10device_ptrIKxEEEESI_EEEEESK_NSA_INS5_IJNSE_INSF_IxEEEESM_EEEEEPS7_SP_SP_NSC_11hip_rocprim7__merge17predicate_wrapperIxxNSC_7greaterIxEEEEEE10hipError_tPvRmT0_T1_T2_T3_T4_T5_mmT6_P12ihipStream_tbEUlT_E0_NS1_11comp_targetILNS1_3genE4ELNS1_11target_archE910ELNS1_3gpuE8ELNS1_3repE0EEENS1_30default_config_static_selectorELNS0_4arch9wavefront6targetE0EEEvS10_
; %bb.0:
	.section	.rodata,"a",@progbits
	.p2align	6, 0x0
	.amdhsa_kernel _ZN7rocprim17ROCPRIM_400000_NS6detail17trampoline_kernelINS0_14default_configENS1_21merge_config_selectorINS0_5tupleIJxxEEENS0_10empty_typeEEEZNS1_10merge_implIS3_NS0_12zip_iteratorINS5_IJN6thrust23THRUST_200600_302600_NS6detail15normal_iteratorINSC_10device_ptrIKxEEEESI_EEEEESK_NSA_INS5_IJNSE_INSF_IxEEEESM_EEEEEPS7_SP_SP_NSC_11hip_rocprim7__merge17predicate_wrapperIxxNSC_7greaterIxEEEEEE10hipError_tPvRmT0_T1_T2_T3_T4_T5_mmT6_P12ihipStream_tbEUlT_E0_NS1_11comp_targetILNS1_3genE4ELNS1_11target_archE910ELNS1_3gpuE8ELNS1_3repE0EEENS1_30default_config_static_selectorELNS0_4arch9wavefront6targetE0EEEvS10_
		.amdhsa_group_segment_fixed_size 0
		.amdhsa_private_segment_fixed_size 0
		.amdhsa_kernarg_size 112
		.amdhsa_user_sgpr_count 2
		.amdhsa_user_sgpr_dispatch_ptr 0
		.amdhsa_user_sgpr_queue_ptr 0
		.amdhsa_user_sgpr_kernarg_segment_ptr 1
		.amdhsa_user_sgpr_dispatch_id 0
		.amdhsa_user_sgpr_kernarg_preload_length 0
		.amdhsa_user_sgpr_kernarg_preload_offset 0
		.amdhsa_user_sgpr_private_segment_size 0
		.amdhsa_wavefront_size32 1
		.amdhsa_uses_dynamic_stack 0
		.amdhsa_enable_private_segment 0
		.amdhsa_system_sgpr_workgroup_id_x 1
		.amdhsa_system_sgpr_workgroup_id_y 0
		.amdhsa_system_sgpr_workgroup_id_z 0
		.amdhsa_system_sgpr_workgroup_info 0
		.amdhsa_system_vgpr_workitem_id 0
		.amdhsa_next_free_vgpr 1
		.amdhsa_next_free_sgpr 1
		.amdhsa_named_barrier_count 0
		.amdhsa_reserve_vcc 0
		.amdhsa_float_round_mode_32 0
		.amdhsa_float_round_mode_16_64 0
		.amdhsa_float_denorm_mode_32 3
		.amdhsa_float_denorm_mode_16_64 3
		.amdhsa_fp16_overflow 0
		.amdhsa_memory_ordered 1
		.amdhsa_forward_progress 1
		.amdhsa_inst_pref_size 0
		.amdhsa_round_robin_scheduling 0
		.amdhsa_exception_fp_ieee_invalid_op 0
		.amdhsa_exception_fp_denorm_src 0
		.amdhsa_exception_fp_ieee_div_zero 0
		.amdhsa_exception_fp_ieee_overflow 0
		.amdhsa_exception_fp_ieee_underflow 0
		.amdhsa_exception_fp_ieee_inexact 0
		.amdhsa_exception_int_div_zero 0
	.end_amdhsa_kernel
	.section	.text._ZN7rocprim17ROCPRIM_400000_NS6detail17trampoline_kernelINS0_14default_configENS1_21merge_config_selectorINS0_5tupleIJxxEEENS0_10empty_typeEEEZNS1_10merge_implIS3_NS0_12zip_iteratorINS5_IJN6thrust23THRUST_200600_302600_NS6detail15normal_iteratorINSC_10device_ptrIKxEEEESI_EEEEESK_NSA_INS5_IJNSE_INSF_IxEEEESM_EEEEEPS7_SP_SP_NSC_11hip_rocprim7__merge17predicate_wrapperIxxNSC_7greaterIxEEEEEE10hipError_tPvRmT0_T1_T2_T3_T4_T5_mmT6_P12ihipStream_tbEUlT_E0_NS1_11comp_targetILNS1_3genE4ELNS1_11target_archE910ELNS1_3gpuE8ELNS1_3repE0EEENS1_30default_config_static_selectorELNS0_4arch9wavefront6targetE0EEEvS10_,"axG",@progbits,_ZN7rocprim17ROCPRIM_400000_NS6detail17trampoline_kernelINS0_14default_configENS1_21merge_config_selectorINS0_5tupleIJxxEEENS0_10empty_typeEEEZNS1_10merge_implIS3_NS0_12zip_iteratorINS5_IJN6thrust23THRUST_200600_302600_NS6detail15normal_iteratorINSC_10device_ptrIKxEEEESI_EEEEESK_NSA_INS5_IJNSE_INSF_IxEEEESM_EEEEEPS7_SP_SP_NSC_11hip_rocprim7__merge17predicate_wrapperIxxNSC_7greaterIxEEEEEE10hipError_tPvRmT0_T1_T2_T3_T4_T5_mmT6_P12ihipStream_tbEUlT_E0_NS1_11comp_targetILNS1_3genE4ELNS1_11target_archE910ELNS1_3gpuE8ELNS1_3repE0EEENS1_30default_config_static_selectorELNS0_4arch9wavefront6targetE0EEEvS10_,comdat
.Lfunc_end418:
	.size	_ZN7rocprim17ROCPRIM_400000_NS6detail17trampoline_kernelINS0_14default_configENS1_21merge_config_selectorINS0_5tupleIJxxEEENS0_10empty_typeEEEZNS1_10merge_implIS3_NS0_12zip_iteratorINS5_IJN6thrust23THRUST_200600_302600_NS6detail15normal_iteratorINSC_10device_ptrIKxEEEESI_EEEEESK_NSA_INS5_IJNSE_INSF_IxEEEESM_EEEEEPS7_SP_SP_NSC_11hip_rocprim7__merge17predicate_wrapperIxxNSC_7greaterIxEEEEEE10hipError_tPvRmT0_T1_T2_T3_T4_T5_mmT6_P12ihipStream_tbEUlT_E0_NS1_11comp_targetILNS1_3genE4ELNS1_11target_archE910ELNS1_3gpuE8ELNS1_3repE0EEENS1_30default_config_static_selectorELNS0_4arch9wavefront6targetE0EEEvS10_, .Lfunc_end418-_ZN7rocprim17ROCPRIM_400000_NS6detail17trampoline_kernelINS0_14default_configENS1_21merge_config_selectorINS0_5tupleIJxxEEENS0_10empty_typeEEEZNS1_10merge_implIS3_NS0_12zip_iteratorINS5_IJN6thrust23THRUST_200600_302600_NS6detail15normal_iteratorINSC_10device_ptrIKxEEEESI_EEEEESK_NSA_INS5_IJNSE_INSF_IxEEEESM_EEEEEPS7_SP_SP_NSC_11hip_rocprim7__merge17predicate_wrapperIxxNSC_7greaterIxEEEEEE10hipError_tPvRmT0_T1_T2_T3_T4_T5_mmT6_P12ihipStream_tbEUlT_E0_NS1_11comp_targetILNS1_3genE4ELNS1_11target_archE910ELNS1_3gpuE8ELNS1_3repE0EEENS1_30default_config_static_selectorELNS0_4arch9wavefront6targetE0EEEvS10_
                                        ; -- End function
	.set _ZN7rocprim17ROCPRIM_400000_NS6detail17trampoline_kernelINS0_14default_configENS1_21merge_config_selectorINS0_5tupleIJxxEEENS0_10empty_typeEEEZNS1_10merge_implIS3_NS0_12zip_iteratorINS5_IJN6thrust23THRUST_200600_302600_NS6detail15normal_iteratorINSC_10device_ptrIKxEEEESI_EEEEESK_NSA_INS5_IJNSE_INSF_IxEEEESM_EEEEEPS7_SP_SP_NSC_11hip_rocprim7__merge17predicate_wrapperIxxNSC_7greaterIxEEEEEE10hipError_tPvRmT0_T1_T2_T3_T4_T5_mmT6_P12ihipStream_tbEUlT_E0_NS1_11comp_targetILNS1_3genE4ELNS1_11target_archE910ELNS1_3gpuE8ELNS1_3repE0EEENS1_30default_config_static_selectorELNS0_4arch9wavefront6targetE0EEEvS10_.num_vgpr, 0
	.set _ZN7rocprim17ROCPRIM_400000_NS6detail17trampoline_kernelINS0_14default_configENS1_21merge_config_selectorINS0_5tupleIJxxEEENS0_10empty_typeEEEZNS1_10merge_implIS3_NS0_12zip_iteratorINS5_IJN6thrust23THRUST_200600_302600_NS6detail15normal_iteratorINSC_10device_ptrIKxEEEESI_EEEEESK_NSA_INS5_IJNSE_INSF_IxEEEESM_EEEEEPS7_SP_SP_NSC_11hip_rocprim7__merge17predicate_wrapperIxxNSC_7greaterIxEEEEEE10hipError_tPvRmT0_T1_T2_T3_T4_T5_mmT6_P12ihipStream_tbEUlT_E0_NS1_11comp_targetILNS1_3genE4ELNS1_11target_archE910ELNS1_3gpuE8ELNS1_3repE0EEENS1_30default_config_static_selectorELNS0_4arch9wavefront6targetE0EEEvS10_.num_agpr, 0
	.set _ZN7rocprim17ROCPRIM_400000_NS6detail17trampoline_kernelINS0_14default_configENS1_21merge_config_selectorINS0_5tupleIJxxEEENS0_10empty_typeEEEZNS1_10merge_implIS3_NS0_12zip_iteratorINS5_IJN6thrust23THRUST_200600_302600_NS6detail15normal_iteratorINSC_10device_ptrIKxEEEESI_EEEEESK_NSA_INS5_IJNSE_INSF_IxEEEESM_EEEEEPS7_SP_SP_NSC_11hip_rocprim7__merge17predicate_wrapperIxxNSC_7greaterIxEEEEEE10hipError_tPvRmT0_T1_T2_T3_T4_T5_mmT6_P12ihipStream_tbEUlT_E0_NS1_11comp_targetILNS1_3genE4ELNS1_11target_archE910ELNS1_3gpuE8ELNS1_3repE0EEENS1_30default_config_static_selectorELNS0_4arch9wavefront6targetE0EEEvS10_.numbered_sgpr, 0
	.set _ZN7rocprim17ROCPRIM_400000_NS6detail17trampoline_kernelINS0_14default_configENS1_21merge_config_selectorINS0_5tupleIJxxEEENS0_10empty_typeEEEZNS1_10merge_implIS3_NS0_12zip_iteratorINS5_IJN6thrust23THRUST_200600_302600_NS6detail15normal_iteratorINSC_10device_ptrIKxEEEESI_EEEEESK_NSA_INS5_IJNSE_INSF_IxEEEESM_EEEEEPS7_SP_SP_NSC_11hip_rocprim7__merge17predicate_wrapperIxxNSC_7greaterIxEEEEEE10hipError_tPvRmT0_T1_T2_T3_T4_T5_mmT6_P12ihipStream_tbEUlT_E0_NS1_11comp_targetILNS1_3genE4ELNS1_11target_archE910ELNS1_3gpuE8ELNS1_3repE0EEENS1_30default_config_static_selectorELNS0_4arch9wavefront6targetE0EEEvS10_.num_named_barrier, 0
	.set _ZN7rocprim17ROCPRIM_400000_NS6detail17trampoline_kernelINS0_14default_configENS1_21merge_config_selectorINS0_5tupleIJxxEEENS0_10empty_typeEEEZNS1_10merge_implIS3_NS0_12zip_iteratorINS5_IJN6thrust23THRUST_200600_302600_NS6detail15normal_iteratorINSC_10device_ptrIKxEEEESI_EEEEESK_NSA_INS5_IJNSE_INSF_IxEEEESM_EEEEEPS7_SP_SP_NSC_11hip_rocprim7__merge17predicate_wrapperIxxNSC_7greaterIxEEEEEE10hipError_tPvRmT0_T1_T2_T3_T4_T5_mmT6_P12ihipStream_tbEUlT_E0_NS1_11comp_targetILNS1_3genE4ELNS1_11target_archE910ELNS1_3gpuE8ELNS1_3repE0EEENS1_30default_config_static_selectorELNS0_4arch9wavefront6targetE0EEEvS10_.private_seg_size, 0
	.set _ZN7rocprim17ROCPRIM_400000_NS6detail17trampoline_kernelINS0_14default_configENS1_21merge_config_selectorINS0_5tupleIJxxEEENS0_10empty_typeEEEZNS1_10merge_implIS3_NS0_12zip_iteratorINS5_IJN6thrust23THRUST_200600_302600_NS6detail15normal_iteratorINSC_10device_ptrIKxEEEESI_EEEEESK_NSA_INS5_IJNSE_INSF_IxEEEESM_EEEEEPS7_SP_SP_NSC_11hip_rocprim7__merge17predicate_wrapperIxxNSC_7greaterIxEEEEEE10hipError_tPvRmT0_T1_T2_T3_T4_T5_mmT6_P12ihipStream_tbEUlT_E0_NS1_11comp_targetILNS1_3genE4ELNS1_11target_archE910ELNS1_3gpuE8ELNS1_3repE0EEENS1_30default_config_static_selectorELNS0_4arch9wavefront6targetE0EEEvS10_.uses_vcc, 0
	.set _ZN7rocprim17ROCPRIM_400000_NS6detail17trampoline_kernelINS0_14default_configENS1_21merge_config_selectorINS0_5tupleIJxxEEENS0_10empty_typeEEEZNS1_10merge_implIS3_NS0_12zip_iteratorINS5_IJN6thrust23THRUST_200600_302600_NS6detail15normal_iteratorINSC_10device_ptrIKxEEEESI_EEEEESK_NSA_INS5_IJNSE_INSF_IxEEEESM_EEEEEPS7_SP_SP_NSC_11hip_rocprim7__merge17predicate_wrapperIxxNSC_7greaterIxEEEEEE10hipError_tPvRmT0_T1_T2_T3_T4_T5_mmT6_P12ihipStream_tbEUlT_E0_NS1_11comp_targetILNS1_3genE4ELNS1_11target_archE910ELNS1_3gpuE8ELNS1_3repE0EEENS1_30default_config_static_selectorELNS0_4arch9wavefront6targetE0EEEvS10_.uses_flat_scratch, 0
	.set _ZN7rocprim17ROCPRIM_400000_NS6detail17trampoline_kernelINS0_14default_configENS1_21merge_config_selectorINS0_5tupleIJxxEEENS0_10empty_typeEEEZNS1_10merge_implIS3_NS0_12zip_iteratorINS5_IJN6thrust23THRUST_200600_302600_NS6detail15normal_iteratorINSC_10device_ptrIKxEEEESI_EEEEESK_NSA_INS5_IJNSE_INSF_IxEEEESM_EEEEEPS7_SP_SP_NSC_11hip_rocprim7__merge17predicate_wrapperIxxNSC_7greaterIxEEEEEE10hipError_tPvRmT0_T1_T2_T3_T4_T5_mmT6_P12ihipStream_tbEUlT_E0_NS1_11comp_targetILNS1_3genE4ELNS1_11target_archE910ELNS1_3gpuE8ELNS1_3repE0EEENS1_30default_config_static_selectorELNS0_4arch9wavefront6targetE0EEEvS10_.has_dyn_sized_stack, 0
	.set _ZN7rocprim17ROCPRIM_400000_NS6detail17trampoline_kernelINS0_14default_configENS1_21merge_config_selectorINS0_5tupleIJxxEEENS0_10empty_typeEEEZNS1_10merge_implIS3_NS0_12zip_iteratorINS5_IJN6thrust23THRUST_200600_302600_NS6detail15normal_iteratorINSC_10device_ptrIKxEEEESI_EEEEESK_NSA_INS5_IJNSE_INSF_IxEEEESM_EEEEEPS7_SP_SP_NSC_11hip_rocprim7__merge17predicate_wrapperIxxNSC_7greaterIxEEEEEE10hipError_tPvRmT0_T1_T2_T3_T4_T5_mmT6_P12ihipStream_tbEUlT_E0_NS1_11comp_targetILNS1_3genE4ELNS1_11target_archE910ELNS1_3gpuE8ELNS1_3repE0EEENS1_30default_config_static_selectorELNS0_4arch9wavefront6targetE0EEEvS10_.has_recursion, 0
	.set _ZN7rocprim17ROCPRIM_400000_NS6detail17trampoline_kernelINS0_14default_configENS1_21merge_config_selectorINS0_5tupleIJxxEEENS0_10empty_typeEEEZNS1_10merge_implIS3_NS0_12zip_iteratorINS5_IJN6thrust23THRUST_200600_302600_NS6detail15normal_iteratorINSC_10device_ptrIKxEEEESI_EEEEESK_NSA_INS5_IJNSE_INSF_IxEEEESM_EEEEEPS7_SP_SP_NSC_11hip_rocprim7__merge17predicate_wrapperIxxNSC_7greaterIxEEEEEE10hipError_tPvRmT0_T1_T2_T3_T4_T5_mmT6_P12ihipStream_tbEUlT_E0_NS1_11comp_targetILNS1_3genE4ELNS1_11target_archE910ELNS1_3gpuE8ELNS1_3repE0EEENS1_30default_config_static_selectorELNS0_4arch9wavefront6targetE0EEEvS10_.has_indirect_call, 0
	.section	.AMDGPU.csdata,"",@progbits
; Kernel info:
; codeLenInByte = 0
; TotalNumSgprs: 0
; NumVgprs: 0
; ScratchSize: 0
; MemoryBound: 0
; FloatMode: 240
; IeeeMode: 1
; LDSByteSize: 0 bytes/workgroup (compile time only)
; SGPRBlocks: 0
; VGPRBlocks: 0
; NumSGPRsForWavesPerEU: 1
; NumVGPRsForWavesPerEU: 1
; NamedBarCnt: 0
; Occupancy: 16
; WaveLimiterHint : 0
; COMPUTE_PGM_RSRC2:SCRATCH_EN: 0
; COMPUTE_PGM_RSRC2:USER_SGPR: 2
; COMPUTE_PGM_RSRC2:TRAP_HANDLER: 0
; COMPUTE_PGM_RSRC2:TGID_X_EN: 1
; COMPUTE_PGM_RSRC2:TGID_Y_EN: 0
; COMPUTE_PGM_RSRC2:TGID_Z_EN: 0
; COMPUTE_PGM_RSRC2:TIDIG_COMP_CNT: 0
	.section	.text._ZN7rocprim17ROCPRIM_400000_NS6detail17trampoline_kernelINS0_14default_configENS1_21merge_config_selectorINS0_5tupleIJxxEEENS0_10empty_typeEEEZNS1_10merge_implIS3_NS0_12zip_iteratorINS5_IJN6thrust23THRUST_200600_302600_NS6detail15normal_iteratorINSC_10device_ptrIKxEEEESI_EEEEESK_NSA_INS5_IJNSE_INSF_IxEEEESM_EEEEEPS7_SP_SP_NSC_11hip_rocprim7__merge17predicate_wrapperIxxNSC_7greaterIxEEEEEE10hipError_tPvRmT0_T1_T2_T3_T4_T5_mmT6_P12ihipStream_tbEUlT_E0_NS1_11comp_targetILNS1_3genE3ELNS1_11target_archE908ELNS1_3gpuE7ELNS1_3repE0EEENS1_30default_config_static_selectorELNS0_4arch9wavefront6targetE0EEEvS10_,"axG",@progbits,_ZN7rocprim17ROCPRIM_400000_NS6detail17trampoline_kernelINS0_14default_configENS1_21merge_config_selectorINS0_5tupleIJxxEEENS0_10empty_typeEEEZNS1_10merge_implIS3_NS0_12zip_iteratorINS5_IJN6thrust23THRUST_200600_302600_NS6detail15normal_iteratorINSC_10device_ptrIKxEEEESI_EEEEESK_NSA_INS5_IJNSE_INSF_IxEEEESM_EEEEEPS7_SP_SP_NSC_11hip_rocprim7__merge17predicate_wrapperIxxNSC_7greaterIxEEEEEE10hipError_tPvRmT0_T1_T2_T3_T4_T5_mmT6_P12ihipStream_tbEUlT_E0_NS1_11comp_targetILNS1_3genE3ELNS1_11target_archE908ELNS1_3gpuE7ELNS1_3repE0EEENS1_30default_config_static_selectorELNS0_4arch9wavefront6targetE0EEEvS10_,comdat
	.protected	_ZN7rocprim17ROCPRIM_400000_NS6detail17trampoline_kernelINS0_14default_configENS1_21merge_config_selectorINS0_5tupleIJxxEEENS0_10empty_typeEEEZNS1_10merge_implIS3_NS0_12zip_iteratorINS5_IJN6thrust23THRUST_200600_302600_NS6detail15normal_iteratorINSC_10device_ptrIKxEEEESI_EEEEESK_NSA_INS5_IJNSE_INSF_IxEEEESM_EEEEEPS7_SP_SP_NSC_11hip_rocprim7__merge17predicate_wrapperIxxNSC_7greaterIxEEEEEE10hipError_tPvRmT0_T1_T2_T3_T4_T5_mmT6_P12ihipStream_tbEUlT_E0_NS1_11comp_targetILNS1_3genE3ELNS1_11target_archE908ELNS1_3gpuE7ELNS1_3repE0EEENS1_30default_config_static_selectorELNS0_4arch9wavefront6targetE0EEEvS10_ ; -- Begin function _ZN7rocprim17ROCPRIM_400000_NS6detail17trampoline_kernelINS0_14default_configENS1_21merge_config_selectorINS0_5tupleIJxxEEENS0_10empty_typeEEEZNS1_10merge_implIS3_NS0_12zip_iteratorINS5_IJN6thrust23THRUST_200600_302600_NS6detail15normal_iteratorINSC_10device_ptrIKxEEEESI_EEEEESK_NSA_INS5_IJNSE_INSF_IxEEEESM_EEEEEPS7_SP_SP_NSC_11hip_rocprim7__merge17predicate_wrapperIxxNSC_7greaterIxEEEEEE10hipError_tPvRmT0_T1_T2_T3_T4_T5_mmT6_P12ihipStream_tbEUlT_E0_NS1_11comp_targetILNS1_3genE3ELNS1_11target_archE908ELNS1_3gpuE7ELNS1_3repE0EEENS1_30default_config_static_selectorELNS0_4arch9wavefront6targetE0EEEvS10_
	.globl	_ZN7rocprim17ROCPRIM_400000_NS6detail17trampoline_kernelINS0_14default_configENS1_21merge_config_selectorINS0_5tupleIJxxEEENS0_10empty_typeEEEZNS1_10merge_implIS3_NS0_12zip_iteratorINS5_IJN6thrust23THRUST_200600_302600_NS6detail15normal_iteratorINSC_10device_ptrIKxEEEESI_EEEEESK_NSA_INS5_IJNSE_INSF_IxEEEESM_EEEEEPS7_SP_SP_NSC_11hip_rocprim7__merge17predicate_wrapperIxxNSC_7greaterIxEEEEEE10hipError_tPvRmT0_T1_T2_T3_T4_T5_mmT6_P12ihipStream_tbEUlT_E0_NS1_11comp_targetILNS1_3genE3ELNS1_11target_archE908ELNS1_3gpuE7ELNS1_3repE0EEENS1_30default_config_static_selectorELNS0_4arch9wavefront6targetE0EEEvS10_
	.p2align	8
	.type	_ZN7rocprim17ROCPRIM_400000_NS6detail17trampoline_kernelINS0_14default_configENS1_21merge_config_selectorINS0_5tupleIJxxEEENS0_10empty_typeEEEZNS1_10merge_implIS3_NS0_12zip_iteratorINS5_IJN6thrust23THRUST_200600_302600_NS6detail15normal_iteratorINSC_10device_ptrIKxEEEESI_EEEEESK_NSA_INS5_IJNSE_INSF_IxEEEESM_EEEEEPS7_SP_SP_NSC_11hip_rocprim7__merge17predicate_wrapperIxxNSC_7greaterIxEEEEEE10hipError_tPvRmT0_T1_T2_T3_T4_T5_mmT6_P12ihipStream_tbEUlT_E0_NS1_11comp_targetILNS1_3genE3ELNS1_11target_archE908ELNS1_3gpuE7ELNS1_3repE0EEENS1_30default_config_static_selectorELNS0_4arch9wavefront6targetE0EEEvS10_,@function
_ZN7rocprim17ROCPRIM_400000_NS6detail17trampoline_kernelINS0_14default_configENS1_21merge_config_selectorINS0_5tupleIJxxEEENS0_10empty_typeEEEZNS1_10merge_implIS3_NS0_12zip_iteratorINS5_IJN6thrust23THRUST_200600_302600_NS6detail15normal_iteratorINSC_10device_ptrIKxEEEESI_EEEEESK_NSA_INS5_IJNSE_INSF_IxEEEESM_EEEEEPS7_SP_SP_NSC_11hip_rocprim7__merge17predicate_wrapperIxxNSC_7greaterIxEEEEEE10hipError_tPvRmT0_T1_T2_T3_T4_T5_mmT6_P12ihipStream_tbEUlT_E0_NS1_11comp_targetILNS1_3genE3ELNS1_11target_archE908ELNS1_3gpuE7ELNS1_3repE0EEENS1_30default_config_static_selectorELNS0_4arch9wavefront6targetE0EEEvS10_: ; @_ZN7rocprim17ROCPRIM_400000_NS6detail17trampoline_kernelINS0_14default_configENS1_21merge_config_selectorINS0_5tupleIJxxEEENS0_10empty_typeEEEZNS1_10merge_implIS3_NS0_12zip_iteratorINS5_IJN6thrust23THRUST_200600_302600_NS6detail15normal_iteratorINSC_10device_ptrIKxEEEESI_EEEEESK_NSA_INS5_IJNSE_INSF_IxEEEESM_EEEEEPS7_SP_SP_NSC_11hip_rocprim7__merge17predicate_wrapperIxxNSC_7greaterIxEEEEEE10hipError_tPvRmT0_T1_T2_T3_T4_T5_mmT6_P12ihipStream_tbEUlT_E0_NS1_11comp_targetILNS1_3genE3ELNS1_11target_archE908ELNS1_3gpuE7ELNS1_3repE0EEENS1_30default_config_static_selectorELNS0_4arch9wavefront6targetE0EEEvS10_
; %bb.0:
	.section	.rodata,"a",@progbits
	.p2align	6, 0x0
	.amdhsa_kernel _ZN7rocprim17ROCPRIM_400000_NS6detail17trampoline_kernelINS0_14default_configENS1_21merge_config_selectorINS0_5tupleIJxxEEENS0_10empty_typeEEEZNS1_10merge_implIS3_NS0_12zip_iteratorINS5_IJN6thrust23THRUST_200600_302600_NS6detail15normal_iteratorINSC_10device_ptrIKxEEEESI_EEEEESK_NSA_INS5_IJNSE_INSF_IxEEEESM_EEEEEPS7_SP_SP_NSC_11hip_rocprim7__merge17predicate_wrapperIxxNSC_7greaterIxEEEEEE10hipError_tPvRmT0_T1_T2_T3_T4_T5_mmT6_P12ihipStream_tbEUlT_E0_NS1_11comp_targetILNS1_3genE3ELNS1_11target_archE908ELNS1_3gpuE7ELNS1_3repE0EEENS1_30default_config_static_selectorELNS0_4arch9wavefront6targetE0EEEvS10_
		.amdhsa_group_segment_fixed_size 0
		.amdhsa_private_segment_fixed_size 0
		.amdhsa_kernarg_size 112
		.amdhsa_user_sgpr_count 2
		.amdhsa_user_sgpr_dispatch_ptr 0
		.amdhsa_user_sgpr_queue_ptr 0
		.amdhsa_user_sgpr_kernarg_segment_ptr 1
		.amdhsa_user_sgpr_dispatch_id 0
		.amdhsa_user_sgpr_kernarg_preload_length 0
		.amdhsa_user_sgpr_kernarg_preload_offset 0
		.amdhsa_user_sgpr_private_segment_size 0
		.amdhsa_wavefront_size32 1
		.amdhsa_uses_dynamic_stack 0
		.amdhsa_enable_private_segment 0
		.amdhsa_system_sgpr_workgroup_id_x 1
		.amdhsa_system_sgpr_workgroup_id_y 0
		.amdhsa_system_sgpr_workgroup_id_z 0
		.amdhsa_system_sgpr_workgroup_info 0
		.amdhsa_system_vgpr_workitem_id 0
		.amdhsa_next_free_vgpr 1
		.amdhsa_next_free_sgpr 1
		.amdhsa_named_barrier_count 0
		.amdhsa_reserve_vcc 0
		.amdhsa_float_round_mode_32 0
		.amdhsa_float_round_mode_16_64 0
		.amdhsa_float_denorm_mode_32 3
		.amdhsa_float_denorm_mode_16_64 3
		.amdhsa_fp16_overflow 0
		.amdhsa_memory_ordered 1
		.amdhsa_forward_progress 1
		.amdhsa_inst_pref_size 0
		.amdhsa_round_robin_scheduling 0
		.amdhsa_exception_fp_ieee_invalid_op 0
		.amdhsa_exception_fp_denorm_src 0
		.amdhsa_exception_fp_ieee_div_zero 0
		.amdhsa_exception_fp_ieee_overflow 0
		.amdhsa_exception_fp_ieee_underflow 0
		.amdhsa_exception_fp_ieee_inexact 0
		.amdhsa_exception_int_div_zero 0
	.end_amdhsa_kernel
	.section	.text._ZN7rocprim17ROCPRIM_400000_NS6detail17trampoline_kernelINS0_14default_configENS1_21merge_config_selectorINS0_5tupleIJxxEEENS0_10empty_typeEEEZNS1_10merge_implIS3_NS0_12zip_iteratorINS5_IJN6thrust23THRUST_200600_302600_NS6detail15normal_iteratorINSC_10device_ptrIKxEEEESI_EEEEESK_NSA_INS5_IJNSE_INSF_IxEEEESM_EEEEEPS7_SP_SP_NSC_11hip_rocprim7__merge17predicate_wrapperIxxNSC_7greaterIxEEEEEE10hipError_tPvRmT0_T1_T2_T3_T4_T5_mmT6_P12ihipStream_tbEUlT_E0_NS1_11comp_targetILNS1_3genE3ELNS1_11target_archE908ELNS1_3gpuE7ELNS1_3repE0EEENS1_30default_config_static_selectorELNS0_4arch9wavefront6targetE0EEEvS10_,"axG",@progbits,_ZN7rocprim17ROCPRIM_400000_NS6detail17trampoline_kernelINS0_14default_configENS1_21merge_config_selectorINS0_5tupleIJxxEEENS0_10empty_typeEEEZNS1_10merge_implIS3_NS0_12zip_iteratorINS5_IJN6thrust23THRUST_200600_302600_NS6detail15normal_iteratorINSC_10device_ptrIKxEEEESI_EEEEESK_NSA_INS5_IJNSE_INSF_IxEEEESM_EEEEEPS7_SP_SP_NSC_11hip_rocprim7__merge17predicate_wrapperIxxNSC_7greaterIxEEEEEE10hipError_tPvRmT0_T1_T2_T3_T4_T5_mmT6_P12ihipStream_tbEUlT_E0_NS1_11comp_targetILNS1_3genE3ELNS1_11target_archE908ELNS1_3gpuE7ELNS1_3repE0EEENS1_30default_config_static_selectorELNS0_4arch9wavefront6targetE0EEEvS10_,comdat
.Lfunc_end419:
	.size	_ZN7rocprim17ROCPRIM_400000_NS6detail17trampoline_kernelINS0_14default_configENS1_21merge_config_selectorINS0_5tupleIJxxEEENS0_10empty_typeEEEZNS1_10merge_implIS3_NS0_12zip_iteratorINS5_IJN6thrust23THRUST_200600_302600_NS6detail15normal_iteratorINSC_10device_ptrIKxEEEESI_EEEEESK_NSA_INS5_IJNSE_INSF_IxEEEESM_EEEEEPS7_SP_SP_NSC_11hip_rocprim7__merge17predicate_wrapperIxxNSC_7greaterIxEEEEEE10hipError_tPvRmT0_T1_T2_T3_T4_T5_mmT6_P12ihipStream_tbEUlT_E0_NS1_11comp_targetILNS1_3genE3ELNS1_11target_archE908ELNS1_3gpuE7ELNS1_3repE0EEENS1_30default_config_static_selectorELNS0_4arch9wavefront6targetE0EEEvS10_, .Lfunc_end419-_ZN7rocprim17ROCPRIM_400000_NS6detail17trampoline_kernelINS0_14default_configENS1_21merge_config_selectorINS0_5tupleIJxxEEENS0_10empty_typeEEEZNS1_10merge_implIS3_NS0_12zip_iteratorINS5_IJN6thrust23THRUST_200600_302600_NS6detail15normal_iteratorINSC_10device_ptrIKxEEEESI_EEEEESK_NSA_INS5_IJNSE_INSF_IxEEEESM_EEEEEPS7_SP_SP_NSC_11hip_rocprim7__merge17predicate_wrapperIxxNSC_7greaterIxEEEEEE10hipError_tPvRmT0_T1_T2_T3_T4_T5_mmT6_P12ihipStream_tbEUlT_E0_NS1_11comp_targetILNS1_3genE3ELNS1_11target_archE908ELNS1_3gpuE7ELNS1_3repE0EEENS1_30default_config_static_selectorELNS0_4arch9wavefront6targetE0EEEvS10_
                                        ; -- End function
	.set _ZN7rocprim17ROCPRIM_400000_NS6detail17trampoline_kernelINS0_14default_configENS1_21merge_config_selectorINS0_5tupleIJxxEEENS0_10empty_typeEEEZNS1_10merge_implIS3_NS0_12zip_iteratorINS5_IJN6thrust23THRUST_200600_302600_NS6detail15normal_iteratorINSC_10device_ptrIKxEEEESI_EEEEESK_NSA_INS5_IJNSE_INSF_IxEEEESM_EEEEEPS7_SP_SP_NSC_11hip_rocprim7__merge17predicate_wrapperIxxNSC_7greaterIxEEEEEE10hipError_tPvRmT0_T1_T2_T3_T4_T5_mmT6_P12ihipStream_tbEUlT_E0_NS1_11comp_targetILNS1_3genE3ELNS1_11target_archE908ELNS1_3gpuE7ELNS1_3repE0EEENS1_30default_config_static_selectorELNS0_4arch9wavefront6targetE0EEEvS10_.num_vgpr, 0
	.set _ZN7rocprim17ROCPRIM_400000_NS6detail17trampoline_kernelINS0_14default_configENS1_21merge_config_selectorINS0_5tupleIJxxEEENS0_10empty_typeEEEZNS1_10merge_implIS3_NS0_12zip_iteratorINS5_IJN6thrust23THRUST_200600_302600_NS6detail15normal_iteratorINSC_10device_ptrIKxEEEESI_EEEEESK_NSA_INS5_IJNSE_INSF_IxEEEESM_EEEEEPS7_SP_SP_NSC_11hip_rocprim7__merge17predicate_wrapperIxxNSC_7greaterIxEEEEEE10hipError_tPvRmT0_T1_T2_T3_T4_T5_mmT6_P12ihipStream_tbEUlT_E0_NS1_11comp_targetILNS1_3genE3ELNS1_11target_archE908ELNS1_3gpuE7ELNS1_3repE0EEENS1_30default_config_static_selectorELNS0_4arch9wavefront6targetE0EEEvS10_.num_agpr, 0
	.set _ZN7rocprim17ROCPRIM_400000_NS6detail17trampoline_kernelINS0_14default_configENS1_21merge_config_selectorINS0_5tupleIJxxEEENS0_10empty_typeEEEZNS1_10merge_implIS3_NS0_12zip_iteratorINS5_IJN6thrust23THRUST_200600_302600_NS6detail15normal_iteratorINSC_10device_ptrIKxEEEESI_EEEEESK_NSA_INS5_IJNSE_INSF_IxEEEESM_EEEEEPS7_SP_SP_NSC_11hip_rocprim7__merge17predicate_wrapperIxxNSC_7greaterIxEEEEEE10hipError_tPvRmT0_T1_T2_T3_T4_T5_mmT6_P12ihipStream_tbEUlT_E0_NS1_11comp_targetILNS1_3genE3ELNS1_11target_archE908ELNS1_3gpuE7ELNS1_3repE0EEENS1_30default_config_static_selectorELNS0_4arch9wavefront6targetE0EEEvS10_.numbered_sgpr, 0
	.set _ZN7rocprim17ROCPRIM_400000_NS6detail17trampoline_kernelINS0_14default_configENS1_21merge_config_selectorINS0_5tupleIJxxEEENS0_10empty_typeEEEZNS1_10merge_implIS3_NS0_12zip_iteratorINS5_IJN6thrust23THRUST_200600_302600_NS6detail15normal_iteratorINSC_10device_ptrIKxEEEESI_EEEEESK_NSA_INS5_IJNSE_INSF_IxEEEESM_EEEEEPS7_SP_SP_NSC_11hip_rocprim7__merge17predicate_wrapperIxxNSC_7greaterIxEEEEEE10hipError_tPvRmT0_T1_T2_T3_T4_T5_mmT6_P12ihipStream_tbEUlT_E0_NS1_11comp_targetILNS1_3genE3ELNS1_11target_archE908ELNS1_3gpuE7ELNS1_3repE0EEENS1_30default_config_static_selectorELNS0_4arch9wavefront6targetE0EEEvS10_.num_named_barrier, 0
	.set _ZN7rocprim17ROCPRIM_400000_NS6detail17trampoline_kernelINS0_14default_configENS1_21merge_config_selectorINS0_5tupleIJxxEEENS0_10empty_typeEEEZNS1_10merge_implIS3_NS0_12zip_iteratorINS5_IJN6thrust23THRUST_200600_302600_NS6detail15normal_iteratorINSC_10device_ptrIKxEEEESI_EEEEESK_NSA_INS5_IJNSE_INSF_IxEEEESM_EEEEEPS7_SP_SP_NSC_11hip_rocprim7__merge17predicate_wrapperIxxNSC_7greaterIxEEEEEE10hipError_tPvRmT0_T1_T2_T3_T4_T5_mmT6_P12ihipStream_tbEUlT_E0_NS1_11comp_targetILNS1_3genE3ELNS1_11target_archE908ELNS1_3gpuE7ELNS1_3repE0EEENS1_30default_config_static_selectorELNS0_4arch9wavefront6targetE0EEEvS10_.private_seg_size, 0
	.set _ZN7rocprim17ROCPRIM_400000_NS6detail17trampoline_kernelINS0_14default_configENS1_21merge_config_selectorINS0_5tupleIJxxEEENS0_10empty_typeEEEZNS1_10merge_implIS3_NS0_12zip_iteratorINS5_IJN6thrust23THRUST_200600_302600_NS6detail15normal_iteratorINSC_10device_ptrIKxEEEESI_EEEEESK_NSA_INS5_IJNSE_INSF_IxEEEESM_EEEEEPS7_SP_SP_NSC_11hip_rocprim7__merge17predicate_wrapperIxxNSC_7greaterIxEEEEEE10hipError_tPvRmT0_T1_T2_T3_T4_T5_mmT6_P12ihipStream_tbEUlT_E0_NS1_11comp_targetILNS1_3genE3ELNS1_11target_archE908ELNS1_3gpuE7ELNS1_3repE0EEENS1_30default_config_static_selectorELNS0_4arch9wavefront6targetE0EEEvS10_.uses_vcc, 0
	.set _ZN7rocprim17ROCPRIM_400000_NS6detail17trampoline_kernelINS0_14default_configENS1_21merge_config_selectorINS0_5tupleIJxxEEENS0_10empty_typeEEEZNS1_10merge_implIS3_NS0_12zip_iteratorINS5_IJN6thrust23THRUST_200600_302600_NS6detail15normal_iteratorINSC_10device_ptrIKxEEEESI_EEEEESK_NSA_INS5_IJNSE_INSF_IxEEEESM_EEEEEPS7_SP_SP_NSC_11hip_rocprim7__merge17predicate_wrapperIxxNSC_7greaterIxEEEEEE10hipError_tPvRmT0_T1_T2_T3_T4_T5_mmT6_P12ihipStream_tbEUlT_E0_NS1_11comp_targetILNS1_3genE3ELNS1_11target_archE908ELNS1_3gpuE7ELNS1_3repE0EEENS1_30default_config_static_selectorELNS0_4arch9wavefront6targetE0EEEvS10_.uses_flat_scratch, 0
	.set _ZN7rocprim17ROCPRIM_400000_NS6detail17trampoline_kernelINS0_14default_configENS1_21merge_config_selectorINS0_5tupleIJxxEEENS0_10empty_typeEEEZNS1_10merge_implIS3_NS0_12zip_iteratorINS5_IJN6thrust23THRUST_200600_302600_NS6detail15normal_iteratorINSC_10device_ptrIKxEEEESI_EEEEESK_NSA_INS5_IJNSE_INSF_IxEEEESM_EEEEEPS7_SP_SP_NSC_11hip_rocprim7__merge17predicate_wrapperIxxNSC_7greaterIxEEEEEE10hipError_tPvRmT0_T1_T2_T3_T4_T5_mmT6_P12ihipStream_tbEUlT_E0_NS1_11comp_targetILNS1_3genE3ELNS1_11target_archE908ELNS1_3gpuE7ELNS1_3repE0EEENS1_30default_config_static_selectorELNS0_4arch9wavefront6targetE0EEEvS10_.has_dyn_sized_stack, 0
	.set _ZN7rocprim17ROCPRIM_400000_NS6detail17trampoline_kernelINS0_14default_configENS1_21merge_config_selectorINS0_5tupleIJxxEEENS0_10empty_typeEEEZNS1_10merge_implIS3_NS0_12zip_iteratorINS5_IJN6thrust23THRUST_200600_302600_NS6detail15normal_iteratorINSC_10device_ptrIKxEEEESI_EEEEESK_NSA_INS5_IJNSE_INSF_IxEEEESM_EEEEEPS7_SP_SP_NSC_11hip_rocprim7__merge17predicate_wrapperIxxNSC_7greaterIxEEEEEE10hipError_tPvRmT0_T1_T2_T3_T4_T5_mmT6_P12ihipStream_tbEUlT_E0_NS1_11comp_targetILNS1_3genE3ELNS1_11target_archE908ELNS1_3gpuE7ELNS1_3repE0EEENS1_30default_config_static_selectorELNS0_4arch9wavefront6targetE0EEEvS10_.has_recursion, 0
	.set _ZN7rocprim17ROCPRIM_400000_NS6detail17trampoline_kernelINS0_14default_configENS1_21merge_config_selectorINS0_5tupleIJxxEEENS0_10empty_typeEEEZNS1_10merge_implIS3_NS0_12zip_iteratorINS5_IJN6thrust23THRUST_200600_302600_NS6detail15normal_iteratorINSC_10device_ptrIKxEEEESI_EEEEESK_NSA_INS5_IJNSE_INSF_IxEEEESM_EEEEEPS7_SP_SP_NSC_11hip_rocprim7__merge17predicate_wrapperIxxNSC_7greaterIxEEEEEE10hipError_tPvRmT0_T1_T2_T3_T4_T5_mmT6_P12ihipStream_tbEUlT_E0_NS1_11comp_targetILNS1_3genE3ELNS1_11target_archE908ELNS1_3gpuE7ELNS1_3repE0EEENS1_30default_config_static_selectorELNS0_4arch9wavefront6targetE0EEEvS10_.has_indirect_call, 0
	.section	.AMDGPU.csdata,"",@progbits
; Kernel info:
; codeLenInByte = 0
; TotalNumSgprs: 0
; NumVgprs: 0
; ScratchSize: 0
; MemoryBound: 0
; FloatMode: 240
; IeeeMode: 1
; LDSByteSize: 0 bytes/workgroup (compile time only)
; SGPRBlocks: 0
; VGPRBlocks: 0
; NumSGPRsForWavesPerEU: 1
; NumVGPRsForWavesPerEU: 1
; NamedBarCnt: 0
; Occupancy: 16
; WaveLimiterHint : 0
; COMPUTE_PGM_RSRC2:SCRATCH_EN: 0
; COMPUTE_PGM_RSRC2:USER_SGPR: 2
; COMPUTE_PGM_RSRC2:TRAP_HANDLER: 0
; COMPUTE_PGM_RSRC2:TGID_X_EN: 1
; COMPUTE_PGM_RSRC2:TGID_Y_EN: 0
; COMPUTE_PGM_RSRC2:TGID_Z_EN: 0
; COMPUTE_PGM_RSRC2:TIDIG_COMP_CNT: 0
	.section	.text._ZN7rocprim17ROCPRIM_400000_NS6detail17trampoline_kernelINS0_14default_configENS1_21merge_config_selectorINS0_5tupleIJxxEEENS0_10empty_typeEEEZNS1_10merge_implIS3_NS0_12zip_iteratorINS5_IJN6thrust23THRUST_200600_302600_NS6detail15normal_iteratorINSC_10device_ptrIKxEEEESI_EEEEESK_NSA_INS5_IJNSE_INSF_IxEEEESM_EEEEEPS7_SP_SP_NSC_11hip_rocprim7__merge17predicate_wrapperIxxNSC_7greaterIxEEEEEE10hipError_tPvRmT0_T1_T2_T3_T4_T5_mmT6_P12ihipStream_tbEUlT_E0_NS1_11comp_targetILNS1_3genE2ELNS1_11target_archE906ELNS1_3gpuE6ELNS1_3repE0EEENS1_30default_config_static_selectorELNS0_4arch9wavefront6targetE0EEEvS10_,"axG",@progbits,_ZN7rocprim17ROCPRIM_400000_NS6detail17trampoline_kernelINS0_14default_configENS1_21merge_config_selectorINS0_5tupleIJxxEEENS0_10empty_typeEEEZNS1_10merge_implIS3_NS0_12zip_iteratorINS5_IJN6thrust23THRUST_200600_302600_NS6detail15normal_iteratorINSC_10device_ptrIKxEEEESI_EEEEESK_NSA_INS5_IJNSE_INSF_IxEEEESM_EEEEEPS7_SP_SP_NSC_11hip_rocprim7__merge17predicate_wrapperIxxNSC_7greaterIxEEEEEE10hipError_tPvRmT0_T1_T2_T3_T4_T5_mmT6_P12ihipStream_tbEUlT_E0_NS1_11comp_targetILNS1_3genE2ELNS1_11target_archE906ELNS1_3gpuE6ELNS1_3repE0EEENS1_30default_config_static_selectorELNS0_4arch9wavefront6targetE0EEEvS10_,comdat
	.protected	_ZN7rocprim17ROCPRIM_400000_NS6detail17trampoline_kernelINS0_14default_configENS1_21merge_config_selectorINS0_5tupleIJxxEEENS0_10empty_typeEEEZNS1_10merge_implIS3_NS0_12zip_iteratorINS5_IJN6thrust23THRUST_200600_302600_NS6detail15normal_iteratorINSC_10device_ptrIKxEEEESI_EEEEESK_NSA_INS5_IJNSE_INSF_IxEEEESM_EEEEEPS7_SP_SP_NSC_11hip_rocprim7__merge17predicate_wrapperIxxNSC_7greaterIxEEEEEE10hipError_tPvRmT0_T1_T2_T3_T4_T5_mmT6_P12ihipStream_tbEUlT_E0_NS1_11comp_targetILNS1_3genE2ELNS1_11target_archE906ELNS1_3gpuE6ELNS1_3repE0EEENS1_30default_config_static_selectorELNS0_4arch9wavefront6targetE0EEEvS10_ ; -- Begin function _ZN7rocprim17ROCPRIM_400000_NS6detail17trampoline_kernelINS0_14default_configENS1_21merge_config_selectorINS0_5tupleIJxxEEENS0_10empty_typeEEEZNS1_10merge_implIS3_NS0_12zip_iteratorINS5_IJN6thrust23THRUST_200600_302600_NS6detail15normal_iteratorINSC_10device_ptrIKxEEEESI_EEEEESK_NSA_INS5_IJNSE_INSF_IxEEEESM_EEEEEPS7_SP_SP_NSC_11hip_rocprim7__merge17predicate_wrapperIxxNSC_7greaterIxEEEEEE10hipError_tPvRmT0_T1_T2_T3_T4_T5_mmT6_P12ihipStream_tbEUlT_E0_NS1_11comp_targetILNS1_3genE2ELNS1_11target_archE906ELNS1_3gpuE6ELNS1_3repE0EEENS1_30default_config_static_selectorELNS0_4arch9wavefront6targetE0EEEvS10_
	.globl	_ZN7rocprim17ROCPRIM_400000_NS6detail17trampoline_kernelINS0_14default_configENS1_21merge_config_selectorINS0_5tupleIJxxEEENS0_10empty_typeEEEZNS1_10merge_implIS3_NS0_12zip_iteratorINS5_IJN6thrust23THRUST_200600_302600_NS6detail15normal_iteratorINSC_10device_ptrIKxEEEESI_EEEEESK_NSA_INS5_IJNSE_INSF_IxEEEESM_EEEEEPS7_SP_SP_NSC_11hip_rocprim7__merge17predicate_wrapperIxxNSC_7greaterIxEEEEEE10hipError_tPvRmT0_T1_T2_T3_T4_T5_mmT6_P12ihipStream_tbEUlT_E0_NS1_11comp_targetILNS1_3genE2ELNS1_11target_archE906ELNS1_3gpuE6ELNS1_3repE0EEENS1_30default_config_static_selectorELNS0_4arch9wavefront6targetE0EEEvS10_
	.p2align	8
	.type	_ZN7rocprim17ROCPRIM_400000_NS6detail17trampoline_kernelINS0_14default_configENS1_21merge_config_selectorINS0_5tupleIJxxEEENS0_10empty_typeEEEZNS1_10merge_implIS3_NS0_12zip_iteratorINS5_IJN6thrust23THRUST_200600_302600_NS6detail15normal_iteratorINSC_10device_ptrIKxEEEESI_EEEEESK_NSA_INS5_IJNSE_INSF_IxEEEESM_EEEEEPS7_SP_SP_NSC_11hip_rocprim7__merge17predicate_wrapperIxxNSC_7greaterIxEEEEEE10hipError_tPvRmT0_T1_T2_T3_T4_T5_mmT6_P12ihipStream_tbEUlT_E0_NS1_11comp_targetILNS1_3genE2ELNS1_11target_archE906ELNS1_3gpuE6ELNS1_3repE0EEENS1_30default_config_static_selectorELNS0_4arch9wavefront6targetE0EEEvS10_,@function
_ZN7rocprim17ROCPRIM_400000_NS6detail17trampoline_kernelINS0_14default_configENS1_21merge_config_selectorINS0_5tupleIJxxEEENS0_10empty_typeEEEZNS1_10merge_implIS3_NS0_12zip_iteratorINS5_IJN6thrust23THRUST_200600_302600_NS6detail15normal_iteratorINSC_10device_ptrIKxEEEESI_EEEEESK_NSA_INS5_IJNSE_INSF_IxEEEESM_EEEEEPS7_SP_SP_NSC_11hip_rocprim7__merge17predicate_wrapperIxxNSC_7greaterIxEEEEEE10hipError_tPvRmT0_T1_T2_T3_T4_T5_mmT6_P12ihipStream_tbEUlT_E0_NS1_11comp_targetILNS1_3genE2ELNS1_11target_archE906ELNS1_3gpuE6ELNS1_3repE0EEENS1_30default_config_static_selectorELNS0_4arch9wavefront6targetE0EEEvS10_: ; @_ZN7rocprim17ROCPRIM_400000_NS6detail17trampoline_kernelINS0_14default_configENS1_21merge_config_selectorINS0_5tupleIJxxEEENS0_10empty_typeEEEZNS1_10merge_implIS3_NS0_12zip_iteratorINS5_IJN6thrust23THRUST_200600_302600_NS6detail15normal_iteratorINSC_10device_ptrIKxEEEESI_EEEEESK_NSA_INS5_IJNSE_INSF_IxEEEESM_EEEEEPS7_SP_SP_NSC_11hip_rocprim7__merge17predicate_wrapperIxxNSC_7greaterIxEEEEEE10hipError_tPvRmT0_T1_T2_T3_T4_T5_mmT6_P12ihipStream_tbEUlT_E0_NS1_11comp_targetILNS1_3genE2ELNS1_11target_archE906ELNS1_3gpuE6ELNS1_3repE0EEENS1_30default_config_static_selectorELNS0_4arch9wavefront6targetE0EEEvS10_
; %bb.0:
	.section	.rodata,"a",@progbits
	.p2align	6, 0x0
	.amdhsa_kernel _ZN7rocprim17ROCPRIM_400000_NS6detail17trampoline_kernelINS0_14default_configENS1_21merge_config_selectorINS0_5tupleIJxxEEENS0_10empty_typeEEEZNS1_10merge_implIS3_NS0_12zip_iteratorINS5_IJN6thrust23THRUST_200600_302600_NS6detail15normal_iteratorINSC_10device_ptrIKxEEEESI_EEEEESK_NSA_INS5_IJNSE_INSF_IxEEEESM_EEEEEPS7_SP_SP_NSC_11hip_rocprim7__merge17predicate_wrapperIxxNSC_7greaterIxEEEEEE10hipError_tPvRmT0_T1_T2_T3_T4_T5_mmT6_P12ihipStream_tbEUlT_E0_NS1_11comp_targetILNS1_3genE2ELNS1_11target_archE906ELNS1_3gpuE6ELNS1_3repE0EEENS1_30default_config_static_selectorELNS0_4arch9wavefront6targetE0EEEvS10_
		.amdhsa_group_segment_fixed_size 0
		.amdhsa_private_segment_fixed_size 0
		.amdhsa_kernarg_size 112
		.amdhsa_user_sgpr_count 2
		.amdhsa_user_sgpr_dispatch_ptr 0
		.amdhsa_user_sgpr_queue_ptr 0
		.amdhsa_user_sgpr_kernarg_segment_ptr 1
		.amdhsa_user_sgpr_dispatch_id 0
		.amdhsa_user_sgpr_kernarg_preload_length 0
		.amdhsa_user_sgpr_kernarg_preload_offset 0
		.amdhsa_user_sgpr_private_segment_size 0
		.amdhsa_wavefront_size32 1
		.amdhsa_uses_dynamic_stack 0
		.amdhsa_enable_private_segment 0
		.amdhsa_system_sgpr_workgroup_id_x 1
		.amdhsa_system_sgpr_workgroup_id_y 0
		.amdhsa_system_sgpr_workgroup_id_z 0
		.amdhsa_system_sgpr_workgroup_info 0
		.amdhsa_system_vgpr_workitem_id 0
		.amdhsa_next_free_vgpr 1
		.amdhsa_next_free_sgpr 1
		.amdhsa_named_barrier_count 0
		.amdhsa_reserve_vcc 0
		.amdhsa_float_round_mode_32 0
		.amdhsa_float_round_mode_16_64 0
		.amdhsa_float_denorm_mode_32 3
		.amdhsa_float_denorm_mode_16_64 3
		.amdhsa_fp16_overflow 0
		.amdhsa_memory_ordered 1
		.amdhsa_forward_progress 1
		.amdhsa_inst_pref_size 0
		.amdhsa_round_robin_scheduling 0
		.amdhsa_exception_fp_ieee_invalid_op 0
		.amdhsa_exception_fp_denorm_src 0
		.amdhsa_exception_fp_ieee_div_zero 0
		.amdhsa_exception_fp_ieee_overflow 0
		.amdhsa_exception_fp_ieee_underflow 0
		.amdhsa_exception_fp_ieee_inexact 0
		.amdhsa_exception_int_div_zero 0
	.end_amdhsa_kernel
	.section	.text._ZN7rocprim17ROCPRIM_400000_NS6detail17trampoline_kernelINS0_14default_configENS1_21merge_config_selectorINS0_5tupleIJxxEEENS0_10empty_typeEEEZNS1_10merge_implIS3_NS0_12zip_iteratorINS5_IJN6thrust23THRUST_200600_302600_NS6detail15normal_iteratorINSC_10device_ptrIKxEEEESI_EEEEESK_NSA_INS5_IJNSE_INSF_IxEEEESM_EEEEEPS7_SP_SP_NSC_11hip_rocprim7__merge17predicate_wrapperIxxNSC_7greaterIxEEEEEE10hipError_tPvRmT0_T1_T2_T3_T4_T5_mmT6_P12ihipStream_tbEUlT_E0_NS1_11comp_targetILNS1_3genE2ELNS1_11target_archE906ELNS1_3gpuE6ELNS1_3repE0EEENS1_30default_config_static_selectorELNS0_4arch9wavefront6targetE0EEEvS10_,"axG",@progbits,_ZN7rocprim17ROCPRIM_400000_NS6detail17trampoline_kernelINS0_14default_configENS1_21merge_config_selectorINS0_5tupleIJxxEEENS0_10empty_typeEEEZNS1_10merge_implIS3_NS0_12zip_iteratorINS5_IJN6thrust23THRUST_200600_302600_NS6detail15normal_iteratorINSC_10device_ptrIKxEEEESI_EEEEESK_NSA_INS5_IJNSE_INSF_IxEEEESM_EEEEEPS7_SP_SP_NSC_11hip_rocprim7__merge17predicate_wrapperIxxNSC_7greaterIxEEEEEE10hipError_tPvRmT0_T1_T2_T3_T4_T5_mmT6_P12ihipStream_tbEUlT_E0_NS1_11comp_targetILNS1_3genE2ELNS1_11target_archE906ELNS1_3gpuE6ELNS1_3repE0EEENS1_30default_config_static_selectorELNS0_4arch9wavefront6targetE0EEEvS10_,comdat
.Lfunc_end420:
	.size	_ZN7rocprim17ROCPRIM_400000_NS6detail17trampoline_kernelINS0_14default_configENS1_21merge_config_selectorINS0_5tupleIJxxEEENS0_10empty_typeEEEZNS1_10merge_implIS3_NS0_12zip_iteratorINS5_IJN6thrust23THRUST_200600_302600_NS6detail15normal_iteratorINSC_10device_ptrIKxEEEESI_EEEEESK_NSA_INS5_IJNSE_INSF_IxEEEESM_EEEEEPS7_SP_SP_NSC_11hip_rocprim7__merge17predicate_wrapperIxxNSC_7greaterIxEEEEEE10hipError_tPvRmT0_T1_T2_T3_T4_T5_mmT6_P12ihipStream_tbEUlT_E0_NS1_11comp_targetILNS1_3genE2ELNS1_11target_archE906ELNS1_3gpuE6ELNS1_3repE0EEENS1_30default_config_static_selectorELNS0_4arch9wavefront6targetE0EEEvS10_, .Lfunc_end420-_ZN7rocprim17ROCPRIM_400000_NS6detail17trampoline_kernelINS0_14default_configENS1_21merge_config_selectorINS0_5tupleIJxxEEENS0_10empty_typeEEEZNS1_10merge_implIS3_NS0_12zip_iteratorINS5_IJN6thrust23THRUST_200600_302600_NS6detail15normal_iteratorINSC_10device_ptrIKxEEEESI_EEEEESK_NSA_INS5_IJNSE_INSF_IxEEEESM_EEEEEPS7_SP_SP_NSC_11hip_rocprim7__merge17predicate_wrapperIxxNSC_7greaterIxEEEEEE10hipError_tPvRmT0_T1_T2_T3_T4_T5_mmT6_P12ihipStream_tbEUlT_E0_NS1_11comp_targetILNS1_3genE2ELNS1_11target_archE906ELNS1_3gpuE6ELNS1_3repE0EEENS1_30default_config_static_selectorELNS0_4arch9wavefront6targetE0EEEvS10_
                                        ; -- End function
	.set _ZN7rocprim17ROCPRIM_400000_NS6detail17trampoline_kernelINS0_14default_configENS1_21merge_config_selectorINS0_5tupleIJxxEEENS0_10empty_typeEEEZNS1_10merge_implIS3_NS0_12zip_iteratorINS5_IJN6thrust23THRUST_200600_302600_NS6detail15normal_iteratorINSC_10device_ptrIKxEEEESI_EEEEESK_NSA_INS5_IJNSE_INSF_IxEEEESM_EEEEEPS7_SP_SP_NSC_11hip_rocprim7__merge17predicate_wrapperIxxNSC_7greaterIxEEEEEE10hipError_tPvRmT0_T1_T2_T3_T4_T5_mmT6_P12ihipStream_tbEUlT_E0_NS1_11comp_targetILNS1_3genE2ELNS1_11target_archE906ELNS1_3gpuE6ELNS1_3repE0EEENS1_30default_config_static_selectorELNS0_4arch9wavefront6targetE0EEEvS10_.num_vgpr, 0
	.set _ZN7rocprim17ROCPRIM_400000_NS6detail17trampoline_kernelINS0_14default_configENS1_21merge_config_selectorINS0_5tupleIJxxEEENS0_10empty_typeEEEZNS1_10merge_implIS3_NS0_12zip_iteratorINS5_IJN6thrust23THRUST_200600_302600_NS6detail15normal_iteratorINSC_10device_ptrIKxEEEESI_EEEEESK_NSA_INS5_IJNSE_INSF_IxEEEESM_EEEEEPS7_SP_SP_NSC_11hip_rocprim7__merge17predicate_wrapperIxxNSC_7greaterIxEEEEEE10hipError_tPvRmT0_T1_T2_T3_T4_T5_mmT6_P12ihipStream_tbEUlT_E0_NS1_11comp_targetILNS1_3genE2ELNS1_11target_archE906ELNS1_3gpuE6ELNS1_3repE0EEENS1_30default_config_static_selectorELNS0_4arch9wavefront6targetE0EEEvS10_.num_agpr, 0
	.set _ZN7rocprim17ROCPRIM_400000_NS6detail17trampoline_kernelINS0_14default_configENS1_21merge_config_selectorINS0_5tupleIJxxEEENS0_10empty_typeEEEZNS1_10merge_implIS3_NS0_12zip_iteratorINS5_IJN6thrust23THRUST_200600_302600_NS6detail15normal_iteratorINSC_10device_ptrIKxEEEESI_EEEEESK_NSA_INS5_IJNSE_INSF_IxEEEESM_EEEEEPS7_SP_SP_NSC_11hip_rocprim7__merge17predicate_wrapperIxxNSC_7greaterIxEEEEEE10hipError_tPvRmT0_T1_T2_T3_T4_T5_mmT6_P12ihipStream_tbEUlT_E0_NS1_11comp_targetILNS1_3genE2ELNS1_11target_archE906ELNS1_3gpuE6ELNS1_3repE0EEENS1_30default_config_static_selectorELNS0_4arch9wavefront6targetE0EEEvS10_.numbered_sgpr, 0
	.set _ZN7rocprim17ROCPRIM_400000_NS6detail17trampoline_kernelINS0_14default_configENS1_21merge_config_selectorINS0_5tupleIJxxEEENS0_10empty_typeEEEZNS1_10merge_implIS3_NS0_12zip_iteratorINS5_IJN6thrust23THRUST_200600_302600_NS6detail15normal_iteratorINSC_10device_ptrIKxEEEESI_EEEEESK_NSA_INS5_IJNSE_INSF_IxEEEESM_EEEEEPS7_SP_SP_NSC_11hip_rocprim7__merge17predicate_wrapperIxxNSC_7greaterIxEEEEEE10hipError_tPvRmT0_T1_T2_T3_T4_T5_mmT6_P12ihipStream_tbEUlT_E0_NS1_11comp_targetILNS1_3genE2ELNS1_11target_archE906ELNS1_3gpuE6ELNS1_3repE0EEENS1_30default_config_static_selectorELNS0_4arch9wavefront6targetE0EEEvS10_.num_named_barrier, 0
	.set _ZN7rocprim17ROCPRIM_400000_NS6detail17trampoline_kernelINS0_14default_configENS1_21merge_config_selectorINS0_5tupleIJxxEEENS0_10empty_typeEEEZNS1_10merge_implIS3_NS0_12zip_iteratorINS5_IJN6thrust23THRUST_200600_302600_NS6detail15normal_iteratorINSC_10device_ptrIKxEEEESI_EEEEESK_NSA_INS5_IJNSE_INSF_IxEEEESM_EEEEEPS7_SP_SP_NSC_11hip_rocprim7__merge17predicate_wrapperIxxNSC_7greaterIxEEEEEE10hipError_tPvRmT0_T1_T2_T3_T4_T5_mmT6_P12ihipStream_tbEUlT_E0_NS1_11comp_targetILNS1_3genE2ELNS1_11target_archE906ELNS1_3gpuE6ELNS1_3repE0EEENS1_30default_config_static_selectorELNS0_4arch9wavefront6targetE0EEEvS10_.private_seg_size, 0
	.set _ZN7rocprim17ROCPRIM_400000_NS6detail17trampoline_kernelINS0_14default_configENS1_21merge_config_selectorINS0_5tupleIJxxEEENS0_10empty_typeEEEZNS1_10merge_implIS3_NS0_12zip_iteratorINS5_IJN6thrust23THRUST_200600_302600_NS6detail15normal_iteratorINSC_10device_ptrIKxEEEESI_EEEEESK_NSA_INS5_IJNSE_INSF_IxEEEESM_EEEEEPS7_SP_SP_NSC_11hip_rocprim7__merge17predicate_wrapperIxxNSC_7greaterIxEEEEEE10hipError_tPvRmT0_T1_T2_T3_T4_T5_mmT6_P12ihipStream_tbEUlT_E0_NS1_11comp_targetILNS1_3genE2ELNS1_11target_archE906ELNS1_3gpuE6ELNS1_3repE0EEENS1_30default_config_static_selectorELNS0_4arch9wavefront6targetE0EEEvS10_.uses_vcc, 0
	.set _ZN7rocprim17ROCPRIM_400000_NS6detail17trampoline_kernelINS0_14default_configENS1_21merge_config_selectorINS0_5tupleIJxxEEENS0_10empty_typeEEEZNS1_10merge_implIS3_NS0_12zip_iteratorINS5_IJN6thrust23THRUST_200600_302600_NS6detail15normal_iteratorINSC_10device_ptrIKxEEEESI_EEEEESK_NSA_INS5_IJNSE_INSF_IxEEEESM_EEEEEPS7_SP_SP_NSC_11hip_rocprim7__merge17predicate_wrapperIxxNSC_7greaterIxEEEEEE10hipError_tPvRmT0_T1_T2_T3_T4_T5_mmT6_P12ihipStream_tbEUlT_E0_NS1_11comp_targetILNS1_3genE2ELNS1_11target_archE906ELNS1_3gpuE6ELNS1_3repE0EEENS1_30default_config_static_selectorELNS0_4arch9wavefront6targetE0EEEvS10_.uses_flat_scratch, 0
	.set _ZN7rocprim17ROCPRIM_400000_NS6detail17trampoline_kernelINS0_14default_configENS1_21merge_config_selectorINS0_5tupleIJxxEEENS0_10empty_typeEEEZNS1_10merge_implIS3_NS0_12zip_iteratorINS5_IJN6thrust23THRUST_200600_302600_NS6detail15normal_iteratorINSC_10device_ptrIKxEEEESI_EEEEESK_NSA_INS5_IJNSE_INSF_IxEEEESM_EEEEEPS7_SP_SP_NSC_11hip_rocprim7__merge17predicate_wrapperIxxNSC_7greaterIxEEEEEE10hipError_tPvRmT0_T1_T2_T3_T4_T5_mmT6_P12ihipStream_tbEUlT_E0_NS1_11comp_targetILNS1_3genE2ELNS1_11target_archE906ELNS1_3gpuE6ELNS1_3repE0EEENS1_30default_config_static_selectorELNS0_4arch9wavefront6targetE0EEEvS10_.has_dyn_sized_stack, 0
	.set _ZN7rocprim17ROCPRIM_400000_NS6detail17trampoline_kernelINS0_14default_configENS1_21merge_config_selectorINS0_5tupleIJxxEEENS0_10empty_typeEEEZNS1_10merge_implIS3_NS0_12zip_iteratorINS5_IJN6thrust23THRUST_200600_302600_NS6detail15normal_iteratorINSC_10device_ptrIKxEEEESI_EEEEESK_NSA_INS5_IJNSE_INSF_IxEEEESM_EEEEEPS7_SP_SP_NSC_11hip_rocprim7__merge17predicate_wrapperIxxNSC_7greaterIxEEEEEE10hipError_tPvRmT0_T1_T2_T3_T4_T5_mmT6_P12ihipStream_tbEUlT_E0_NS1_11comp_targetILNS1_3genE2ELNS1_11target_archE906ELNS1_3gpuE6ELNS1_3repE0EEENS1_30default_config_static_selectorELNS0_4arch9wavefront6targetE0EEEvS10_.has_recursion, 0
	.set _ZN7rocprim17ROCPRIM_400000_NS6detail17trampoline_kernelINS0_14default_configENS1_21merge_config_selectorINS0_5tupleIJxxEEENS0_10empty_typeEEEZNS1_10merge_implIS3_NS0_12zip_iteratorINS5_IJN6thrust23THRUST_200600_302600_NS6detail15normal_iteratorINSC_10device_ptrIKxEEEESI_EEEEESK_NSA_INS5_IJNSE_INSF_IxEEEESM_EEEEEPS7_SP_SP_NSC_11hip_rocprim7__merge17predicate_wrapperIxxNSC_7greaterIxEEEEEE10hipError_tPvRmT0_T1_T2_T3_T4_T5_mmT6_P12ihipStream_tbEUlT_E0_NS1_11comp_targetILNS1_3genE2ELNS1_11target_archE906ELNS1_3gpuE6ELNS1_3repE0EEENS1_30default_config_static_selectorELNS0_4arch9wavefront6targetE0EEEvS10_.has_indirect_call, 0
	.section	.AMDGPU.csdata,"",@progbits
; Kernel info:
; codeLenInByte = 0
; TotalNumSgprs: 0
; NumVgprs: 0
; ScratchSize: 0
; MemoryBound: 0
; FloatMode: 240
; IeeeMode: 1
; LDSByteSize: 0 bytes/workgroup (compile time only)
; SGPRBlocks: 0
; VGPRBlocks: 0
; NumSGPRsForWavesPerEU: 1
; NumVGPRsForWavesPerEU: 1
; NamedBarCnt: 0
; Occupancy: 16
; WaveLimiterHint : 0
; COMPUTE_PGM_RSRC2:SCRATCH_EN: 0
; COMPUTE_PGM_RSRC2:USER_SGPR: 2
; COMPUTE_PGM_RSRC2:TRAP_HANDLER: 0
; COMPUTE_PGM_RSRC2:TGID_X_EN: 1
; COMPUTE_PGM_RSRC2:TGID_Y_EN: 0
; COMPUTE_PGM_RSRC2:TGID_Z_EN: 0
; COMPUTE_PGM_RSRC2:TIDIG_COMP_CNT: 0
	.section	.text._ZN7rocprim17ROCPRIM_400000_NS6detail17trampoline_kernelINS0_14default_configENS1_21merge_config_selectorINS0_5tupleIJxxEEENS0_10empty_typeEEEZNS1_10merge_implIS3_NS0_12zip_iteratorINS5_IJN6thrust23THRUST_200600_302600_NS6detail15normal_iteratorINSC_10device_ptrIKxEEEESI_EEEEESK_NSA_INS5_IJNSE_INSF_IxEEEESM_EEEEEPS7_SP_SP_NSC_11hip_rocprim7__merge17predicate_wrapperIxxNSC_7greaterIxEEEEEE10hipError_tPvRmT0_T1_T2_T3_T4_T5_mmT6_P12ihipStream_tbEUlT_E0_NS1_11comp_targetILNS1_3genE10ELNS1_11target_archE1201ELNS1_3gpuE5ELNS1_3repE0EEENS1_30default_config_static_selectorELNS0_4arch9wavefront6targetE0EEEvS10_,"axG",@progbits,_ZN7rocprim17ROCPRIM_400000_NS6detail17trampoline_kernelINS0_14default_configENS1_21merge_config_selectorINS0_5tupleIJxxEEENS0_10empty_typeEEEZNS1_10merge_implIS3_NS0_12zip_iteratorINS5_IJN6thrust23THRUST_200600_302600_NS6detail15normal_iteratorINSC_10device_ptrIKxEEEESI_EEEEESK_NSA_INS5_IJNSE_INSF_IxEEEESM_EEEEEPS7_SP_SP_NSC_11hip_rocprim7__merge17predicate_wrapperIxxNSC_7greaterIxEEEEEE10hipError_tPvRmT0_T1_T2_T3_T4_T5_mmT6_P12ihipStream_tbEUlT_E0_NS1_11comp_targetILNS1_3genE10ELNS1_11target_archE1201ELNS1_3gpuE5ELNS1_3repE0EEENS1_30default_config_static_selectorELNS0_4arch9wavefront6targetE0EEEvS10_,comdat
	.protected	_ZN7rocprim17ROCPRIM_400000_NS6detail17trampoline_kernelINS0_14default_configENS1_21merge_config_selectorINS0_5tupleIJxxEEENS0_10empty_typeEEEZNS1_10merge_implIS3_NS0_12zip_iteratorINS5_IJN6thrust23THRUST_200600_302600_NS6detail15normal_iteratorINSC_10device_ptrIKxEEEESI_EEEEESK_NSA_INS5_IJNSE_INSF_IxEEEESM_EEEEEPS7_SP_SP_NSC_11hip_rocprim7__merge17predicate_wrapperIxxNSC_7greaterIxEEEEEE10hipError_tPvRmT0_T1_T2_T3_T4_T5_mmT6_P12ihipStream_tbEUlT_E0_NS1_11comp_targetILNS1_3genE10ELNS1_11target_archE1201ELNS1_3gpuE5ELNS1_3repE0EEENS1_30default_config_static_selectorELNS0_4arch9wavefront6targetE0EEEvS10_ ; -- Begin function _ZN7rocprim17ROCPRIM_400000_NS6detail17trampoline_kernelINS0_14default_configENS1_21merge_config_selectorINS0_5tupleIJxxEEENS0_10empty_typeEEEZNS1_10merge_implIS3_NS0_12zip_iteratorINS5_IJN6thrust23THRUST_200600_302600_NS6detail15normal_iteratorINSC_10device_ptrIKxEEEESI_EEEEESK_NSA_INS5_IJNSE_INSF_IxEEEESM_EEEEEPS7_SP_SP_NSC_11hip_rocprim7__merge17predicate_wrapperIxxNSC_7greaterIxEEEEEE10hipError_tPvRmT0_T1_T2_T3_T4_T5_mmT6_P12ihipStream_tbEUlT_E0_NS1_11comp_targetILNS1_3genE10ELNS1_11target_archE1201ELNS1_3gpuE5ELNS1_3repE0EEENS1_30default_config_static_selectorELNS0_4arch9wavefront6targetE0EEEvS10_
	.globl	_ZN7rocprim17ROCPRIM_400000_NS6detail17trampoline_kernelINS0_14default_configENS1_21merge_config_selectorINS0_5tupleIJxxEEENS0_10empty_typeEEEZNS1_10merge_implIS3_NS0_12zip_iteratorINS5_IJN6thrust23THRUST_200600_302600_NS6detail15normal_iteratorINSC_10device_ptrIKxEEEESI_EEEEESK_NSA_INS5_IJNSE_INSF_IxEEEESM_EEEEEPS7_SP_SP_NSC_11hip_rocprim7__merge17predicate_wrapperIxxNSC_7greaterIxEEEEEE10hipError_tPvRmT0_T1_T2_T3_T4_T5_mmT6_P12ihipStream_tbEUlT_E0_NS1_11comp_targetILNS1_3genE10ELNS1_11target_archE1201ELNS1_3gpuE5ELNS1_3repE0EEENS1_30default_config_static_selectorELNS0_4arch9wavefront6targetE0EEEvS10_
	.p2align	8
	.type	_ZN7rocprim17ROCPRIM_400000_NS6detail17trampoline_kernelINS0_14default_configENS1_21merge_config_selectorINS0_5tupleIJxxEEENS0_10empty_typeEEEZNS1_10merge_implIS3_NS0_12zip_iteratorINS5_IJN6thrust23THRUST_200600_302600_NS6detail15normal_iteratorINSC_10device_ptrIKxEEEESI_EEEEESK_NSA_INS5_IJNSE_INSF_IxEEEESM_EEEEEPS7_SP_SP_NSC_11hip_rocprim7__merge17predicate_wrapperIxxNSC_7greaterIxEEEEEE10hipError_tPvRmT0_T1_T2_T3_T4_T5_mmT6_P12ihipStream_tbEUlT_E0_NS1_11comp_targetILNS1_3genE10ELNS1_11target_archE1201ELNS1_3gpuE5ELNS1_3repE0EEENS1_30default_config_static_selectorELNS0_4arch9wavefront6targetE0EEEvS10_,@function
_ZN7rocprim17ROCPRIM_400000_NS6detail17trampoline_kernelINS0_14default_configENS1_21merge_config_selectorINS0_5tupleIJxxEEENS0_10empty_typeEEEZNS1_10merge_implIS3_NS0_12zip_iteratorINS5_IJN6thrust23THRUST_200600_302600_NS6detail15normal_iteratorINSC_10device_ptrIKxEEEESI_EEEEESK_NSA_INS5_IJNSE_INSF_IxEEEESM_EEEEEPS7_SP_SP_NSC_11hip_rocprim7__merge17predicate_wrapperIxxNSC_7greaterIxEEEEEE10hipError_tPvRmT0_T1_T2_T3_T4_T5_mmT6_P12ihipStream_tbEUlT_E0_NS1_11comp_targetILNS1_3genE10ELNS1_11target_archE1201ELNS1_3gpuE5ELNS1_3repE0EEENS1_30default_config_static_selectorELNS0_4arch9wavefront6targetE0EEEvS10_: ; @_ZN7rocprim17ROCPRIM_400000_NS6detail17trampoline_kernelINS0_14default_configENS1_21merge_config_selectorINS0_5tupleIJxxEEENS0_10empty_typeEEEZNS1_10merge_implIS3_NS0_12zip_iteratorINS5_IJN6thrust23THRUST_200600_302600_NS6detail15normal_iteratorINSC_10device_ptrIKxEEEESI_EEEEESK_NSA_INS5_IJNSE_INSF_IxEEEESM_EEEEEPS7_SP_SP_NSC_11hip_rocprim7__merge17predicate_wrapperIxxNSC_7greaterIxEEEEEE10hipError_tPvRmT0_T1_T2_T3_T4_T5_mmT6_P12ihipStream_tbEUlT_E0_NS1_11comp_targetILNS1_3genE10ELNS1_11target_archE1201ELNS1_3gpuE5ELNS1_3repE0EEENS1_30default_config_static_selectorELNS0_4arch9wavefront6targetE0EEEvS10_
; %bb.0:
	.section	.rodata,"a",@progbits
	.p2align	6, 0x0
	.amdhsa_kernel _ZN7rocprim17ROCPRIM_400000_NS6detail17trampoline_kernelINS0_14default_configENS1_21merge_config_selectorINS0_5tupleIJxxEEENS0_10empty_typeEEEZNS1_10merge_implIS3_NS0_12zip_iteratorINS5_IJN6thrust23THRUST_200600_302600_NS6detail15normal_iteratorINSC_10device_ptrIKxEEEESI_EEEEESK_NSA_INS5_IJNSE_INSF_IxEEEESM_EEEEEPS7_SP_SP_NSC_11hip_rocprim7__merge17predicate_wrapperIxxNSC_7greaterIxEEEEEE10hipError_tPvRmT0_T1_T2_T3_T4_T5_mmT6_P12ihipStream_tbEUlT_E0_NS1_11comp_targetILNS1_3genE10ELNS1_11target_archE1201ELNS1_3gpuE5ELNS1_3repE0EEENS1_30default_config_static_selectorELNS0_4arch9wavefront6targetE0EEEvS10_
		.amdhsa_group_segment_fixed_size 0
		.amdhsa_private_segment_fixed_size 0
		.amdhsa_kernarg_size 112
		.amdhsa_user_sgpr_count 2
		.amdhsa_user_sgpr_dispatch_ptr 0
		.amdhsa_user_sgpr_queue_ptr 0
		.amdhsa_user_sgpr_kernarg_segment_ptr 1
		.amdhsa_user_sgpr_dispatch_id 0
		.amdhsa_user_sgpr_kernarg_preload_length 0
		.amdhsa_user_sgpr_kernarg_preload_offset 0
		.amdhsa_user_sgpr_private_segment_size 0
		.amdhsa_wavefront_size32 1
		.amdhsa_uses_dynamic_stack 0
		.amdhsa_enable_private_segment 0
		.amdhsa_system_sgpr_workgroup_id_x 1
		.amdhsa_system_sgpr_workgroup_id_y 0
		.amdhsa_system_sgpr_workgroup_id_z 0
		.amdhsa_system_sgpr_workgroup_info 0
		.amdhsa_system_vgpr_workitem_id 0
		.amdhsa_next_free_vgpr 1
		.amdhsa_next_free_sgpr 1
		.amdhsa_named_barrier_count 0
		.amdhsa_reserve_vcc 0
		.amdhsa_float_round_mode_32 0
		.amdhsa_float_round_mode_16_64 0
		.amdhsa_float_denorm_mode_32 3
		.amdhsa_float_denorm_mode_16_64 3
		.amdhsa_fp16_overflow 0
		.amdhsa_memory_ordered 1
		.amdhsa_forward_progress 1
		.amdhsa_inst_pref_size 0
		.amdhsa_round_robin_scheduling 0
		.amdhsa_exception_fp_ieee_invalid_op 0
		.amdhsa_exception_fp_denorm_src 0
		.amdhsa_exception_fp_ieee_div_zero 0
		.amdhsa_exception_fp_ieee_overflow 0
		.amdhsa_exception_fp_ieee_underflow 0
		.amdhsa_exception_fp_ieee_inexact 0
		.amdhsa_exception_int_div_zero 0
	.end_amdhsa_kernel
	.section	.text._ZN7rocprim17ROCPRIM_400000_NS6detail17trampoline_kernelINS0_14default_configENS1_21merge_config_selectorINS0_5tupleIJxxEEENS0_10empty_typeEEEZNS1_10merge_implIS3_NS0_12zip_iteratorINS5_IJN6thrust23THRUST_200600_302600_NS6detail15normal_iteratorINSC_10device_ptrIKxEEEESI_EEEEESK_NSA_INS5_IJNSE_INSF_IxEEEESM_EEEEEPS7_SP_SP_NSC_11hip_rocprim7__merge17predicate_wrapperIxxNSC_7greaterIxEEEEEE10hipError_tPvRmT0_T1_T2_T3_T4_T5_mmT6_P12ihipStream_tbEUlT_E0_NS1_11comp_targetILNS1_3genE10ELNS1_11target_archE1201ELNS1_3gpuE5ELNS1_3repE0EEENS1_30default_config_static_selectorELNS0_4arch9wavefront6targetE0EEEvS10_,"axG",@progbits,_ZN7rocprim17ROCPRIM_400000_NS6detail17trampoline_kernelINS0_14default_configENS1_21merge_config_selectorINS0_5tupleIJxxEEENS0_10empty_typeEEEZNS1_10merge_implIS3_NS0_12zip_iteratorINS5_IJN6thrust23THRUST_200600_302600_NS6detail15normal_iteratorINSC_10device_ptrIKxEEEESI_EEEEESK_NSA_INS5_IJNSE_INSF_IxEEEESM_EEEEEPS7_SP_SP_NSC_11hip_rocprim7__merge17predicate_wrapperIxxNSC_7greaterIxEEEEEE10hipError_tPvRmT0_T1_T2_T3_T4_T5_mmT6_P12ihipStream_tbEUlT_E0_NS1_11comp_targetILNS1_3genE10ELNS1_11target_archE1201ELNS1_3gpuE5ELNS1_3repE0EEENS1_30default_config_static_selectorELNS0_4arch9wavefront6targetE0EEEvS10_,comdat
.Lfunc_end421:
	.size	_ZN7rocprim17ROCPRIM_400000_NS6detail17trampoline_kernelINS0_14default_configENS1_21merge_config_selectorINS0_5tupleIJxxEEENS0_10empty_typeEEEZNS1_10merge_implIS3_NS0_12zip_iteratorINS5_IJN6thrust23THRUST_200600_302600_NS6detail15normal_iteratorINSC_10device_ptrIKxEEEESI_EEEEESK_NSA_INS5_IJNSE_INSF_IxEEEESM_EEEEEPS7_SP_SP_NSC_11hip_rocprim7__merge17predicate_wrapperIxxNSC_7greaterIxEEEEEE10hipError_tPvRmT0_T1_T2_T3_T4_T5_mmT6_P12ihipStream_tbEUlT_E0_NS1_11comp_targetILNS1_3genE10ELNS1_11target_archE1201ELNS1_3gpuE5ELNS1_3repE0EEENS1_30default_config_static_selectorELNS0_4arch9wavefront6targetE0EEEvS10_, .Lfunc_end421-_ZN7rocprim17ROCPRIM_400000_NS6detail17trampoline_kernelINS0_14default_configENS1_21merge_config_selectorINS0_5tupleIJxxEEENS0_10empty_typeEEEZNS1_10merge_implIS3_NS0_12zip_iteratorINS5_IJN6thrust23THRUST_200600_302600_NS6detail15normal_iteratorINSC_10device_ptrIKxEEEESI_EEEEESK_NSA_INS5_IJNSE_INSF_IxEEEESM_EEEEEPS7_SP_SP_NSC_11hip_rocprim7__merge17predicate_wrapperIxxNSC_7greaterIxEEEEEE10hipError_tPvRmT0_T1_T2_T3_T4_T5_mmT6_P12ihipStream_tbEUlT_E0_NS1_11comp_targetILNS1_3genE10ELNS1_11target_archE1201ELNS1_3gpuE5ELNS1_3repE0EEENS1_30default_config_static_selectorELNS0_4arch9wavefront6targetE0EEEvS10_
                                        ; -- End function
	.set _ZN7rocprim17ROCPRIM_400000_NS6detail17trampoline_kernelINS0_14default_configENS1_21merge_config_selectorINS0_5tupleIJxxEEENS0_10empty_typeEEEZNS1_10merge_implIS3_NS0_12zip_iteratorINS5_IJN6thrust23THRUST_200600_302600_NS6detail15normal_iteratorINSC_10device_ptrIKxEEEESI_EEEEESK_NSA_INS5_IJNSE_INSF_IxEEEESM_EEEEEPS7_SP_SP_NSC_11hip_rocprim7__merge17predicate_wrapperIxxNSC_7greaterIxEEEEEE10hipError_tPvRmT0_T1_T2_T3_T4_T5_mmT6_P12ihipStream_tbEUlT_E0_NS1_11comp_targetILNS1_3genE10ELNS1_11target_archE1201ELNS1_3gpuE5ELNS1_3repE0EEENS1_30default_config_static_selectorELNS0_4arch9wavefront6targetE0EEEvS10_.num_vgpr, 0
	.set _ZN7rocprim17ROCPRIM_400000_NS6detail17trampoline_kernelINS0_14default_configENS1_21merge_config_selectorINS0_5tupleIJxxEEENS0_10empty_typeEEEZNS1_10merge_implIS3_NS0_12zip_iteratorINS5_IJN6thrust23THRUST_200600_302600_NS6detail15normal_iteratorINSC_10device_ptrIKxEEEESI_EEEEESK_NSA_INS5_IJNSE_INSF_IxEEEESM_EEEEEPS7_SP_SP_NSC_11hip_rocprim7__merge17predicate_wrapperIxxNSC_7greaterIxEEEEEE10hipError_tPvRmT0_T1_T2_T3_T4_T5_mmT6_P12ihipStream_tbEUlT_E0_NS1_11comp_targetILNS1_3genE10ELNS1_11target_archE1201ELNS1_3gpuE5ELNS1_3repE0EEENS1_30default_config_static_selectorELNS0_4arch9wavefront6targetE0EEEvS10_.num_agpr, 0
	.set _ZN7rocprim17ROCPRIM_400000_NS6detail17trampoline_kernelINS0_14default_configENS1_21merge_config_selectorINS0_5tupleIJxxEEENS0_10empty_typeEEEZNS1_10merge_implIS3_NS0_12zip_iteratorINS5_IJN6thrust23THRUST_200600_302600_NS6detail15normal_iteratorINSC_10device_ptrIKxEEEESI_EEEEESK_NSA_INS5_IJNSE_INSF_IxEEEESM_EEEEEPS7_SP_SP_NSC_11hip_rocprim7__merge17predicate_wrapperIxxNSC_7greaterIxEEEEEE10hipError_tPvRmT0_T1_T2_T3_T4_T5_mmT6_P12ihipStream_tbEUlT_E0_NS1_11comp_targetILNS1_3genE10ELNS1_11target_archE1201ELNS1_3gpuE5ELNS1_3repE0EEENS1_30default_config_static_selectorELNS0_4arch9wavefront6targetE0EEEvS10_.numbered_sgpr, 0
	.set _ZN7rocprim17ROCPRIM_400000_NS6detail17trampoline_kernelINS0_14default_configENS1_21merge_config_selectorINS0_5tupleIJxxEEENS0_10empty_typeEEEZNS1_10merge_implIS3_NS0_12zip_iteratorINS5_IJN6thrust23THRUST_200600_302600_NS6detail15normal_iteratorINSC_10device_ptrIKxEEEESI_EEEEESK_NSA_INS5_IJNSE_INSF_IxEEEESM_EEEEEPS7_SP_SP_NSC_11hip_rocprim7__merge17predicate_wrapperIxxNSC_7greaterIxEEEEEE10hipError_tPvRmT0_T1_T2_T3_T4_T5_mmT6_P12ihipStream_tbEUlT_E0_NS1_11comp_targetILNS1_3genE10ELNS1_11target_archE1201ELNS1_3gpuE5ELNS1_3repE0EEENS1_30default_config_static_selectorELNS0_4arch9wavefront6targetE0EEEvS10_.num_named_barrier, 0
	.set _ZN7rocprim17ROCPRIM_400000_NS6detail17trampoline_kernelINS0_14default_configENS1_21merge_config_selectorINS0_5tupleIJxxEEENS0_10empty_typeEEEZNS1_10merge_implIS3_NS0_12zip_iteratorINS5_IJN6thrust23THRUST_200600_302600_NS6detail15normal_iteratorINSC_10device_ptrIKxEEEESI_EEEEESK_NSA_INS5_IJNSE_INSF_IxEEEESM_EEEEEPS7_SP_SP_NSC_11hip_rocprim7__merge17predicate_wrapperIxxNSC_7greaterIxEEEEEE10hipError_tPvRmT0_T1_T2_T3_T4_T5_mmT6_P12ihipStream_tbEUlT_E0_NS1_11comp_targetILNS1_3genE10ELNS1_11target_archE1201ELNS1_3gpuE5ELNS1_3repE0EEENS1_30default_config_static_selectorELNS0_4arch9wavefront6targetE0EEEvS10_.private_seg_size, 0
	.set _ZN7rocprim17ROCPRIM_400000_NS6detail17trampoline_kernelINS0_14default_configENS1_21merge_config_selectorINS0_5tupleIJxxEEENS0_10empty_typeEEEZNS1_10merge_implIS3_NS0_12zip_iteratorINS5_IJN6thrust23THRUST_200600_302600_NS6detail15normal_iteratorINSC_10device_ptrIKxEEEESI_EEEEESK_NSA_INS5_IJNSE_INSF_IxEEEESM_EEEEEPS7_SP_SP_NSC_11hip_rocprim7__merge17predicate_wrapperIxxNSC_7greaterIxEEEEEE10hipError_tPvRmT0_T1_T2_T3_T4_T5_mmT6_P12ihipStream_tbEUlT_E0_NS1_11comp_targetILNS1_3genE10ELNS1_11target_archE1201ELNS1_3gpuE5ELNS1_3repE0EEENS1_30default_config_static_selectorELNS0_4arch9wavefront6targetE0EEEvS10_.uses_vcc, 0
	.set _ZN7rocprim17ROCPRIM_400000_NS6detail17trampoline_kernelINS0_14default_configENS1_21merge_config_selectorINS0_5tupleIJxxEEENS0_10empty_typeEEEZNS1_10merge_implIS3_NS0_12zip_iteratorINS5_IJN6thrust23THRUST_200600_302600_NS6detail15normal_iteratorINSC_10device_ptrIKxEEEESI_EEEEESK_NSA_INS5_IJNSE_INSF_IxEEEESM_EEEEEPS7_SP_SP_NSC_11hip_rocprim7__merge17predicate_wrapperIxxNSC_7greaterIxEEEEEE10hipError_tPvRmT0_T1_T2_T3_T4_T5_mmT6_P12ihipStream_tbEUlT_E0_NS1_11comp_targetILNS1_3genE10ELNS1_11target_archE1201ELNS1_3gpuE5ELNS1_3repE0EEENS1_30default_config_static_selectorELNS0_4arch9wavefront6targetE0EEEvS10_.uses_flat_scratch, 0
	.set _ZN7rocprim17ROCPRIM_400000_NS6detail17trampoline_kernelINS0_14default_configENS1_21merge_config_selectorINS0_5tupleIJxxEEENS0_10empty_typeEEEZNS1_10merge_implIS3_NS0_12zip_iteratorINS5_IJN6thrust23THRUST_200600_302600_NS6detail15normal_iteratorINSC_10device_ptrIKxEEEESI_EEEEESK_NSA_INS5_IJNSE_INSF_IxEEEESM_EEEEEPS7_SP_SP_NSC_11hip_rocprim7__merge17predicate_wrapperIxxNSC_7greaterIxEEEEEE10hipError_tPvRmT0_T1_T2_T3_T4_T5_mmT6_P12ihipStream_tbEUlT_E0_NS1_11comp_targetILNS1_3genE10ELNS1_11target_archE1201ELNS1_3gpuE5ELNS1_3repE0EEENS1_30default_config_static_selectorELNS0_4arch9wavefront6targetE0EEEvS10_.has_dyn_sized_stack, 0
	.set _ZN7rocprim17ROCPRIM_400000_NS6detail17trampoline_kernelINS0_14default_configENS1_21merge_config_selectorINS0_5tupleIJxxEEENS0_10empty_typeEEEZNS1_10merge_implIS3_NS0_12zip_iteratorINS5_IJN6thrust23THRUST_200600_302600_NS6detail15normal_iteratorINSC_10device_ptrIKxEEEESI_EEEEESK_NSA_INS5_IJNSE_INSF_IxEEEESM_EEEEEPS7_SP_SP_NSC_11hip_rocprim7__merge17predicate_wrapperIxxNSC_7greaterIxEEEEEE10hipError_tPvRmT0_T1_T2_T3_T4_T5_mmT6_P12ihipStream_tbEUlT_E0_NS1_11comp_targetILNS1_3genE10ELNS1_11target_archE1201ELNS1_3gpuE5ELNS1_3repE0EEENS1_30default_config_static_selectorELNS0_4arch9wavefront6targetE0EEEvS10_.has_recursion, 0
	.set _ZN7rocprim17ROCPRIM_400000_NS6detail17trampoline_kernelINS0_14default_configENS1_21merge_config_selectorINS0_5tupleIJxxEEENS0_10empty_typeEEEZNS1_10merge_implIS3_NS0_12zip_iteratorINS5_IJN6thrust23THRUST_200600_302600_NS6detail15normal_iteratorINSC_10device_ptrIKxEEEESI_EEEEESK_NSA_INS5_IJNSE_INSF_IxEEEESM_EEEEEPS7_SP_SP_NSC_11hip_rocprim7__merge17predicate_wrapperIxxNSC_7greaterIxEEEEEE10hipError_tPvRmT0_T1_T2_T3_T4_T5_mmT6_P12ihipStream_tbEUlT_E0_NS1_11comp_targetILNS1_3genE10ELNS1_11target_archE1201ELNS1_3gpuE5ELNS1_3repE0EEENS1_30default_config_static_selectorELNS0_4arch9wavefront6targetE0EEEvS10_.has_indirect_call, 0
	.section	.AMDGPU.csdata,"",@progbits
; Kernel info:
; codeLenInByte = 0
; TotalNumSgprs: 0
; NumVgprs: 0
; ScratchSize: 0
; MemoryBound: 0
; FloatMode: 240
; IeeeMode: 1
; LDSByteSize: 0 bytes/workgroup (compile time only)
; SGPRBlocks: 0
; VGPRBlocks: 0
; NumSGPRsForWavesPerEU: 1
; NumVGPRsForWavesPerEU: 1
; NamedBarCnt: 0
; Occupancy: 16
; WaveLimiterHint : 0
; COMPUTE_PGM_RSRC2:SCRATCH_EN: 0
; COMPUTE_PGM_RSRC2:USER_SGPR: 2
; COMPUTE_PGM_RSRC2:TRAP_HANDLER: 0
; COMPUTE_PGM_RSRC2:TGID_X_EN: 1
; COMPUTE_PGM_RSRC2:TGID_Y_EN: 0
; COMPUTE_PGM_RSRC2:TGID_Z_EN: 0
; COMPUTE_PGM_RSRC2:TIDIG_COMP_CNT: 0
	.section	.text._ZN7rocprim17ROCPRIM_400000_NS6detail17trampoline_kernelINS0_14default_configENS1_21merge_config_selectorINS0_5tupleIJxxEEENS0_10empty_typeEEEZNS1_10merge_implIS3_NS0_12zip_iteratorINS5_IJN6thrust23THRUST_200600_302600_NS6detail15normal_iteratorINSC_10device_ptrIKxEEEESI_EEEEESK_NSA_INS5_IJNSE_INSF_IxEEEESM_EEEEEPS7_SP_SP_NSC_11hip_rocprim7__merge17predicate_wrapperIxxNSC_7greaterIxEEEEEE10hipError_tPvRmT0_T1_T2_T3_T4_T5_mmT6_P12ihipStream_tbEUlT_E0_NS1_11comp_targetILNS1_3genE10ELNS1_11target_archE1200ELNS1_3gpuE4ELNS1_3repE0EEENS1_30default_config_static_selectorELNS0_4arch9wavefront6targetE0EEEvS10_,"axG",@progbits,_ZN7rocprim17ROCPRIM_400000_NS6detail17trampoline_kernelINS0_14default_configENS1_21merge_config_selectorINS0_5tupleIJxxEEENS0_10empty_typeEEEZNS1_10merge_implIS3_NS0_12zip_iteratorINS5_IJN6thrust23THRUST_200600_302600_NS6detail15normal_iteratorINSC_10device_ptrIKxEEEESI_EEEEESK_NSA_INS5_IJNSE_INSF_IxEEEESM_EEEEEPS7_SP_SP_NSC_11hip_rocprim7__merge17predicate_wrapperIxxNSC_7greaterIxEEEEEE10hipError_tPvRmT0_T1_T2_T3_T4_T5_mmT6_P12ihipStream_tbEUlT_E0_NS1_11comp_targetILNS1_3genE10ELNS1_11target_archE1200ELNS1_3gpuE4ELNS1_3repE0EEENS1_30default_config_static_selectorELNS0_4arch9wavefront6targetE0EEEvS10_,comdat
	.protected	_ZN7rocprim17ROCPRIM_400000_NS6detail17trampoline_kernelINS0_14default_configENS1_21merge_config_selectorINS0_5tupleIJxxEEENS0_10empty_typeEEEZNS1_10merge_implIS3_NS0_12zip_iteratorINS5_IJN6thrust23THRUST_200600_302600_NS6detail15normal_iteratorINSC_10device_ptrIKxEEEESI_EEEEESK_NSA_INS5_IJNSE_INSF_IxEEEESM_EEEEEPS7_SP_SP_NSC_11hip_rocprim7__merge17predicate_wrapperIxxNSC_7greaterIxEEEEEE10hipError_tPvRmT0_T1_T2_T3_T4_T5_mmT6_P12ihipStream_tbEUlT_E0_NS1_11comp_targetILNS1_3genE10ELNS1_11target_archE1200ELNS1_3gpuE4ELNS1_3repE0EEENS1_30default_config_static_selectorELNS0_4arch9wavefront6targetE0EEEvS10_ ; -- Begin function _ZN7rocprim17ROCPRIM_400000_NS6detail17trampoline_kernelINS0_14default_configENS1_21merge_config_selectorINS0_5tupleIJxxEEENS0_10empty_typeEEEZNS1_10merge_implIS3_NS0_12zip_iteratorINS5_IJN6thrust23THRUST_200600_302600_NS6detail15normal_iteratorINSC_10device_ptrIKxEEEESI_EEEEESK_NSA_INS5_IJNSE_INSF_IxEEEESM_EEEEEPS7_SP_SP_NSC_11hip_rocprim7__merge17predicate_wrapperIxxNSC_7greaterIxEEEEEE10hipError_tPvRmT0_T1_T2_T3_T4_T5_mmT6_P12ihipStream_tbEUlT_E0_NS1_11comp_targetILNS1_3genE10ELNS1_11target_archE1200ELNS1_3gpuE4ELNS1_3repE0EEENS1_30default_config_static_selectorELNS0_4arch9wavefront6targetE0EEEvS10_
	.globl	_ZN7rocprim17ROCPRIM_400000_NS6detail17trampoline_kernelINS0_14default_configENS1_21merge_config_selectorINS0_5tupleIJxxEEENS0_10empty_typeEEEZNS1_10merge_implIS3_NS0_12zip_iteratorINS5_IJN6thrust23THRUST_200600_302600_NS6detail15normal_iteratorINSC_10device_ptrIKxEEEESI_EEEEESK_NSA_INS5_IJNSE_INSF_IxEEEESM_EEEEEPS7_SP_SP_NSC_11hip_rocprim7__merge17predicate_wrapperIxxNSC_7greaterIxEEEEEE10hipError_tPvRmT0_T1_T2_T3_T4_T5_mmT6_P12ihipStream_tbEUlT_E0_NS1_11comp_targetILNS1_3genE10ELNS1_11target_archE1200ELNS1_3gpuE4ELNS1_3repE0EEENS1_30default_config_static_selectorELNS0_4arch9wavefront6targetE0EEEvS10_
	.p2align	8
	.type	_ZN7rocprim17ROCPRIM_400000_NS6detail17trampoline_kernelINS0_14default_configENS1_21merge_config_selectorINS0_5tupleIJxxEEENS0_10empty_typeEEEZNS1_10merge_implIS3_NS0_12zip_iteratorINS5_IJN6thrust23THRUST_200600_302600_NS6detail15normal_iteratorINSC_10device_ptrIKxEEEESI_EEEEESK_NSA_INS5_IJNSE_INSF_IxEEEESM_EEEEEPS7_SP_SP_NSC_11hip_rocprim7__merge17predicate_wrapperIxxNSC_7greaterIxEEEEEE10hipError_tPvRmT0_T1_T2_T3_T4_T5_mmT6_P12ihipStream_tbEUlT_E0_NS1_11comp_targetILNS1_3genE10ELNS1_11target_archE1200ELNS1_3gpuE4ELNS1_3repE0EEENS1_30default_config_static_selectorELNS0_4arch9wavefront6targetE0EEEvS10_,@function
_ZN7rocprim17ROCPRIM_400000_NS6detail17trampoline_kernelINS0_14default_configENS1_21merge_config_selectorINS0_5tupleIJxxEEENS0_10empty_typeEEEZNS1_10merge_implIS3_NS0_12zip_iteratorINS5_IJN6thrust23THRUST_200600_302600_NS6detail15normal_iteratorINSC_10device_ptrIKxEEEESI_EEEEESK_NSA_INS5_IJNSE_INSF_IxEEEESM_EEEEEPS7_SP_SP_NSC_11hip_rocprim7__merge17predicate_wrapperIxxNSC_7greaterIxEEEEEE10hipError_tPvRmT0_T1_T2_T3_T4_T5_mmT6_P12ihipStream_tbEUlT_E0_NS1_11comp_targetILNS1_3genE10ELNS1_11target_archE1200ELNS1_3gpuE4ELNS1_3repE0EEENS1_30default_config_static_selectorELNS0_4arch9wavefront6targetE0EEEvS10_: ; @_ZN7rocprim17ROCPRIM_400000_NS6detail17trampoline_kernelINS0_14default_configENS1_21merge_config_selectorINS0_5tupleIJxxEEENS0_10empty_typeEEEZNS1_10merge_implIS3_NS0_12zip_iteratorINS5_IJN6thrust23THRUST_200600_302600_NS6detail15normal_iteratorINSC_10device_ptrIKxEEEESI_EEEEESK_NSA_INS5_IJNSE_INSF_IxEEEESM_EEEEEPS7_SP_SP_NSC_11hip_rocprim7__merge17predicate_wrapperIxxNSC_7greaterIxEEEEEE10hipError_tPvRmT0_T1_T2_T3_T4_T5_mmT6_P12ihipStream_tbEUlT_E0_NS1_11comp_targetILNS1_3genE10ELNS1_11target_archE1200ELNS1_3gpuE4ELNS1_3repE0EEENS1_30default_config_static_selectorELNS0_4arch9wavefront6targetE0EEEvS10_
; %bb.0:
	.section	.rodata,"a",@progbits
	.p2align	6, 0x0
	.amdhsa_kernel _ZN7rocprim17ROCPRIM_400000_NS6detail17trampoline_kernelINS0_14default_configENS1_21merge_config_selectorINS0_5tupleIJxxEEENS0_10empty_typeEEEZNS1_10merge_implIS3_NS0_12zip_iteratorINS5_IJN6thrust23THRUST_200600_302600_NS6detail15normal_iteratorINSC_10device_ptrIKxEEEESI_EEEEESK_NSA_INS5_IJNSE_INSF_IxEEEESM_EEEEEPS7_SP_SP_NSC_11hip_rocprim7__merge17predicate_wrapperIxxNSC_7greaterIxEEEEEE10hipError_tPvRmT0_T1_T2_T3_T4_T5_mmT6_P12ihipStream_tbEUlT_E0_NS1_11comp_targetILNS1_3genE10ELNS1_11target_archE1200ELNS1_3gpuE4ELNS1_3repE0EEENS1_30default_config_static_selectorELNS0_4arch9wavefront6targetE0EEEvS10_
		.amdhsa_group_segment_fixed_size 0
		.amdhsa_private_segment_fixed_size 0
		.amdhsa_kernarg_size 112
		.amdhsa_user_sgpr_count 2
		.amdhsa_user_sgpr_dispatch_ptr 0
		.amdhsa_user_sgpr_queue_ptr 0
		.amdhsa_user_sgpr_kernarg_segment_ptr 1
		.amdhsa_user_sgpr_dispatch_id 0
		.amdhsa_user_sgpr_kernarg_preload_length 0
		.amdhsa_user_sgpr_kernarg_preload_offset 0
		.amdhsa_user_sgpr_private_segment_size 0
		.amdhsa_wavefront_size32 1
		.amdhsa_uses_dynamic_stack 0
		.amdhsa_enable_private_segment 0
		.amdhsa_system_sgpr_workgroup_id_x 1
		.amdhsa_system_sgpr_workgroup_id_y 0
		.amdhsa_system_sgpr_workgroup_id_z 0
		.amdhsa_system_sgpr_workgroup_info 0
		.amdhsa_system_vgpr_workitem_id 0
		.amdhsa_next_free_vgpr 1
		.amdhsa_next_free_sgpr 1
		.amdhsa_named_barrier_count 0
		.amdhsa_reserve_vcc 0
		.amdhsa_float_round_mode_32 0
		.amdhsa_float_round_mode_16_64 0
		.amdhsa_float_denorm_mode_32 3
		.amdhsa_float_denorm_mode_16_64 3
		.amdhsa_fp16_overflow 0
		.amdhsa_memory_ordered 1
		.amdhsa_forward_progress 1
		.amdhsa_inst_pref_size 0
		.amdhsa_round_robin_scheduling 0
		.amdhsa_exception_fp_ieee_invalid_op 0
		.amdhsa_exception_fp_denorm_src 0
		.amdhsa_exception_fp_ieee_div_zero 0
		.amdhsa_exception_fp_ieee_overflow 0
		.amdhsa_exception_fp_ieee_underflow 0
		.amdhsa_exception_fp_ieee_inexact 0
		.amdhsa_exception_int_div_zero 0
	.end_amdhsa_kernel
	.section	.text._ZN7rocprim17ROCPRIM_400000_NS6detail17trampoline_kernelINS0_14default_configENS1_21merge_config_selectorINS0_5tupleIJxxEEENS0_10empty_typeEEEZNS1_10merge_implIS3_NS0_12zip_iteratorINS5_IJN6thrust23THRUST_200600_302600_NS6detail15normal_iteratorINSC_10device_ptrIKxEEEESI_EEEEESK_NSA_INS5_IJNSE_INSF_IxEEEESM_EEEEEPS7_SP_SP_NSC_11hip_rocprim7__merge17predicate_wrapperIxxNSC_7greaterIxEEEEEE10hipError_tPvRmT0_T1_T2_T3_T4_T5_mmT6_P12ihipStream_tbEUlT_E0_NS1_11comp_targetILNS1_3genE10ELNS1_11target_archE1200ELNS1_3gpuE4ELNS1_3repE0EEENS1_30default_config_static_selectorELNS0_4arch9wavefront6targetE0EEEvS10_,"axG",@progbits,_ZN7rocprim17ROCPRIM_400000_NS6detail17trampoline_kernelINS0_14default_configENS1_21merge_config_selectorINS0_5tupleIJxxEEENS0_10empty_typeEEEZNS1_10merge_implIS3_NS0_12zip_iteratorINS5_IJN6thrust23THRUST_200600_302600_NS6detail15normal_iteratorINSC_10device_ptrIKxEEEESI_EEEEESK_NSA_INS5_IJNSE_INSF_IxEEEESM_EEEEEPS7_SP_SP_NSC_11hip_rocprim7__merge17predicate_wrapperIxxNSC_7greaterIxEEEEEE10hipError_tPvRmT0_T1_T2_T3_T4_T5_mmT6_P12ihipStream_tbEUlT_E0_NS1_11comp_targetILNS1_3genE10ELNS1_11target_archE1200ELNS1_3gpuE4ELNS1_3repE0EEENS1_30default_config_static_selectorELNS0_4arch9wavefront6targetE0EEEvS10_,comdat
.Lfunc_end422:
	.size	_ZN7rocprim17ROCPRIM_400000_NS6detail17trampoline_kernelINS0_14default_configENS1_21merge_config_selectorINS0_5tupleIJxxEEENS0_10empty_typeEEEZNS1_10merge_implIS3_NS0_12zip_iteratorINS5_IJN6thrust23THRUST_200600_302600_NS6detail15normal_iteratorINSC_10device_ptrIKxEEEESI_EEEEESK_NSA_INS5_IJNSE_INSF_IxEEEESM_EEEEEPS7_SP_SP_NSC_11hip_rocprim7__merge17predicate_wrapperIxxNSC_7greaterIxEEEEEE10hipError_tPvRmT0_T1_T2_T3_T4_T5_mmT6_P12ihipStream_tbEUlT_E0_NS1_11comp_targetILNS1_3genE10ELNS1_11target_archE1200ELNS1_3gpuE4ELNS1_3repE0EEENS1_30default_config_static_selectorELNS0_4arch9wavefront6targetE0EEEvS10_, .Lfunc_end422-_ZN7rocprim17ROCPRIM_400000_NS6detail17trampoline_kernelINS0_14default_configENS1_21merge_config_selectorINS0_5tupleIJxxEEENS0_10empty_typeEEEZNS1_10merge_implIS3_NS0_12zip_iteratorINS5_IJN6thrust23THRUST_200600_302600_NS6detail15normal_iteratorINSC_10device_ptrIKxEEEESI_EEEEESK_NSA_INS5_IJNSE_INSF_IxEEEESM_EEEEEPS7_SP_SP_NSC_11hip_rocprim7__merge17predicate_wrapperIxxNSC_7greaterIxEEEEEE10hipError_tPvRmT0_T1_T2_T3_T4_T5_mmT6_P12ihipStream_tbEUlT_E0_NS1_11comp_targetILNS1_3genE10ELNS1_11target_archE1200ELNS1_3gpuE4ELNS1_3repE0EEENS1_30default_config_static_selectorELNS0_4arch9wavefront6targetE0EEEvS10_
                                        ; -- End function
	.set _ZN7rocprim17ROCPRIM_400000_NS6detail17trampoline_kernelINS0_14default_configENS1_21merge_config_selectorINS0_5tupleIJxxEEENS0_10empty_typeEEEZNS1_10merge_implIS3_NS0_12zip_iteratorINS5_IJN6thrust23THRUST_200600_302600_NS6detail15normal_iteratorINSC_10device_ptrIKxEEEESI_EEEEESK_NSA_INS5_IJNSE_INSF_IxEEEESM_EEEEEPS7_SP_SP_NSC_11hip_rocprim7__merge17predicate_wrapperIxxNSC_7greaterIxEEEEEE10hipError_tPvRmT0_T1_T2_T3_T4_T5_mmT6_P12ihipStream_tbEUlT_E0_NS1_11comp_targetILNS1_3genE10ELNS1_11target_archE1200ELNS1_3gpuE4ELNS1_3repE0EEENS1_30default_config_static_selectorELNS0_4arch9wavefront6targetE0EEEvS10_.num_vgpr, 0
	.set _ZN7rocprim17ROCPRIM_400000_NS6detail17trampoline_kernelINS0_14default_configENS1_21merge_config_selectorINS0_5tupleIJxxEEENS0_10empty_typeEEEZNS1_10merge_implIS3_NS0_12zip_iteratorINS5_IJN6thrust23THRUST_200600_302600_NS6detail15normal_iteratorINSC_10device_ptrIKxEEEESI_EEEEESK_NSA_INS5_IJNSE_INSF_IxEEEESM_EEEEEPS7_SP_SP_NSC_11hip_rocprim7__merge17predicate_wrapperIxxNSC_7greaterIxEEEEEE10hipError_tPvRmT0_T1_T2_T3_T4_T5_mmT6_P12ihipStream_tbEUlT_E0_NS1_11comp_targetILNS1_3genE10ELNS1_11target_archE1200ELNS1_3gpuE4ELNS1_3repE0EEENS1_30default_config_static_selectorELNS0_4arch9wavefront6targetE0EEEvS10_.num_agpr, 0
	.set _ZN7rocprim17ROCPRIM_400000_NS6detail17trampoline_kernelINS0_14default_configENS1_21merge_config_selectorINS0_5tupleIJxxEEENS0_10empty_typeEEEZNS1_10merge_implIS3_NS0_12zip_iteratorINS5_IJN6thrust23THRUST_200600_302600_NS6detail15normal_iteratorINSC_10device_ptrIKxEEEESI_EEEEESK_NSA_INS5_IJNSE_INSF_IxEEEESM_EEEEEPS7_SP_SP_NSC_11hip_rocprim7__merge17predicate_wrapperIxxNSC_7greaterIxEEEEEE10hipError_tPvRmT0_T1_T2_T3_T4_T5_mmT6_P12ihipStream_tbEUlT_E0_NS1_11comp_targetILNS1_3genE10ELNS1_11target_archE1200ELNS1_3gpuE4ELNS1_3repE0EEENS1_30default_config_static_selectorELNS0_4arch9wavefront6targetE0EEEvS10_.numbered_sgpr, 0
	.set _ZN7rocprim17ROCPRIM_400000_NS6detail17trampoline_kernelINS0_14default_configENS1_21merge_config_selectorINS0_5tupleIJxxEEENS0_10empty_typeEEEZNS1_10merge_implIS3_NS0_12zip_iteratorINS5_IJN6thrust23THRUST_200600_302600_NS6detail15normal_iteratorINSC_10device_ptrIKxEEEESI_EEEEESK_NSA_INS5_IJNSE_INSF_IxEEEESM_EEEEEPS7_SP_SP_NSC_11hip_rocprim7__merge17predicate_wrapperIxxNSC_7greaterIxEEEEEE10hipError_tPvRmT0_T1_T2_T3_T4_T5_mmT6_P12ihipStream_tbEUlT_E0_NS1_11comp_targetILNS1_3genE10ELNS1_11target_archE1200ELNS1_3gpuE4ELNS1_3repE0EEENS1_30default_config_static_selectorELNS0_4arch9wavefront6targetE0EEEvS10_.num_named_barrier, 0
	.set _ZN7rocprim17ROCPRIM_400000_NS6detail17trampoline_kernelINS0_14default_configENS1_21merge_config_selectorINS0_5tupleIJxxEEENS0_10empty_typeEEEZNS1_10merge_implIS3_NS0_12zip_iteratorINS5_IJN6thrust23THRUST_200600_302600_NS6detail15normal_iteratorINSC_10device_ptrIKxEEEESI_EEEEESK_NSA_INS5_IJNSE_INSF_IxEEEESM_EEEEEPS7_SP_SP_NSC_11hip_rocprim7__merge17predicate_wrapperIxxNSC_7greaterIxEEEEEE10hipError_tPvRmT0_T1_T2_T3_T4_T5_mmT6_P12ihipStream_tbEUlT_E0_NS1_11comp_targetILNS1_3genE10ELNS1_11target_archE1200ELNS1_3gpuE4ELNS1_3repE0EEENS1_30default_config_static_selectorELNS0_4arch9wavefront6targetE0EEEvS10_.private_seg_size, 0
	.set _ZN7rocprim17ROCPRIM_400000_NS6detail17trampoline_kernelINS0_14default_configENS1_21merge_config_selectorINS0_5tupleIJxxEEENS0_10empty_typeEEEZNS1_10merge_implIS3_NS0_12zip_iteratorINS5_IJN6thrust23THRUST_200600_302600_NS6detail15normal_iteratorINSC_10device_ptrIKxEEEESI_EEEEESK_NSA_INS5_IJNSE_INSF_IxEEEESM_EEEEEPS7_SP_SP_NSC_11hip_rocprim7__merge17predicate_wrapperIxxNSC_7greaterIxEEEEEE10hipError_tPvRmT0_T1_T2_T3_T4_T5_mmT6_P12ihipStream_tbEUlT_E0_NS1_11comp_targetILNS1_3genE10ELNS1_11target_archE1200ELNS1_3gpuE4ELNS1_3repE0EEENS1_30default_config_static_selectorELNS0_4arch9wavefront6targetE0EEEvS10_.uses_vcc, 0
	.set _ZN7rocprim17ROCPRIM_400000_NS6detail17trampoline_kernelINS0_14default_configENS1_21merge_config_selectorINS0_5tupleIJxxEEENS0_10empty_typeEEEZNS1_10merge_implIS3_NS0_12zip_iteratorINS5_IJN6thrust23THRUST_200600_302600_NS6detail15normal_iteratorINSC_10device_ptrIKxEEEESI_EEEEESK_NSA_INS5_IJNSE_INSF_IxEEEESM_EEEEEPS7_SP_SP_NSC_11hip_rocprim7__merge17predicate_wrapperIxxNSC_7greaterIxEEEEEE10hipError_tPvRmT0_T1_T2_T3_T4_T5_mmT6_P12ihipStream_tbEUlT_E0_NS1_11comp_targetILNS1_3genE10ELNS1_11target_archE1200ELNS1_3gpuE4ELNS1_3repE0EEENS1_30default_config_static_selectorELNS0_4arch9wavefront6targetE0EEEvS10_.uses_flat_scratch, 0
	.set _ZN7rocprim17ROCPRIM_400000_NS6detail17trampoline_kernelINS0_14default_configENS1_21merge_config_selectorINS0_5tupleIJxxEEENS0_10empty_typeEEEZNS1_10merge_implIS3_NS0_12zip_iteratorINS5_IJN6thrust23THRUST_200600_302600_NS6detail15normal_iteratorINSC_10device_ptrIKxEEEESI_EEEEESK_NSA_INS5_IJNSE_INSF_IxEEEESM_EEEEEPS7_SP_SP_NSC_11hip_rocprim7__merge17predicate_wrapperIxxNSC_7greaterIxEEEEEE10hipError_tPvRmT0_T1_T2_T3_T4_T5_mmT6_P12ihipStream_tbEUlT_E0_NS1_11comp_targetILNS1_3genE10ELNS1_11target_archE1200ELNS1_3gpuE4ELNS1_3repE0EEENS1_30default_config_static_selectorELNS0_4arch9wavefront6targetE0EEEvS10_.has_dyn_sized_stack, 0
	.set _ZN7rocprim17ROCPRIM_400000_NS6detail17trampoline_kernelINS0_14default_configENS1_21merge_config_selectorINS0_5tupleIJxxEEENS0_10empty_typeEEEZNS1_10merge_implIS3_NS0_12zip_iteratorINS5_IJN6thrust23THRUST_200600_302600_NS6detail15normal_iteratorINSC_10device_ptrIKxEEEESI_EEEEESK_NSA_INS5_IJNSE_INSF_IxEEEESM_EEEEEPS7_SP_SP_NSC_11hip_rocprim7__merge17predicate_wrapperIxxNSC_7greaterIxEEEEEE10hipError_tPvRmT0_T1_T2_T3_T4_T5_mmT6_P12ihipStream_tbEUlT_E0_NS1_11comp_targetILNS1_3genE10ELNS1_11target_archE1200ELNS1_3gpuE4ELNS1_3repE0EEENS1_30default_config_static_selectorELNS0_4arch9wavefront6targetE0EEEvS10_.has_recursion, 0
	.set _ZN7rocprim17ROCPRIM_400000_NS6detail17trampoline_kernelINS0_14default_configENS1_21merge_config_selectorINS0_5tupleIJxxEEENS0_10empty_typeEEEZNS1_10merge_implIS3_NS0_12zip_iteratorINS5_IJN6thrust23THRUST_200600_302600_NS6detail15normal_iteratorINSC_10device_ptrIKxEEEESI_EEEEESK_NSA_INS5_IJNSE_INSF_IxEEEESM_EEEEEPS7_SP_SP_NSC_11hip_rocprim7__merge17predicate_wrapperIxxNSC_7greaterIxEEEEEE10hipError_tPvRmT0_T1_T2_T3_T4_T5_mmT6_P12ihipStream_tbEUlT_E0_NS1_11comp_targetILNS1_3genE10ELNS1_11target_archE1200ELNS1_3gpuE4ELNS1_3repE0EEENS1_30default_config_static_selectorELNS0_4arch9wavefront6targetE0EEEvS10_.has_indirect_call, 0
	.section	.AMDGPU.csdata,"",@progbits
; Kernel info:
; codeLenInByte = 0
; TotalNumSgprs: 0
; NumVgprs: 0
; ScratchSize: 0
; MemoryBound: 0
; FloatMode: 240
; IeeeMode: 1
; LDSByteSize: 0 bytes/workgroup (compile time only)
; SGPRBlocks: 0
; VGPRBlocks: 0
; NumSGPRsForWavesPerEU: 1
; NumVGPRsForWavesPerEU: 1
; NamedBarCnt: 0
; Occupancy: 16
; WaveLimiterHint : 0
; COMPUTE_PGM_RSRC2:SCRATCH_EN: 0
; COMPUTE_PGM_RSRC2:USER_SGPR: 2
; COMPUTE_PGM_RSRC2:TRAP_HANDLER: 0
; COMPUTE_PGM_RSRC2:TGID_X_EN: 1
; COMPUTE_PGM_RSRC2:TGID_Y_EN: 0
; COMPUTE_PGM_RSRC2:TGID_Z_EN: 0
; COMPUTE_PGM_RSRC2:TIDIG_COMP_CNT: 0
	.section	.text._ZN7rocprim17ROCPRIM_400000_NS6detail17trampoline_kernelINS0_14default_configENS1_21merge_config_selectorINS0_5tupleIJxxEEENS0_10empty_typeEEEZNS1_10merge_implIS3_NS0_12zip_iteratorINS5_IJN6thrust23THRUST_200600_302600_NS6detail15normal_iteratorINSC_10device_ptrIKxEEEESI_EEEEESK_NSA_INS5_IJNSE_INSF_IxEEEESM_EEEEEPS7_SP_SP_NSC_11hip_rocprim7__merge17predicate_wrapperIxxNSC_7greaterIxEEEEEE10hipError_tPvRmT0_T1_T2_T3_T4_T5_mmT6_P12ihipStream_tbEUlT_E0_NS1_11comp_targetILNS1_3genE9ELNS1_11target_archE1100ELNS1_3gpuE3ELNS1_3repE0EEENS1_30default_config_static_selectorELNS0_4arch9wavefront6targetE0EEEvS10_,"axG",@progbits,_ZN7rocprim17ROCPRIM_400000_NS6detail17trampoline_kernelINS0_14default_configENS1_21merge_config_selectorINS0_5tupleIJxxEEENS0_10empty_typeEEEZNS1_10merge_implIS3_NS0_12zip_iteratorINS5_IJN6thrust23THRUST_200600_302600_NS6detail15normal_iteratorINSC_10device_ptrIKxEEEESI_EEEEESK_NSA_INS5_IJNSE_INSF_IxEEEESM_EEEEEPS7_SP_SP_NSC_11hip_rocprim7__merge17predicate_wrapperIxxNSC_7greaterIxEEEEEE10hipError_tPvRmT0_T1_T2_T3_T4_T5_mmT6_P12ihipStream_tbEUlT_E0_NS1_11comp_targetILNS1_3genE9ELNS1_11target_archE1100ELNS1_3gpuE3ELNS1_3repE0EEENS1_30default_config_static_selectorELNS0_4arch9wavefront6targetE0EEEvS10_,comdat
	.protected	_ZN7rocprim17ROCPRIM_400000_NS6detail17trampoline_kernelINS0_14default_configENS1_21merge_config_selectorINS0_5tupleIJxxEEENS0_10empty_typeEEEZNS1_10merge_implIS3_NS0_12zip_iteratorINS5_IJN6thrust23THRUST_200600_302600_NS6detail15normal_iteratorINSC_10device_ptrIKxEEEESI_EEEEESK_NSA_INS5_IJNSE_INSF_IxEEEESM_EEEEEPS7_SP_SP_NSC_11hip_rocprim7__merge17predicate_wrapperIxxNSC_7greaterIxEEEEEE10hipError_tPvRmT0_T1_T2_T3_T4_T5_mmT6_P12ihipStream_tbEUlT_E0_NS1_11comp_targetILNS1_3genE9ELNS1_11target_archE1100ELNS1_3gpuE3ELNS1_3repE0EEENS1_30default_config_static_selectorELNS0_4arch9wavefront6targetE0EEEvS10_ ; -- Begin function _ZN7rocprim17ROCPRIM_400000_NS6detail17trampoline_kernelINS0_14default_configENS1_21merge_config_selectorINS0_5tupleIJxxEEENS0_10empty_typeEEEZNS1_10merge_implIS3_NS0_12zip_iteratorINS5_IJN6thrust23THRUST_200600_302600_NS6detail15normal_iteratorINSC_10device_ptrIKxEEEESI_EEEEESK_NSA_INS5_IJNSE_INSF_IxEEEESM_EEEEEPS7_SP_SP_NSC_11hip_rocprim7__merge17predicate_wrapperIxxNSC_7greaterIxEEEEEE10hipError_tPvRmT0_T1_T2_T3_T4_T5_mmT6_P12ihipStream_tbEUlT_E0_NS1_11comp_targetILNS1_3genE9ELNS1_11target_archE1100ELNS1_3gpuE3ELNS1_3repE0EEENS1_30default_config_static_selectorELNS0_4arch9wavefront6targetE0EEEvS10_
	.globl	_ZN7rocprim17ROCPRIM_400000_NS6detail17trampoline_kernelINS0_14default_configENS1_21merge_config_selectorINS0_5tupleIJxxEEENS0_10empty_typeEEEZNS1_10merge_implIS3_NS0_12zip_iteratorINS5_IJN6thrust23THRUST_200600_302600_NS6detail15normal_iteratorINSC_10device_ptrIKxEEEESI_EEEEESK_NSA_INS5_IJNSE_INSF_IxEEEESM_EEEEEPS7_SP_SP_NSC_11hip_rocprim7__merge17predicate_wrapperIxxNSC_7greaterIxEEEEEE10hipError_tPvRmT0_T1_T2_T3_T4_T5_mmT6_P12ihipStream_tbEUlT_E0_NS1_11comp_targetILNS1_3genE9ELNS1_11target_archE1100ELNS1_3gpuE3ELNS1_3repE0EEENS1_30default_config_static_selectorELNS0_4arch9wavefront6targetE0EEEvS10_
	.p2align	8
	.type	_ZN7rocprim17ROCPRIM_400000_NS6detail17trampoline_kernelINS0_14default_configENS1_21merge_config_selectorINS0_5tupleIJxxEEENS0_10empty_typeEEEZNS1_10merge_implIS3_NS0_12zip_iteratorINS5_IJN6thrust23THRUST_200600_302600_NS6detail15normal_iteratorINSC_10device_ptrIKxEEEESI_EEEEESK_NSA_INS5_IJNSE_INSF_IxEEEESM_EEEEEPS7_SP_SP_NSC_11hip_rocprim7__merge17predicate_wrapperIxxNSC_7greaterIxEEEEEE10hipError_tPvRmT0_T1_T2_T3_T4_T5_mmT6_P12ihipStream_tbEUlT_E0_NS1_11comp_targetILNS1_3genE9ELNS1_11target_archE1100ELNS1_3gpuE3ELNS1_3repE0EEENS1_30default_config_static_selectorELNS0_4arch9wavefront6targetE0EEEvS10_,@function
_ZN7rocprim17ROCPRIM_400000_NS6detail17trampoline_kernelINS0_14default_configENS1_21merge_config_selectorINS0_5tupleIJxxEEENS0_10empty_typeEEEZNS1_10merge_implIS3_NS0_12zip_iteratorINS5_IJN6thrust23THRUST_200600_302600_NS6detail15normal_iteratorINSC_10device_ptrIKxEEEESI_EEEEESK_NSA_INS5_IJNSE_INSF_IxEEEESM_EEEEEPS7_SP_SP_NSC_11hip_rocprim7__merge17predicate_wrapperIxxNSC_7greaterIxEEEEEE10hipError_tPvRmT0_T1_T2_T3_T4_T5_mmT6_P12ihipStream_tbEUlT_E0_NS1_11comp_targetILNS1_3genE9ELNS1_11target_archE1100ELNS1_3gpuE3ELNS1_3repE0EEENS1_30default_config_static_selectorELNS0_4arch9wavefront6targetE0EEEvS10_: ; @_ZN7rocprim17ROCPRIM_400000_NS6detail17trampoline_kernelINS0_14default_configENS1_21merge_config_selectorINS0_5tupleIJxxEEENS0_10empty_typeEEEZNS1_10merge_implIS3_NS0_12zip_iteratorINS5_IJN6thrust23THRUST_200600_302600_NS6detail15normal_iteratorINSC_10device_ptrIKxEEEESI_EEEEESK_NSA_INS5_IJNSE_INSF_IxEEEESM_EEEEEPS7_SP_SP_NSC_11hip_rocprim7__merge17predicate_wrapperIxxNSC_7greaterIxEEEEEE10hipError_tPvRmT0_T1_T2_T3_T4_T5_mmT6_P12ihipStream_tbEUlT_E0_NS1_11comp_targetILNS1_3genE9ELNS1_11target_archE1100ELNS1_3gpuE3ELNS1_3repE0EEENS1_30default_config_static_selectorELNS0_4arch9wavefront6targetE0EEEvS10_
; %bb.0:
	.section	.rodata,"a",@progbits
	.p2align	6, 0x0
	.amdhsa_kernel _ZN7rocprim17ROCPRIM_400000_NS6detail17trampoline_kernelINS0_14default_configENS1_21merge_config_selectorINS0_5tupleIJxxEEENS0_10empty_typeEEEZNS1_10merge_implIS3_NS0_12zip_iteratorINS5_IJN6thrust23THRUST_200600_302600_NS6detail15normal_iteratorINSC_10device_ptrIKxEEEESI_EEEEESK_NSA_INS5_IJNSE_INSF_IxEEEESM_EEEEEPS7_SP_SP_NSC_11hip_rocprim7__merge17predicate_wrapperIxxNSC_7greaterIxEEEEEE10hipError_tPvRmT0_T1_T2_T3_T4_T5_mmT6_P12ihipStream_tbEUlT_E0_NS1_11comp_targetILNS1_3genE9ELNS1_11target_archE1100ELNS1_3gpuE3ELNS1_3repE0EEENS1_30default_config_static_selectorELNS0_4arch9wavefront6targetE0EEEvS10_
		.amdhsa_group_segment_fixed_size 0
		.amdhsa_private_segment_fixed_size 0
		.amdhsa_kernarg_size 112
		.amdhsa_user_sgpr_count 2
		.amdhsa_user_sgpr_dispatch_ptr 0
		.amdhsa_user_sgpr_queue_ptr 0
		.amdhsa_user_sgpr_kernarg_segment_ptr 1
		.amdhsa_user_sgpr_dispatch_id 0
		.amdhsa_user_sgpr_kernarg_preload_length 0
		.amdhsa_user_sgpr_kernarg_preload_offset 0
		.amdhsa_user_sgpr_private_segment_size 0
		.amdhsa_wavefront_size32 1
		.amdhsa_uses_dynamic_stack 0
		.amdhsa_enable_private_segment 0
		.amdhsa_system_sgpr_workgroup_id_x 1
		.amdhsa_system_sgpr_workgroup_id_y 0
		.amdhsa_system_sgpr_workgroup_id_z 0
		.amdhsa_system_sgpr_workgroup_info 0
		.amdhsa_system_vgpr_workitem_id 0
		.amdhsa_next_free_vgpr 1
		.amdhsa_next_free_sgpr 1
		.amdhsa_named_barrier_count 0
		.amdhsa_reserve_vcc 0
		.amdhsa_float_round_mode_32 0
		.amdhsa_float_round_mode_16_64 0
		.amdhsa_float_denorm_mode_32 3
		.amdhsa_float_denorm_mode_16_64 3
		.amdhsa_fp16_overflow 0
		.amdhsa_memory_ordered 1
		.amdhsa_forward_progress 1
		.amdhsa_inst_pref_size 0
		.amdhsa_round_robin_scheduling 0
		.amdhsa_exception_fp_ieee_invalid_op 0
		.amdhsa_exception_fp_denorm_src 0
		.amdhsa_exception_fp_ieee_div_zero 0
		.amdhsa_exception_fp_ieee_overflow 0
		.amdhsa_exception_fp_ieee_underflow 0
		.amdhsa_exception_fp_ieee_inexact 0
		.amdhsa_exception_int_div_zero 0
	.end_amdhsa_kernel
	.section	.text._ZN7rocprim17ROCPRIM_400000_NS6detail17trampoline_kernelINS0_14default_configENS1_21merge_config_selectorINS0_5tupleIJxxEEENS0_10empty_typeEEEZNS1_10merge_implIS3_NS0_12zip_iteratorINS5_IJN6thrust23THRUST_200600_302600_NS6detail15normal_iteratorINSC_10device_ptrIKxEEEESI_EEEEESK_NSA_INS5_IJNSE_INSF_IxEEEESM_EEEEEPS7_SP_SP_NSC_11hip_rocprim7__merge17predicate_wrapperIxxNSC_7greaterIxEEEEEE10hipError_tPvRmT0_T1_T2_T3_T4_T5_mmT6_P12ihipStream_tbEUlT_E0_NS1_11comp_targetILNS1_3genE9ELNS1_11target_archE1100ELNS1_3gpuE3ELNS1_3repE0EEENS1_30default_config_static_selectorELNS0_4arch9wavefront6targetE0EEEvS10_,"axG",@progbits,_ZN7rocprim17ROCPRIM_400000_NS6detail17trampoline_kernelINS0_14default_configENS1_21merge_config_selectorINS0_5tupleIJxxEEENS0_10empty_typeEEEZNS1_10merge_implIS3_NS0_12zip_iteratorINS5_IJN6thrust23THRUST_200600_302600_NS6detail15normal_iteratorINSC_10device_ptrIKxEEEESI_EEEEESK_NSA_INS5_IJNSE_INSF_IxEEEESM_EEEEEPS7_SP_SP_NSC_11hip_rocprim7__merge17predicate_wrapperIxxNSC_7greaterIxEEEEEE10hipError_tPvRmT0_T1_T2_T3_T4_T5_mmT6_P12ihipStream_tbEUlT_E0_NS1_11comp_targetILNS1_3genE9ELNS1_11target_archE1100ELNS1_3gpuE3ELNS1_3repE0EEENS1_30default_config_static_selectorELNS0_4arch9wavefront6targetE0EEEvS10_,comdat
.Lfunc_end423:
	.size	_ZN7rocprim17ROCPRIM_400000_NS6detail17trampoline_kernelINS0_14default_configENS1_21merge_config_selectorINS0_5tupleIJxxEEENS0_10empty_typeEEEZNS1_10merge_implIS3_NS0_12zip_iteratorINS5_IJN6thrust23THRUST_200600_302600_NS6detail15normal_iteratorINSC_10device_ptrIKxEEEESI_EEEEESK_NSA_INS5_IJNSE_INSF_IxEEEESM_EEEEEPS7_SP_SP_NSC_11hip_rocprim7__merge17predicate_wrapperIxxNSC_7greaterIxEEEEEE10hipError_tPvRmT0_T1_T2_T3_T4_T5_mmT6_P12ihipStream_tbEUlT_E0_NS1_11comp_targetILNS1_3genE9ELNS1_11target_archE1100ELNS1_3gpuE3ELNS1_3repE0EEENS1_30default_config_static_selectorELNS0_4arch9wavefront6targetE0EEEvS10_, .Lfunc_end423-_ZN7rocprim17ROCPRIM_400000_NS6detail17trampoline_kernelINS0_14default_configENS1_21merge_config_selectorINS0_5tupleIJxxEEENS0_10empty_typeEEEZNS1_10merge_implIS3_NS0_12zip_iteratorINS5_IJN6thrust23THRUST_200600_302600_NS6detail15normal_iteratorINSC_10device_ptrIKxEEEESI_EEEEESK_NSA_INS5_IJNSE_INSF_IxEEEESM_EEEEEPS7_SP_SP_NSC_11hip_rocprim7__merge17predicate_wrapperIxxNSC_7greaterIxEEEEEE10hipError_tPvRmT0_T1_T2_T3_T4_T5_mmT6_P12ihipStream_tbEUlT_E0_NS1_11comp_targetILNS1_3genE9ELNS1_11target_archE1100ELNS1_3gpuE3ELNS1_3repE0EEENS1_30default_config_static_selectorELNS0_4arch9wavefront6targetE0EEEvS10_
                                        ; -- End function
	.set _ZN7rocprim17ROCPRIM_400000_NS6detail17trampoline_kernelINS0_14default_configENS1_21merge_config_selectorINS0_5tupleIJxxEEENS0_10empty_typeEEEZNS1_10merge_implIS3_NS0_12zip_iteratorINS5_IJN6thrust23THRUST_200600_302600_NS6detail15normal_iteratorINSC_10device_ptrIKxEEEESI_EEEEESK_NSA_INS5_IJNSE_INSF_IxEEEESM_EEEEEPS7_SP_SP_NSC_11hip_rocprim7__merge17predicate_wrapperIxxNSC_7greaterIxEEEEEE10hipError_tPvRmT0_T1_T2_T3_T4_T5_mmT6_P12ihipStream_tbEUlT_E0_NS1_11comp_targetILNS1_3genE9ELNS1_11target_archE1100ELNS1_3gpuE3ELNS1_3repE0EEENS1_30default_config_static_selectorELNS0_4arch9wavefront6targetE0EEEvS10_.num_vgpr, 0
	.set _ZN7rocprim17ROCPRIM_400000_NS6detail17trampoline_kernelINS0_14default_configENS1_21merge_config_selectorINS0_5tupleIJxxEEENS0_10empty_typeEEEZNS1_10merge_implIS3_NS0_12zip_iteratorINS5_IJN6thrust23THRUST_200600_302600_NS6detail15normal_iteratorINSC_10device_ptrIKxEEEESI_EEEEESK_NSA_INS5_IJNSE_INSF_IxEEEESM_EEEEEPS7_SP_SP_NSC_11hip_rocprim7__merge17predicate_wrapperIxxNSC_7greaterIxEEEEEE10hipError_tPvRmT0_T1_T2_T3_T4_T5_mmT6_P12ihipStream_tbEUlT_E0_NS1_11comp_targetILNS1_3genE9ELNS1_11target_archE1100ELNS1_3gpuE3ELNS1_3repE0EEENS1_30default_config_static_selectorELNS0_4arch9wavefront6targetE0EEEvS10_.num_agpr, 0
	.set _ZN7rocprim17ROCPRIM_400000_NS6detail17trampoline_kernelINS0_14default_configENS1_21merge_config_selectorINS0_5tupleIJxxEEENS0_10empty_typeEEEZNS1_10merge_implIS3_NS0_12zip_iteratorINS5_IJN6thrust23THRUST_200600_302600_NS6detail15normal_iteratorINSC_10device_ptrIKxEEEESI_EEEEESK_NSA_INS5_IJNSE_INSF_IxEEEESM_EEEEEPS7_SP_SP_NSC_11hip_rocprim7__merge17predicate_wrapperIxxNSC_7greaterIxEEEEEE10hipError_tPvRmT0_T1_T2_T3_T4_T5_mmT6_P12ihipStream_tbEUlT_E0_NS1_11comp_targetILNS1_3genE9ELNS1_11target_archE1100ELNS1_3gpuE3ELNS1_3repE0EEENS1_30default_config_static_selectorELNS0_4arch9wavefront6targetE0EEEvS10_.numbered_sgpr, 0
	.set _ZN7rocprim17ROCPRIM_400000_NS6detail17trampoline_kernelINS0_14default_configENS1_21merge_config_selectorINS0_5tupleIJxxEEENS0_10empty_typeEEEZNS1_10merge_implIS3_NS0_12zip_iteratorINS5_IJN6thrust23THRUST_200600_302600_NS6detail15normal_iteratorINSC_10device_ptrIKxEEEESI_EEEEESK_NSA_INS5_IJNSE_INSF_IxEEEESM_EEEEEPS7_SP_SP_NSC_11hip_rocprim7__merge17predicate_wrapperIxxNSC_7greaterIxEEEEEE10hipError_tPvRmT0_T1_T2_T3_T4_T5_mmT6_P12ihipStream_tbEUlT_E0_NS1_11comp_targetILNS1_3genE9ELNS1_11target_archE1100ELNS1_3gpuE3ELNS1_3repE0EEENS1_30default_config_static_selectorELNS0_4arch9wavefront6targetE0EEEvS10_.num_named_barrier, 0
	.set _ZN7rocprim17ROCPRIM_400000_NS6detail17trampoline_kernelINS0_14default_configENS1_21merge_config_selectorINS0_5tupleIJxxEEENS0_10empty_typeEEEZNS1_10merge_implIS3_NS0_12zip_iteratorINS5_IJN6thrust23THRUST_200600_302600_NS6detail15normal_iteratorINSC_10device_ptrIKxEEEESI_EEEEESK_NSA_INS5_IJNSE_INSF_IxEEEESM_EEEEEPS7_SP_SP_NSC_11hip_rocprim7__merge17predicate_wrapperIxxNSC_7greaterIxEEEEEE10hipError_tPvRmT0_T1_T2_T3_T4_T5_mmT6_P12ihipStream_tbEUlT_E0_NS1_11comp_targetILNS1_3genE9ELNS1_11target_archE1100ELNS1_3gpuE3ELNS1_3repE0EEENS1_30default_config_static_selectorELNS0_4arch9wavefront6targetE0EEEvS10_.private_seg_size, 0
	.set _ZN7rocprim17ROCPRIM_400000_NS6detail17trampoline_kernelINS0_14default_configENS1_21merge_config_selectorINS0_5tupleIJxxEEENS0_10empty_typeEEEZNS1_10merge_implIS3_NS0_12zip_iteratorINS5_IJN6thrust23THRUST_200600_302600_NS6detail15normal_iteratorINSC_10device_ptrIKxEEEESI_EEEEESK_NSA_INS5_IJNSE_INSF_IxEEEESM_EEEEEPS7_SP_SP_NSC_11hip_rocprim7__merge17predicate_wrapperIxxNSC_7greaterIxEEEEEE10hipError_tPvRmT0_T1_T2_T3_T4_T5_mmT6_P12ihipStream_tbEUlT_E0_NS1_11comp_targetILNS1_3genE9ELNS1_11target_archE1100ELNS1_3gpuE3ELNS1_3repE0EEENS1_30default_config_static_selectorELNS0_4arch9wavefront6targetE0EEEvS10_.uses_vcc, 0
	.set _ZN7rocprim17ROCPRIM_400000_NS6detail17trampoline_kernelINS0_14default_configENS1_21merge_config_selectorINS0_5tupleIJxxEEENS0_10empty_typeEEEZNS1_10merge_implIS3_NS0_12zip_iteratorINS5_IJN6thrust23THRUST_200600_302600_NS6detail15normal_iteratorINSC_10device_ptrIKxEEEESI_EEEEESK_NSA_INS5_IJNSE_INSF_IxEEEESM_EEEEEPS7_SP_SP_NSC_11hip_rocprim7__merge17predicate_wrapperIxxNSC_7greaterIxEEEEEE10hipError_tPvRmT0_T1_T2_T3_T4_T5_mmT6_P12ihipStream_tbEUlT_E0_NS1_11comp_targetILNS1_3genE9ELNS1_11target_archE1100ELNS1_3gpuE3ELNS1_3repE0EEENS1_30default_config_static_selectorELNS0_4arch9wavefront6targetE0EEEvS10_.uses_flat_scratch, 0
	.set _ZN7rocprim17ROCPRIM_400000_NS6detail17trampoline_kernelINS0_14default_configENS1_21merge_config_selectorINS0_5tupleIJxxEEENS0_10empty_typeEEEZNS1_10merge_implIS3_NS0_12zip_iteratorINS5_IJN6thrust23THRUST_200600_302600_NS6detail15normal_iteratorINSC_10device_ptrIKxEEEESI_EEEEESK_NSA_INS5_IJNSE_INSF_IxEEEESM_EEEEEPS7_SP_SP_NSC_11hip_rocprim7__merge17predicate_wrapperIxxNSC_7greaterIxEEEEEE10hipError_tPvRmT0_T1_T2_T3_T4_T5_mmT6_P12ihipStream_tbEUlT_E0_NS1_11comp_targetILNS1_3genE9ELNS1_11target_archE1100ELNS1_3gpuE3ELNS1_3repE0EEENS1_30default_config_static_selectorELNS0_4arch9wavefront6targetE0EEEvS10_.has_dyn_sized_stack, 0
	.set _ZN7rocprim17ROCPRIM_400000_NS6detail17trampoline_kernelINS0_14default_configENS1_21merge_config_selectorINS0_5tupleIJxxEEENS0_10empty_typeEEEZNS1_10merge_implIS3_NS0_12zip_iteratorINS5_IJN6thrust23THRUST_200600_302600_NS6detail15normal_iteratorINSC_10device_ptrIKxEEEESI_EEEEESK_NSA_INS5_IJNSE_INSF_IxEEEESM_EEEEEPS7_SP_SP_NSC_11hip_rocprim7__merge17predicate_wrapperIxxNSC_7greaterIxEEEEEE10hipError_tPvRmT0_T1_T2_T3_T4_T5_mmT6_P12ihipStream_tbEUlT_E0_NS1_11comp_targetILNS1_3genE9ELNS1_11target_archE1100ELNS1_3gpuE3ELNS1_3repE0EEENS1_30default_config_static_selectorELNS0_4arch9wavefront6targetE0EEEvS10_.has_recursion, 0
	.set _ZN7rocprim17ROCPRIM_400000_NS6detail17trampoline_kernelINS0_14default_configENS1_21merge_config_selectorINS0_5tupleIJxxEEENS0_10empty_typeEEEZNS1_10merge_implIS3_NS0_12zip_iteratorINS5_IJN6thrust23THRUST_200600_302600_NS6detail15normal_iteratorINSC_10device_ptrIKxEEEESI_EEEEESK_NSA_INS5_IJNSE_INSF_IxEEEESM_EEEEEPS7_SP_SP_NSC_11hip_rocprim7__merge17predicate_wrapperIxxNSC_7greaterIxEEEEEE10hipError_tPvRmT0_T1_T2_T3_T4_T5_mmT6_P12ihipStream_tbEUlT_E0_NS1_11comp_targetILNS1_3genE9ELNS1_11target_archE1100ELNS1_3gpuE3ELNS1_3repE0EEENS1_30default_config_static_selectorELNS0_4arch9wavefront6targetE0EEEvS10_.has_indirect_call, 0
	.section	.AMDGPU.csdata,"",@progbits
; Kernel info:
; codeLenInByte = 0
; TotalNumSgprs: 0
; NumVgprs: 0
; ScratchSize: 0
; MemoryBound: 0
; FloatMode: 240
; IeeeMode: 1
; LDSByteSize: 0 bytes/workgroup (compile time only)
; SGPRBlocks: 0
; VGPRBlocks: 0
; NumSGPRsForWavesPerEU: 1
; NumVGPRsForWavesPerEU: 1
; NamedBarCnt: 0
; Occupancy: 16
; WaveLimiterHint : 0
; COMPUTE_PGM_RSRC2:SCRATCH_EN: 0
; COMPUTE_PGM_RSRC2:USER_SGPR: 2
; COMPUTE_PGM_RSRC2:TRAP_HANDLER: 0
; COMPUTE_PGM_RSRC2:TGID_X_EN: 1
; COMPUTE_PGM_RSRC2:TGID_Y_EN: 0
; COMPUTE_PGM_RSRC2:TGID_Z_EN: 0
; COMPUTE_PGM_RSRC2:TIDIG_COMP_CNT: 0
	.section	.text._ZN7rocprim17ROCPRIM_400000_NS6detail17trampoline_kernelINS0_14default_configENS1_21merge_config_selectorINS0_5tupleIJxxEEENS0_10empty_typeEEEZNS1_10merge_implIS3_NS0_12zip_iteratorINS5_IJN6thrust23THRUST_200600_302600_NS6detail15normal_iteratorINSC_10device_ptrIKxEEEESI_EEEEESK_NSA_INS5_IJNSE_INSF_IxEEEESM_EEEEEPS7_SP_SP_NSC_11hip_rocprim7__merge17predicate_wrapperIxxNSC_7greaterIxEEEEEE10hipError_tPvRmT0_T1_T2_T3_T4_T5_mmT6_P12ihipStream_tbEUlT_E0_NS1_11comp_targetILNS1_3genE8ELNS1_11target_archE1030ELNS1_3gpuE2ELNS1_3repE0EEENS1_30default_config_static_selectorELNS0_4arch9wavefront6targetE0EEEvS10_,"axG",@progbits,_ZN7rocprim17ROCPRIM_400000_NS6detail17trampoline_kernelINS0_14default_configENS1_21merge_config_selectorINS0_5tupleIJxxEEENS0_10empty_typeEEEZNS1_10merge_implIS3_NS0_12zip_iteratorINS5_IJN6thrust23THRUST_200600_302600_NS6detail15normal_iteratorINSC_10device_ptrIKxEEEESI_EEEEESK_NSA_INS5_IJNSE_INSF_IxEEEESM_EEEEEPS7_SP_SP_NSC_11hip_rocprim7__merge17predicate_wrapperIxxNSC_7greaterIxEEEEEE10hipError_tPvRmT0_T1_T2_T3_T4_T5_mmT6_P12ihipStream_tbEUlT_E0_NS1_11comp_targetILNS1_3genE8ELNS1_11target_archE1030ELNS1_3gpuE2ELNS1_3repE0EEENS1_30default_config_static_selectorELNS0_4arch9wavefront6targetE0EEEvS10_,comdat
	.protected	_ZN7rocprim17ROCPRIM_400000_NS6detail17trampoline_kernelINS0_14default_configENS1_21merge_config_selectorINS0_5tupleIJxxEEENS0_10empty_typeEEEZNS1_10merge_implIS3_NS0_12zip_iteratorINS5_IJN6thrust23THRUST_200600_302600_NS6detail15normal_iteratorINSC_10device_ptrIKxEEEESI_EEEEESK_NSA_INS5_IJNSE_INSF_IxEEEESM_EEEEEPS7_SP_SP_NSC_11hip_rocprim7__merge17predicate_wrapperIxxNSC_7greaterIxEEEEEE10hipError_tPvRmT0_T1_T2_T3_T4_T5_mmT6_P12ihipStream_tbEUlT_E0_NS1_11comp_targetILNS1_3genE8ELNS1_11target_archE1030ELNS1_3gpuE2ELNS1_3repE0EEENS1_30default_config_static_selectorELNS0_4arch9wavefront6targetE0EEEvS10_ ; -- Begin function _ZN7rocprim17ROCPRIM_400000_NS6detail17trampoline_kernelINS0_14default_configENS1_21merge_config_selectorINS0_5tupleIJxxEEENS0_10empty_typeEEEZNS1_10merge_implIS3_NS0_12zip_iteratorINS5_IJN6thrust23THRUST_200600_302600_NS6detail15normal_iteratorINSC_10device_ptrIKxEEEESI_EEEEESK_NSA_INS5_IJNSE_INSF_IxEEEESM_EEEEEPS7_SP_SP_NSC_11hip_rocprim7__merge17predicate_wrapperIxxNSC_7greaterIxEEEEEE10hipError_tPvRmT0_T1_T2_T3_T4_T5_mmT6_P12ihipStream_tbEUlT_E0_NS1_11comp_targetILNS1_3genE8ELNS1_11target_archE1030ELNS1_3gpuE2ELNS1_3repE0EEENS1_30default_config_static_selectorELNS0_4arch9wavefront6targetE0EEEvS10_
	.globl	_ZN7rocprim17ROCPRIM_400000_NS6detail17trampoline_kernelINS0_14default_configENS1_21merge_config_selectorINS0_5tupleIJxxEEENS0_10empty_typeEEEZNS1_10merge_implIS3_NS0_12zip_iteratorINS5_IJN6thrust23THRUST_200600_302600_NS6detail15normal_iteratorINSC_10device_ptrIKxEEEESI_EEEEESK_NSA_INS5_IJNSE_INSF_IxEEEESM_EEEEEPS7_SP_SP_NSC_11hip_rocprim7__merge17predicate_wrapperIxxNSC_7greaterIxEEEEEE10hipError_tPvRmT0_T1_T2_T3_T4_T5_mmT6_P12ihipStream_tbEUlT_E0_NS1_11comp_targetILNS1_3genE8ELNS1_11target_archE1030ELNS1_3gpuE2ELNS1_3repE0EEENS1_30default_config_static_selectorELNS0_4arch9wavefront6targetE0EEEvS10_
	.p2align	8
	.type	_ZN7rocprim17ROCPRIM_400000_NS6detail17trampoline_kernelINS0_14default_configENS1_21merge_config_selectorINS0_5tupleIJxxEEENS0_10empty_typeEEEZNS1_10merge_implIS3_NS0_12zip_iteratorINS5_IJN6thrust23THRUST_200600_302600_NS6detail15normal_iteratorINSC_10device_ptrIKxEEEESI_EEEEESK_NSA_INS5_IJNSE_INSF_IxEEEESM_EEEEEPS7_SP_SP_NSC_11hip_rocprim7__merge17predicate_wrapperIxxNSC_7greaterIxEEEEEE10hipError_tPvRmT0_T1_T2_T3_T4_T5_mmT6_P12ihipStream_tbEUlT_E0_NS1_11comp_targetILNS1_3genE8ELNS1_11target_archE1030ELNS1_3gpuE2ELNS1_3repE0EEENS1_30default_config_static_selectorELNS0_4arch9wavefront6targetE0EEEvS10_,@function
_ZN7rocprim17ROCPRIM_400000_NS6detail17trampoline_kernelINS0_14default_configENS1_21merge_config_selectorINS0_5tupleIJxxEEENS0_10empty_typeEEEZNS1_10merge_implIS3_NS0_12zip_iteratorINS5_IJN6thrust23THRUST_200600_302600_NS6detail15normal_iteratorINSC_10device_ptrIKxEEEESI_EEEEESK_NSA_INS5_IJNSE_INSF_IxEEEESM_EEEEEPS7_SP_SP_NSC_11hip_rocprim7__merge17predicate_wrapperIxxNSC_7greaterIxEEEEEE10hipError_tPvRmT0_T1_T2_T3_T4_T5_mmT6_P12ihipStream_tbEUlT_E0_NS1_11comp_targetILNS1_3genE8ELNS1_11target_archE1030ELNS1_3gpuE2ELNS1_3repE0EEENS1_30default_config_static_selectorELNS0_4arch9wavefront6targetE0EEEvS10_: ; @_ZN7rocprim17ROCPRIM_400000_NS6detail17trampoline_kernelINS0_14default_configENS1_21merge_config_selectorINS0_5tupleIJxxEEENS0_10empty_typeEEEZNS1_10merge_implIS3_NS0_12zip_iteratorINS5_IJN6thrust23THRUST_200600_302600_NS6detail15normal_iteratorINSC_10device_ptrIKxEEEESI_EEEEESK_NSA_INS5_IJNSE_INSF_IxEEEESM_EEEEEPS7_SP_SP_NSC_11hip_rocprim7__merge17predicate_wrapperIxxNSC_7greaterIxEEEEEE10hipError_tPvRmT0_T1_T2_T3_T4_T5_mmT6_P12ihipStream_tbEUlT_E0_NS1_11comp_targetILNS1_3genE8ELNS1_11target_archE1030ELNS1_3gpuE2ELNS1_3repE0EEENS1_30default_config_static_selectorELNS0_4arch9wavefront6targetE0EEEvS10_
; %bb.0:
	.section	.rodata,"a",@progbits
	.p2align	6, 0x0
	.amdhsa_kernel _ZN7rocprim17ROCPRIM_400000_NS6detail17trampoline_kernelINS0_14default_configENS1_21merge_config_selectorINS0_5tupleIJxxEEENS0_10empty_typeEEEZNS1_10merge_implIS3_NS0_12zip_iteratorINS5_IJN6thrust23THRUST_200600_302600_NS6detail15normal_iteratorINSC_10device_ptrIKxEEEESI_EEEEESK_NSA_INS5_IJNSE_INSF_IxEEEESM_EEEEEPS7_SP_SP_NSC_11hip_rocprim7__merge17predicate_wrapperIxxNSC_7greaterIxEEEEEE10hipError_tPvRmT0_T1_T2_T3_T4_T5_mmT6_P12ihipStream_tbEUlT_E0_NS1_11comp_targetILNS1_3genE8ELNS1_11target_archE1030ELNS1_3gpuE2ELNS1_3repE0EEENS1_30default_config_static_selectorELNS0_4arch9wavefront6targetE0EEEvS10_
		.amdhsa_group_segment_fixed_size 0
		.amdhsa_private_segment_fixed_size 0
		.amdhsa_kernarg_size 112
		.amdhsa_user_sgpr_count 2
		.amdhsa_user_sgpr_dispatch_ptr 0
		.amdhsa_user_sgpr_queue_ptr 0
		.amdhsa_user_sgpr_kernarg_segment_ptr 1
		.amdhsa_user_sgpr_dispatch_id 0
		.amdhsa_user_sgpr_kernarg_preload_length 0
		.amdhsa_user_sgpr_kernarg_preload_offset 0
		.amdhsa_user_sgpr_private_segment_size 0
		.amdhsa_wavefront_size32 1
		.amdhsa_uses_dynamic_stack 0
		.amdhsa_enable_private_segment 0
		.amdhsa_system_sgpr_workgroup_id_x 1
		.amdhsa_system_sgpr_workgroup_id_y 0
		.amdhsa_system_sgpr_workgroup_id_z 0
		.amdhsa_system_sgpr_workgroup_info 0
		.amdhsa_system_vgpr_workitem_id 0
		.amdhsa_next_free_vgpr 1
		.amdhsa_next_free_sgpr 1
		.amdhsa_named_barrier_count 0
		.amdhsa_reserve_vcc 0
		.amdhsa_float_round_mode_32 0
		.amdhsa_float_round_mode_16_64 0
		.amdhsa_float_denorm_mode_32 3
		.amdhsa_float_denorm_mode_16_64 3
		.amdhsa_fp16_overflow 0
		.amdhsa_memory_ordered 1
		.amdhsa_forward_progress 1
		.amdhsa_inst_pref_size 0
		.amdhsa_round_robin_scheduling 0
		.amdhsa_exception_fp_ieee_invalid_op 0
		.amdhsa_exception_fp_denorm_src 0
		.amdhsa_exception_fp_ieee_div_zero 0
		.amdhsa_exception_fp_ieee_overflow 0
		.amdhsa_exception_fp_ieee_underflow 0
		.amdhsa_exception_fp_ieee_inexact 0
		.amdhsa_exception_int_div_zero 0
	.end_amdhsa_kernel
	.section	.text._ZN7rocprim17ROCPRIM_400000_NS6detail17trampoline_kernelINS0_14default_configENS1_21merge_config_selectorINS0_5tupleIJxxEEENS0_10empty_typeEEEZNS1_10merge_implIS3_NS0_12zip_iteratorINS5_IJN6thrust23THRUST_200600_302600_NS6detail15normal_iteratorINSC_10device_ptrIKxEEEESI_EEEEESK_NSA_INS5_IJNSE_INSF_IxEEEESM_EEEEEPS7_SP_SP_NSC_11hip_rocprim7__merge17predicate_wrapperIxxNSC_7greaterIxEEEEEE10hipError_tPvRmT0_T1_T2_T3_T4_T5_mmT6_P12ihipStream_tbEUlT_E0_NS1_11comp_targetILNS1_3genE8ELNS1_11target_archE1030ELNS1_3gpuE2ELNS1_3repE0EEENS1_30default_config_static_selectorELNS0_4arch9wavefront6targetE0EEEvS10_,"axG",@progbits,_ZN7rocprim17ROCPRIM_400000_NS6detail17trampoline_kernelINS0_14default_configENS1_21merge_config_selectorINS0_5tupleIJxxEEENS0_10empty_typeEEEZNS1_10merge_implIS3_NS0_12zip_iteratorINS5_IJN6thrust23THRUST_200600_302600_NS6detail15normal_iteratorINSC_10device_ptrIKxEEEESI_EEEEESK_NSA_INS5_IJNSE_INSF_IxEEEESM_EEEEEPS7_SP_SP_NSC_11hip_rocprim7__merge17predicate_wrapperIxxNSC_7greaterIxEEEEEE10hipError_tPvRmT0_T1_T2_T3_T4_T5_mmT6_P12ihipStream_tbEUlT_E0_NS1_11comp_targetILNS1_3genE8ELNS1_11target_archE1030ELNS1_3gpuE2ELNS1_3repE0EEENS1_30default_config_static_selectorELNS0_4arch9wavefront6targetE0EEEvS10_,comdat
.Lfunc_end424:
	.size	_ZN7rocprim17ROCPRIM_400000_NS6detail17trampoline_kernelINS0_14default_configENS1_21merge_config_selectorINS0_5tupleIJxxEEENS0_10empty_typeEEEZNS1_10merge_implIS3_NS0_12zip_iteratorINS5_IJN6thrust23THRUST_200600_302600_NS6detail15normal_iteratorINSC_10device_ptrIKxEEEESI_EEEEESK_NSA_INS5_IJNSE_INSF_IxEEEESM_EEEEEPS7_SP_SP_NSC_11hip_rocprim7__merge17predicate_wrapperIxxNSC_7greaterIxEEEEEE10hipError_tPvRmT0_T1_T2_T3_T4_T5_mmT6_P12ihipStream_tbEUlT_E0_NS1_11comp_targetILNS1_3genE8ELNS1_11target_archE1030ELNS1_3gpuE2ELNS1_3repE0EEENS1_30default_config_static_selectorELNS0_4arch9wavefront6targetE0EEEvS10_, .Lfunc_end424-_ZN7rocprim17ROCPRIM_400000_NS6detail17trampoline_kernelINS0_14default_configENS1_21merge_config_selectorINS0_5tupleIJxxEEENS0_10empty_typeEEEZNS1_10merge_implIS3_NS0_12zip_iteratorINS5_IJN6thrust23THRUST_200600_302600_NS6detail15normal_iteratorINSC_10device_ptrIKxEEEESI_EEEEESK_NSA_INS5_IJNSE_INSF_IxEEEESM_EEEEEPS7_SP_SP_NSC_11hip_rocprim7__merge17predicate_wrapperIxxNSC_7greaterIxEEEEEE10hipError_tPvRmT0_T1_T2_T3_T4_T5_mmT6_P12ihipStream_tbEUlT_E0_NS1_11comp_targetILNS1_3genE8ELNS1_11target_archE1030ELNS1_3gpuE2ELNS1_3repE0EEENS1_30default_config_static_selectorELNS0_4arch9wavefront6targetE0EEEvS10_
                                        ; -- End function
	.set _ZN7rocprim17ROCPRIM_400000_NS6detail17trampoline_kernelINS0_14default_configENS1_21merge_config_selectorINS0_5tupleIJxxEEENS0_10empty_typeEEEZNS1_10merge_implIS3_NS0_12zip_iteratorINS5_IJN6thrust23THRUST_200600_302600_NS6detail15normal_iteratorINSC_10device_ptrIKxEEEESI_EEEEESK_NSA_INS5_IJNSE_INSF_IxEEEESM_EEEEEPS7_SP_SP_NSC_11hip_rocprim7__merge17predicate_wrapperIxxNSC_7greaterIxEEEEEE10hipError_tPvRmT0_T1_T2_T3_T4_T5_mmT6_P12ihipStream_tbEUlT_E0_NS1_11comp_targetILNS1_3genE8ELNS1_11target_archE1030ELNS1_3gpuE2ELNS1_3repE0EEENS1_30default_config_static_selectorELNS0_4arch9wavefront6targetE0EEEvS10_.num_vgpr, 0
	.set _ZN7rocprim17ROCPRIM_400000_NS6detail17trampoline_kernelINS0_14default_configENS1_21merge_config_selectorINS0_5tupleIJxxEEENS0_10empty_typeEEEZNS1_10merge_implIS3_NS0_12zip_iteratorINS5_IJN6thrust23THRUST_200600_302600_NS6detail15normal_iteratorINSC_10device_ptrIKxEEEESI_EEEEESK_NSA_INS5_IJNSE_INSF_IxEEEESM_EEEEEPS7_SP_SP_NSC_11hip_rocprim7__merge17predicate_wrapperIxxNSC_7greaterIxEEEEEE10hipError_tPvRmT0_T1_T2_T3_T4_T5_mmT6_P12ihipStream_tbEUlT_E0_NS1_11comp_targetILNS1_3genE8ELNS1_11target_archE1030ELNS1_3gpuE2ELNS1_3repE0EEENS1_30default_config_static_selectorELNS0_4arch9wavefront6targetE0EEEvS10_.num_agpr, 0
	.set _ZN7rocprim17ROCPRIM_400000_NS6detail17trampoline_kernelINS0_14default_configENS1_21merge_config_selectorINS0_5tupleIJxxEEENS0_10empty_typeEEEZNS1_10merge_implIS3_NS0_12zip_iteratorINS5_IJN6thrust23THRUST_200600_302600_NS6detail15normal_iteratorINSC_10device_ptrIKxEEEESI_EEEEESK_NSA_INS5_IJNSE_INSF_IxEEEESM_EEEEEPS7_SP_SP_NSC_11hip_rocprim7__merge17predicate_wrapperIxxNSC_7greaterIxEEEEEE10hipError_tPvRmT0_T1_T2_T3_T4_T5_mmT6_P12ihipStream_tbEUlT_E0_NS1_11comp_targetILNS1_3genE8ELNS1_11target_archE1030ELNS1_3gpuE2ELNS1_3repE0EEENS1_30default_config_static_selectorELNS0_4arch9wavefront6targetE0EEEvS10_.numbered_sgpr, 0
	.set _ZN7rocprim17ROCPRIM_400000_NS6detail17trampoline_kernelINS0_14default_configENS1_21merge_config_selectorINS0_5tupleIJxxEEENS0_10empty_typeEEEZNS1_10merge_implIS3_NS0_12zip_iteratorINS5_IJN6thrust23THRUST_200600_302600_NS6detail15normal_iteratorINSC_10device_ptrIKxEEEESI_EEEEESK_NSA_INS5_IJNSE_INSF_IxEEEESM_EEEEEPS7_SP_SP_NSC_11hip_rocprim7__merge17predicate_wrapperIxxNSC_7greaterIxEEEEEE10hipError_tPvRmT0_T1_T2_T3_T4_T5_mmT6_P12ihipStream_tbEUlT_E0_NS1_11comp_targetILNS1_3genE8ELNS1_11target_archE1030ELNS1_3gpuE2ELNS1_3repE0EEENS1_30default_config_static_selectorELNS0_4arch9wavefront6targetE0EEEvS10_.num_named_barrier, 0
	.set _ZN7rocprim17ROCPRIM_400000_NS6detail17trampoline_kernelINS0_14default_configENS1_21merge_config_selectorINS0_5tupleIJxxEEENS0_10empty_typeEEEZNS1_10merge_implIS3_NS0_12zip_iteratorINS5_IJN6thrust23THRUST_200600_302600_NS6detail15normal_iteratorINSC_10device_ptrIKxEEEESI_EEEEESK_NSA_INS5_IJNSE_INSF_IxEEEESM_EEEEEPS7_SP_SP_NSC_11hip_rocprim7__merge17predicate_wrapperIxxNSC_7greaterIxEEEEEE10hipError_tPvRmT0_T1_T2_T3_T4_T5_mmT6_P12ihipStream_tbEUlT_E0_NS1_11comp_targetILNS1_3genE8ELNS1_11target_archE1030ELNS1_3gpuE2ELNS1_3repE0EEENS1_30default_config_static_selectorELNS0_4arch9wavefront6targetE0EEEvS10_.private_seg_size, 0
	.set _ZN7rocprim17ROCPRIM_400000_NS6detail17trampoline_kernelINS0_14default_configENS1_21merge_config_selectorINS0_5tupleIJxxEEENS0_10empty_typeEEEZNS1_10merge_implIS3_NS0_12zip_iteratorINS5_IJN6thrust23THRUST_200600_302600_NS6detail15normal_iteratorINSC_10device_ptrIKxEEEESI_EEEEESK_NSA_INS5_IJNSE_INSF_IxEEEESM_EEEEEPS7_SP_SP_NSC_11hip_rocprim7__merge17predicate_wrapperIxxNSC_7greaterIxEEEEEE10hipError_tPvRmT0_T1_T2_T3_T4_T5_mmT6_P12ihipStream_tbEUlT_E0_NS1_11comp_targetILNS1_3genE8ELNS1_11target_archE1030ELNS1_3gpuE2ELNS1_3repE0EEENS1_30default_config_static_selectorELNS0_4arch9wavefront6targetE0EEEvS10_.uses_vcc, 0
	.set _ZN7rocprim17ROCPRIM_400000_NS6detail17trampoline_kernelINS0_14default_configENS1_21merge_config_selectorINS0_5tupleIJxxEEENS0_10empty_typeEEEZNS1_10merge_implIS3_NS0_12zip_iteratorINS5_IJN6thrust23THRUST_200600_302600_NS6detail15normal_iteratorINSC_10device_ptrIKxEEEESI_EEEEESK_NSA_INS5_IJNSE_INSF_IxEEEESM_EEEEEPS7_SP_SP_NSC_11hip_rocprim7__merge17predicate_wrapperIxxNSC_7greaterIxEEEEEE10hipError_tPvRmT0_T1_T2_T3_T4_T5_mmT6_P12ihipStream_tbEUlT_E0_NS1_11comp_targetILNS1_3genE8ELNS1_11target_archE1030ELNS1_3gpuE2ELNS1_3repE0EEENS1_30default_config_static_selectorELNS0_4arch9wavefront6targetE0EEEvS10_.uses_flat_scratch, 0
	.set _ZN7rocprim17ROCPRIM_400000_NS6detail17trampoline_kernelINS0_14default_configENS1_21merge_config_selectorINS0_5tupleIJxxEEENS0_10empty_typeEEEZNS1_10merge_implIS3_NS0_12zip_iteratorINS5_IJN6thrust23THRUST_200600_302600_NS6detail15normal_iteratorINSC_10device_ptrIKxEEEESI_EEEEESK_NSA_INS5_IJNSE_INSF_IxEEEESM_EEEEEPS7_SP_SP_NSC_11hip_rocprim7__merge17predicate_wrapperIxxNSC_7greaterIxEEEEEE10hipError_tPvRmT0_T1_T2_T3_T4_T5_mmT6_P12ihipStream_tbEUlT_E0_NS1_11comp_targetILNS1_3genE8ELNS1_11target_archE1030ELNS1_3gpuE2ELNS1_3repE0EEENS1_30default_config_static_selectorELNS0_4arch9wavefront6targetE0EEEvS10_.has_dyn_sized_stack, 0
	.set _ZN7rocprim17ROCPRIM_400000_NS6detail17trampoline_kernelINS0_14default_configENS1_21merge_config_selectorINS0_5tupleIJxxEEENS0_10empty_typeEEEZNS1_10merge_implIS3_NS0_12zip_iteratorINS5_IJN6thrust23THRUST_200600_302600_NS6detail15normal_iteratorINSC_10device_ptrIKxEEEESI_EEEEESK_NSA_INS5_IJNSE_INSF_IxEEEESM_EEEEEPS7_SP_SP_NSC_11hip_rocprim7__merge17predicate_wrapperIxxNSC_7greaterIxEEEEEE10hipError_tPvRmT0_T1_T2_T3_T4_T5_mmT6_P12ihipStream_tbEUlT_E0_NS1_11comp_targetILNS1_3genE8ELNS1_11target_archE1030ELNS1_3gpuE2ELNS1_3repE0EEENS1_30default_config_static_selectorELNS0_4arch9wavefront6targetE0EEEvS10_.has_recursion, 0
	.set _ZN7rocprim17ROCPRIM_400000_NS6detail17trampoline_kernelINS0_14default_configENS1_21merge_config_selectorINS0_5tupleIJxxEEENS0_10empty_typeEEEZNS1_10merge_implIS3_NS0_12zip_iteratorINS5_IJN6thrust23THRUST_200600_302600_NS6detail15normal_iteratorINSC_10device_ptrIKxEEEESI_EEEEESK_NSA_INS5_IJNSE_INSF_IxEEEESM_EEEEEPS7_SP_SP_NSC_11hip_rocprim7__merge17predicate_wrapperIxxNSC_7greaterIxEEEEEE10hipError_tPvRmT0_T1_T2_T3_T4_T5_mmT6_P12ihipStream_tbEUlT_E0_NS1_11comp_targetILNS1_3genE8ELNS1_11target_archE1030ELNS1_3gpuE2ELNS1_3repE0EEENS1_30default_config_static_selectorELNS0_4arch9wavefront6targetE0EEEvS10_.has_indirect_call, 0
	.section	.AMDGPU.csdata,"",@progbits
; Kernel info:
; codeLenInByte = 0
; TotalNumSgprs: 0
; NumVgprs: 0
; ScratchSize: 0
; MemoryBound: 0
; FloatMode: 240
; IeeeMode: 1
; LDSByteSize: 0 bytes/workgroup (compile time only)
; SGPRBlocks: 0
; VGPRBlocks: 0
; NumSGPRsForWavesPerEU: 1
; NumVGPRsForWavesPerEU: 1
; NamedBarCnt: 0
; Occupancy: 16
; WaveLimiterHint : 0
; COMPUTE_PGM_RSRC2:SCRATCH_EN: 0
; COMPUTE_PGM_RSRC2:USER_SGPR: 2
; COMPUTE_PGM_RSRC2:TRAP_HANDLER: 0
; COMPUTE_PGM_RSRC2:TGID_X_EN: 1
; COMPUTE_PGM_RSRC2:TGID_Y_EN: 0
; COMPUTE_PGM_RSRC2:TGID_Z_EN: 0
; COMPUTE_PGM_RSRC2:TIDIG_COMP_CNT: 0
	.section	.text._ZN7rocprim17ROCPRIM_400000_NS6detail17trampoline_kernelINS0_14default_configENS1_21merge_config_selectorINS0_5tupleIJiiEEENS0_10empty_typeEEEZNS1_10merge_implIS3_NS0_12zip_iteratorINS5_IJN6thrust23THRUST_200600_302600_NS6detail15normal_iteratorINSC_10device_ptrIKiEEEESI_EEEEESK_NSA_INS5_IJNSE_INSF_IiEEEESM_EEEEEPS7_SP_SP_NSC_11hip_rocprim7__merge17predicate_wrapperIiiNSC_7greaterIiEEEEEE10hipError_tPvRmT0_T1_T2_T3_T4_T5_mmT6_P12ihipStream_tbEUlT_E_NS1_11comp_targetILNS1_3genE0ELNS1_11target_archE4294967295ELNS1_3gpuE0ELNS1_3repE0EEENS1_30default_config_static_selectorELNS0_4arch9wavefront6targetE0EEEvS10_,"axG",@progbits,_ZN7rocprim17ROCPRIM_400000_NS6detail17trampoline_kernelINS0_14default_configENS1_21merge_config_selectorINS0_5tupleIJiiEEENS0_10empty_typeEEEZNS1_10merge_implIS3_NS0_12zip_iteratorINS5_IJN6thrust23THRUST_200600_302600_NS6detail15normal_iteratorINSC_10device_ptrIKiEEEESI_EEEEESK_NSA_INS5_IJNSE_INSF_IiEEEESM_EEEEEPS7_SP_SP_NSC_11hip_rocprim7__merge17predicate_wrapperIiiNSC_7greaterIiEEEEEE10hipError_tPvRmT0_T1_T2_T3_T4_T5_mmT6_P12ihipStream_tbEUlT_E_NS1_11comp_targetILNS1_3genE0ELNS1_11target_archE4294967295ELNS1_3gpuE0ELNS1_3repE0EEENS1_30default_config_static_selectorELNS0_4arch9wavefront6targetE0EEEvS10_,comdat
	.protected	_ZN7rocprim17ROCPRIM_400000_NS6detail17trampoline_kernelINS0_14default_configENS1_21merge_config_selectorINS0_5tupleIJiiEEENS0_10empty_typeEEEZNS1_10merge_implIS3_NS0_12zip_iteratorINS5_IJN6thrust23THRUST_200600_302600_NS6detail15normal_iteratorINSC_10device_ptrIKiEEEESI_EEEEESK_NSA_INS5_IJNSE_INSF_IiEEEESM_EEEEEPS7_SP_SP_NSC_11hip_rocprim7__merge17predicate_wrapperIiiNSC_7greaterIiEEEEEE10hipError_tPvRmT0_T1_T2_T3_T4_T5_mmT6_P12ihipStream_tbEUlT_E_NS1_11comp_targetILNS1_3genE0ELNS1_11target_archE4294967295ELNS1_3gpuE0ELNS1_3repE0EEENS1_30default_config_static_selectorELNS0_4arch9wavefront6targetE0EEEvS10_ ; -- Begin function _ZN7rocprim17ROCPRIM_400000_NS6detail17trampoline_kernelINS0_14default_configENS1_21merge_config_selectorINS0_5tupleIJiiEEENS0_10empty_typeEEEZNS1_10merge_implIS3_NS0_12zip_iteratorINS5_IJN6thrust23THRUST_200600_302600_NS6detail15normal_iteratorINSC_10device_ptrIKiEEEESI_EEEEESK_NSA_INS5_IJNSE_INSF_IiEEEESM_EEEEEPS7_SP_SP_NSC_11hip_rocprim7__merge17predicate_wrapperIiiNSC_7greaterIiEEEEEE10hipError_tPvRmT0_T1_T2_T3_T4_T5_mmT6_P12ihipStream_tbEUlT_E_NS1_11comp_targetILNS1_3genE0ELNS1_11target_archE4294967295ELNS1_3gpuE0ELNS1_3repE0EEENS1_30default_config_static_selectorELNS0_4arch9wavefront6targetE0EEEvS10_
	.globl	_ZN7rocprim17ROCPRIM_400000_NS6detail17trampoline_kernelINS0_14default_configENS1_21merge_config_selectorINS0_5tupleIJiiEEENS0_10empty_typeEEEZNS1_10merge_implIS3_NS0_12zip_iteratorINS5_IJN6thrust23THRUST_200600_302600_NS6detail15normal_iteratorINSC_10device_ptrIKiEEEESI_EEEEESK_NSA_INS5_IJNSE_INSF_IiEEEESM_EEEEEPS7_SP_SP_NSC_11hip_rocprim7__merge17predicate_wrapperIiiNSC_7greaterIiEEEEEE10hipError_tPvRmT0_T1_T2_T3_T4_T5_mmT6_P12ihipStream_tbEUlT_E_NS1_11comp_targetILNS1_3genE0ELNS1_11target_archE4294967295ELNS1_3gpuE0ELNS1_3repE0EEENS1_30default_config_static_selectorELNS0_4arch9wavefront6targetE0EEEvS10_
	.p2align	8
	.type	_ZN7rocprim17ROCPRIM_400000_NS6detail17trampoline_kernelINS0_14default_configENS1_21merge_config_selectorINS0_5tupleIJiiEEENS0_10empty_typeEEEZNS1_10merge_implIS3_NS0_12zip_iteratorINS5_IJN6thrust23THRUST_200600_302600_NS6detail15normal_iteratorINSC_10device_ptrIKiEEEESI_EEEEESK_NSA_INS5_IJNSE_INSF_IiEEEESM_EEEEEPS7_SP_SP_NSC_11hip_rocprim7__merge17predicate_wrapperIiiNSC_7greaterIiEEEEEE10hipError_tPvRmT0_T1_T2_T3_T4_T5_mmT6_P12ihipStream_tbEUlT_E_NS1_11comp_targetILNS1_3genE0ELNS1_11target_archE4294967295ELNS1_3gpuE0ELNS1_3repE0EEENS1_30default_config_static_selectorELNS0_4arch9wavefront6targetE0EEEvS10_,@function
_ZN7rocprim17ROCPRIM_400000_NS6detail17trampoline_kernelINS0_14default_configENS1_21merge_config_selectorINS0_5tupleIJiiEEENS0_10empty_typeEEEZNS1_10merge_implIS3_NS0_12zip_iteratorINS5_IJN6thrust23THRUST_200600_302600_NS6detail15normal_iteratorINSC_10device_ptrIKiEEEESI_EEEEESK_NSA_INS5_IJNSE_INSF_IiEEEESM_EEEEEPS7_SP_SP_NSC_11hip_rocprim7__merge17predicate_wrapperIiiNSC_7greaterIiEEEEEE10hipError_tPvRmT0_T1_T2_T3_T4_T5_mmT6_P12ihipStream_tbEUlT_E_NS1_11comp_targetILNS1_3genE0ELNS1_11target_archE4294967295ELNS1_3gpuE0ELNS1_3repE0EEENS1_30default_config_static_selectorELNS0_4arch9wavefront6targetE0EEEvS10_: ; @_ZN7rocprim17ROCPRIM_400000_NS6detail17trampoline_kernelINS0_14default_configENS1_21merge_config_selectorINS0_5tupleIJiiEEENS0_10empty_typeEEEZNS1_10merge_implIS3_NS0_12zip_iteratorINS5_IJN6thrust23THRUST_200600_302600_NS6detail15normal_iteratorINSC_10device_ptrIKiEEEESI_EEEEESK_NSA_INS5_IJNSE_INSF_IiEEEESM_EEEEEPS7_SP_SP_NSC_11hip_rocprim7__merge17predicate_wrapperIiiNSC_7greaterIiEEEEEE10hipError_tPvRmT0_T1_T2_T3_T4_T5_mmT6_P12ihipStream_tbEUlT_E_NS1_11comp_targetILNS1_3genE0ELNS1_11target_archE4294967295ELNS1_3gpuE0ELNS1_3repE0EEENS1_30default_config_static_selectorELNS0_4arch9wavefront6targetE0EEEvS10_
; %bb.0:
	s_clause 0x2
	s_load_b32 s4, s[0:1], 0x38
	s_load_b32 s2, s[0:1], 0x4c
	s_load_b128 s[8:11], s[0:1], 0x28
	s_getreg_b32 s7, hwreg(HW_REG_IB_STS2, 6, 4)
	s_wait_kmcnt 0x0
	s_cvt_f32_u32 s3, s4
	s_and_b32 s6, s2, 0xffff
	s_and_b32 s2, ttmp6, 15
	s_delay_alu instid0(SALU_CYCLE_1) | instskip(SKIP_1) | instid1(SALU_CYCLE_1)
	v_rcp_iflag_f32_e32 v1, s3
	s_bfe_u32 s3, ttmp6, 0x4000c
	s_add_co_i32 s3, s3, 1
	s_delay_alu instid0(SALU_CYCLE_1) | instskip(NEXT) | instid1(SALU_CYCLE_1)
	s_mul_i32 s3, ttmp9, s3
	s_add_co_i32 s2, s2, s3
	v_nop
	s_delay_alu instid0(TRANS32_DEP_1)
	v_readfirstlane_b32 s5, v1
	s_cmp_eq_u32 s7, 0
	s_cselect_b32 s7, ttmp9, s2
	s_sub_co_i32 s12, 0, s4
	s_mul_f32 s5, s5, 0x4f7ffffe
	s_add_nc_u64 s[2:3], s[10:11], s[8:9]
	v_mad_u32 v6, s7, s6, v0
	s_add_co_i32 s13, s4, s2
	s_cvt_u32_f32 s5, s5
	s_add_co_i32 s13, s13, -1
	s_delay_alu instid0(SALU_CYCLE_2) | instskip(NEXT) | instid1(SALU_CYCLE_1)
	s_mul_i32 s12, s12, s5
	s_mul_hi_u32 s12, s5, s12
	s_delay_alu instid0(SALU_CYCLE_1) | instskip(NEXT) | instid1(SALU_CYCLE_1)
	s_add_co_i32 s5, s5, s12
	s_mul_hi_u32 s5, s13, s5
	s_delay_alu instid0(SALU_CYCLE_1) | instskip(SKIP_2) | instid1(SALU_CYCLE_1)
	s_mul_i32 s12, s5, s4
	s_add_co_i32 s7, s5, 1
	s_sub_co_i32 s6, s13, s12
	s_sub_co_i32 s12, s6, s4
	s_cmp_ge_u32 s6, s4
	s_cselect_b32 s5, s7, s5
	s_cselect_b32 s6, s12, s6
	s_add_co_i32 s7, s5, 1
	s_cmp_ge_u32 s6, s4
	s_cselect_b32 s5, s7, s5
	s_delay_alu instid0(SALU_CYCLE_1)
	v_cmp_ge_u32_e32 vcc_lo, s5, v6
	s_and_saveexec_b32 s5, vcc_lo
	s_cbranch_execz .LBB425_6
; %bb.1:
	v_mul_lo_u32 v0, v6, s4
	v_mov_b32_e32 v1, 0
	s_load_b128 s[4:7], s[0:1], 0x0
	s_delay_alu instid0(VALU_DEP_1) | instskip(SKIP_1) | instid1(VALU_DEP_1)
	v_min_u64 v[4:5], v[0:1], s[2:3]
	s_mov_b32 s2, exec_lo
	v_max_u64 v[0:1], v[4:5], s[10:11]
	v_min_u64 v[2:3], v[4:5], s[8:9]
	s_delay_alu instid0(VALU_DEP_2) | instskip(NEXT) | instid1(VALU_DEP_1)
	v_sub_nc_u64_e64 v[0:1], v[0:1], s[10:11]
	v_cmpx_lt_u64_e64 v[0:1], v[2:3]
	s_cbranch_execz .LBB425_5
; %bb.2:
	s_wait_xcnt 0x0
	s_load_b64 s[0:1], s[0:1], 0x18
	s_wait_kmcnt 0x0
	v_lshl_add_u64 v[4:5], v[4:5], 2, s[0:1]
	s_mov_b32 s0, 0
.LBB425_3:                              ; =>This Inner Loop Header: Depth=1
	v_add_nc_u64_e32 v[8:9], v[2:3], v[0:1]
	s_delay_alu instid0(VALU_DEP_1) | instskip(NEXT) | instid1(VALU_DEP_1)
	v_lshrrev_b64 v[8:9], 1, v[8:9]
	v_lshlrev_b64_e32 v[10:11], 2, v[8:9]
	s_delay_alu instid0(VALU_DEP_1) | instskip(NEXT) | instid1(VALU_DEP_2)
	v_xor_b32_e32 v13, -1, v11
	v_xor_b32_e32 v12, -4, v10
	v_add_nc_u64_e32 v[10:11], s[6:7], v[10:11]
	s_delay_alu instid0(VALU_DEP_2)
	v_add_nc_u64_e32 v[12:13], v[4:5], v[12:13]
	global_load_b32 v7, v[10:11], off
	global_load_b32 v14, v[12:13], off
	s_wait_xcnt 0x1
	v_add_nc_u64_e32 v[10:11], 1, v[8:9]
	s_wait_loadcnt 0x0
	v_cmp_gt_i32_e32 vcc_lo, v14, v7
	v_dual_cndmask_b32 v3, v3, v9 :: v_dual_cndmask_b32 v2, v2, v8
	s_delay_alu instid0(VALU_DEP_3) | instskip(NEXT) | instid1(VALU_DEP_1)
	v_dual_cndmask_b32 v1, v11, v1 :: v_dual_cndmask_b32 v0, v10, v0
	v_cmp_ge_u64_e32 vcc_lo, v[0:1], v[2:3]
	s_or_b32 s0, vcc_lo, s0
	s_delay_alu instid0(SALU_CYCLE_1)
	s_and_not1_b32 exec_lo, exec_lo, s0
	s_cbranch_execnz .LBB425_3
; %bb.4:
	s_or_b32 exec_lo, exec_lo, s0
.LBB425_5:
	s_delay_alu instid0(SALU_CYCLE_1)
	s_or_b32 exec_lo, exec_lo, s2
	s_wait_kmcnt 0x0
	global_store_b32 v6, v0, s[4:5] scale_offset
.LBB425_6:
	s_endpgm
	.section	.rodata,"a",@progbits
	.p2align	6, 0x0
	.amdhsa_kernel _ZN7rocprim17ROCPRIM_400000_NS6detail17trampoline_kernelINS0_14default_configENS1_21merge_config_selectorINS0_5tupleIJiiEEENS0_10empty_typeEEEZNS1_10merge_implIS3_NS0_12zip_iteratorINS5_IJN6thrust23THRUST_200600_302600_NS6detail15normal_iteratorINSC_10device_ptrIKiEEEESI_EEEEESK_NSA_INS5_IJNSE_INSF_IiEEEESM_EEEEEPS7_SP_SP_NSC_11hip_rocprim7__merge17predicate_wrapperIiiNSC_7greaterIiEEEEEE10hipError_tPvRmT0_T1_T2_T3_T4_T5_mmT6_P12ihipStream_tbEUlT_E_NS1_11comp_targetILNS1_3genE0ELNS1_11target_archE4294967295ELNS1_3gpuE0ELNS1_3repE0EEENS1_30default_config_static_selectorELNS0_4arch9wavefront6targetE0EEEvS10_
		.amdhsa_group_segment_fixed_size 0
		.amdhsa_private_segment_fixed_size 0
		.amdhsa_kernarg_size 320
		.amdhsa_user_sgpr_count 2
		.amdhsa_user_sgpr_dispatch_ptr 0
		.amdhsa_user_sgpr_queue_ptr 0
		.amdhsa_user_sgpr_kernarg_segment_ptr 1
		.amdhsa_user_sgpr_dispatch_id 0
		.amdhsa_user_sgpr_kernarg_preload_length 0
		.amdhsa_user_sgpr_kernarg_preload_offset 0
		.amdhsa_user_sgpr_private_segment_size 0
		.amdhsa_wavefront_size32 1
		.amdhsa_uses_dynamic_stack 0
		.amdhsa_enable_private_segment 0
		.amdhsa_system_sgpr_workgroup_id_x 1
		.amdhsa_system_sgpr_workgroup_id_y 0
		.amdhsa_system_sgpr_workgroup_id_z 0
		.amdhsa_system_sgpr_workgroup_info 0
		.amdhsa_system_vgpr_workitem_id 0
		.amdhsa_next_free_vgpr 15
		.amdhsa_next_free_sgpr 14
		.amdhsa_named_barrier_count 0
		.amdhsa_reserve_vcc 1
		.amdhsa_float_round_mode_32 0
		.amdhsa_float_round_mode_16_64 0
		.amdhsa_float_denorm_mode_32 3
		.amdhsa_float_denorm_mode_16_64 3
		.amdhsa_fp16_overflow 0
		.amdhsa_memory_ordered 1
		.amdhsa_forward_progress 1
		.amdhsa_inst_pref_size 4
		.amdhsa_round_robin_scheduling 0
		.amdhsa_exception_fp_ieee_invalid_op 0
		.amdhsa_exception_fp_denorm_src 0
		.amdhsa_exception_fp_ieee_div_zero 0
		.amdhsa_exception_fp_ieee_overflow 0
		.amdhsa_exception_fp_ieee_underflow 0
		.amdhsa_exception_fp_ieee_inexact 0
		.amdhsa_exception_int_div_zero 0
	.end_amdhsa_kernel
	.section	.text._ZN7rocprim17ROCPRIM_400000_NS6detail17trampoline_kernelINS0_14default_configENS1_21merge_config_selectorINS0_5tupleIJiiEEENS0_10empty_typeEEEZNS1_10merge_implIS3_NS0_12zip_iteratorINS5_IJN6thrust23THRUST_200600_302600_NS6detail15normal_iteratorINSC_10device_ptrIKiEEEESI_EEEEESK_NSA_INS5_IJNSE_INSF_IiEEEESM_EEEEEPS7_SP_SP_NSC_11hip_rocprim7__merge17predicate_wrapperIiiNSC_7greaterIiEEEEEE10hipError_tPvRmT0_T1_T2_T3_T4_T5_mmT6_P12ihipStream_tbEUlT_E_NS1_11comp_targetILNS1_3genE0ELNS1_11target_archE4294967295ELNS1_3gpuE0ELNS1_3repE0EEENS1_30default_config_static_selectorELNS0_4arch9wavefront6targetE0EEEvS10_,"axG",@progbits,_ZN7rocprim17ROCPRIM_400000_NS6detail17trampoline_kernelINS0_14default_configENS1_21merge_config_selectorINS0_5tupleIJiiEEENS0_10empty_typeEEEZNS1_10merge_implIS3_NS0_12zip_iteratorINS5_IJN6thrust23THRUST_200600_302600_NS6detail15normal_iteratorINSC_10device_ptrIKiEEEESI_EEEEESK_NSA_INS5_IJNSE_INSF_IiEEEESM_EEEEEPS7_SP_SP_NSC_11hip_rocprim7__merge17predicate_wrapperIiiNSC_7greaterIiEEEEEE10hipError_tPvRmT0_T1_T2_T3_T4_T5_mmT6_P12ihipStream_tbEUlT_E_NS1_11comp_targetILNS1_3genE0ELNS1_11target_archE4294967295ELNS1_3gpuE0ELNS1_3repE0EEENS1_30default_config_static_selectorELNS0_4arch9wavefront6targetE0EEEvS10_,comdat
.Lfunc_end425:
	.size	_ZN7rocprim17ROCPRIM_400000_NS6detail17trampoline_kernelINS0_14default_configENS1_21merge_config_selectorINS0_5tupleIJiiEEENS0_10empty_typeEEEZNS1_10merge_implIS3_NS0_12zip_iteratorINS5_IJN6thrust23THRUST_200600_302600_NS6detail15normal_iteratorINSC_10device_ptrIKiEEEESI_EEEEESK_NSA_INS5_IJNSE_INSF_IiEEEESM_EEEEEPS7_SP_SP_NSC_11hip_rocprim7__merge17predicate_wrapperIiiNSC_7greaterIiEEEEEE10hipError_tPvRmT0_T1_T2_T3_T4_T5_mmT6_P12ihipStream_tbEUlT_E_NS1_11comp_targetILNS1_3genE0ELNS1_11target_archE4294967295ELNS1_3gpuE0ELNS1_3repE0EEENS1_30default_config_static_selectorELNS0_4arch9wavefront6targetE0EEEvS10_, .Lfunc_end425-_ZN7rocprim17ROCPRIM_400000_NS6detail17trampoline_kernelINS0_14default_configENS1_21merge_config_selectorINS0_5tupleIJiiEEENS0_10empty_typeEEEZNS1_10merge_implIS3_NS0_12zip_iteratorINS5_IJN6thrust23THRUST_200600_302600_NS6detail15normal_iteratorINSC_10device_ptrIKiEEEESI_EEEEESK_NSA_INS5_IJNSE_INSF_IiEEEESM_EEEEEPS7_SP_SP_NSC_11hip_rocprim7__merge17predicate_wrapperIiiNSC_7greaterIiEEEEEE10hipError_tPvRmT0_T1_T2_T3_T4_T5_mmT6_P12ihipStream_tbEUlT_E_NS1_11comp_targetILNS1_3genE0ELNS1_11target_archE4294967295ELNS1_3gpuE0ELNS1_3repE0EEENS1_30default_config_static_selectorELNS0_4arch9wavefront6targetE0EEEvS10_
                                        ; -- End function
	.set _ZN7rocprim17ROCPRIM_400000_NS6detail17trampoline_kernelINS0_14default_configENS1_21merge_config_selectorINS0_5tupleIJiiEEENS0_10empty_typeEEEZNS1_10merge_implIS3_NS0_12zip_iteratorINS5_IJN6thrust23THRUST_200600_302600_NS6detail15normal_iteratorINSC_10device_ptrIKiEEEESI_EEEEESK_NSA_INS5_IJNSE_INSF_IiEEEESM_EEEEEPS7_SP_SP_NSC_11hip_rocprim7__merge17predicate_wrapperIiiNSC_7greaterIiEEEEEE10hipError_tPvRmT0_T1_T2_T3_T4_T5_mmT6_P12ihipStream_tbEUlT_E_NS1_11comp_targetILNS1_3genE0ELNS1_11target_archE4294967295ELNS1_3gpuE0ELNS1_3repE0EEENS1_30default_config_static_selectorELNS0_4arch9wavefront6targetE0EEEvS10_.num_vgpr, 15
	.set _ZN7rocprim17ROCPRIM_400000_NS6detail17trampoline_kernelINS0_14default_configENS1_21merge_config_selectorINS0_5tupleIJiiEEENS0_10empty_typeEEEZNS1_10merge_implIS3_NS0_12zip_iteratorINS5_IJN6thrust23THRUST_200600_302600_NS6detail15normal_iteratorINSC_10device_ptrIKiEEEESI_EEEEESK_NSA_INS5_IJNSE_INSF_IiEEEESM_EEEEEPS7_SP_SP_NSC_11hip_rocprim7__merge17predicate_wrapperIiiNSC_7greaterIiEEEEEE10hipError_tPvRmT0_T1_T2_T3_T4_T5_mmT6_P12ihipStream_tbEUlT_E_NS1_11comp_targetILNS1_3genE0ELNS1_11target_archE4294967295ELNS1_3gpuE0ELNS1_3repE0EEENS1_30default_config_static_selectorELNS0_4arch9wavefront6targetE0EEEvS10_.num_agpr, 0
	.set _ZN7rocprim17ROCPRIM_400000_NS6detail17trampoline_kernelINS0_14default_configENS1_21merge_config_selectorINS0_5tupleIJiiEEENS0_10empty_typeEEEZNS1_10merge_implIS3_NS0_12zip_iteratorINS5_IJN6thrust23THRUST_200600_302600_NS6detail15normal_iteratorINSC_10device_ptrIKiEEEESI_EEEEESK_NSA_INS5_IJNSE_INSF_IiEEEESM_EEEEEPS7_SP_SP_NSC_11hip_rocprim7__merge17predicate_wrapperIiiNSC_7greaterIiEEEEEE10hipError_tPvRmT0_T1_T2_T3_T4_T5_mmT6_P12ihipStream_tbEUlT_E_NS1_11comp_targetILNS1_3genE0ELNS1_11target_archE4294967295ELNS1_3gpuE0ELNS1_3repE0EEENS1_30default_config_static_selectorELNS0_4arch9wavefront6targetE0EEEvS10_.numbered_sgpr, 14
	.set _ZN7rocprim17ROCPRIM_400000_NS6detail17trampoline_kernelINS0_14default_configENS1_21merge_config_selectorINS0_5tupleIJiiEEENS0_10empty_typeEEEZNS1_10merge_implIS3_NS0_12zip_iteratorINS5_IJN6thrust23THRUST_200600_302600_NS6detail15normal_iteratorINSC_10device_ptrIKiEEEESI_EEEEESK_NSA_INS5_IJNSE_INSF_IiEEEESM_EEEEEPS7_SP_SP_NSC_11hip_rocprim7__merge17predicate_wrapperIiiNSC_7greaterIiEEEEEE10hipError_tPvRmT0_T1_T2_T3_T4_T5_mmT6_P12ihipStream_tbEUlT_E_NS1_11comp_targetILNS1_3genE0ELNS1_11target_archE4294967295ELNS1_3gpuE0ELNS1_3repE0EEENS1_30default_config_static_selectorELNS0_4arch9wavefront6targetE0EEEvS10_.num_named_barrier, 0
	.set _ZN7rocprim17ROCPRIM_400000_NS6detail17trampoline_kernelINS0_14default_configENS1_21merge_config_selectorINS0_5tupleIJiiEEENS0_10empty_typeEEEZNS1_10merge_implIS3_NS0_12zip_iteratorINS5_IJN6thrust23THRUST_200600_302600_NS6detail15normal_iteratorINSC_10device_ptrIKiEEEESI_EEEEESK_NSA_INS5_IJNSE_INSF_IiEEEESM_EEEEEPS7_SP_SP_NSC_11hip_rocprim7__merge17predicate_wrapperIiiNSC_7greaterIiEEEEEE10hipError_tPvRmT0_T1_T2_T3_T4_T5_mmT6_P12ihipStream_tbEUlT_E_NS1_11comp_targetILNS1_3genE0ELNS1_11target_archE4294967295ELNS1_3gpuE0ELNS1_3repE0EEENS1_30default_config_static_selectorELNS0_4arch9wavefront6targetE0EEEvS10_.private_seg_size, 0
	.set _ZN7rocprim17ROCPRIM_400000_NS6detail17trampoline_kernelINS0_14default_configENS1_21merge_config_selectorINS0_5tupleIJiiEEENS0_10empty_typeEEEZNS1_10merge_implIS3_NS0_12zip_iteratorINS5_IJN6thrust23THRUST_200600_302600_NS6detail15normal_iteratorINSC_10device_ptrIKiEEEESI_EEEEESK_NSA_INS5_IJNSE_INSF_IiEEEESM_EEEEEPS7_SP_SP_NSC_11hip_rocprim7__merge17predicate_wrapperIiiNSC_7greaterIiEEEEEE10hipError_tPvRmT0_T1_T2_T3_T4_T5_mmT6_P12ihipStream_tbEUlT_E_NS1_11comp_targetILNS1_3genE0ELNS1_11target_archE4294967295ELNS1_3gpuE0ELNS1_3repE0EEENS1_30default_config_static_selectorELNS0_4arch9wavefront6targetE0EEEvS10_.uses_vcc, 1
	.set _ZN7rocprim17ROCPRIM_400000_NS6detail17trampoline_kernelINS0_14default_configENS1_21merge_config_selectorINS0_5tupleIJiiEEENS0_10empty_typeEEEZNS1_10merge_implIS3_NS0_12zip_iteratorINS5_IJN6thrust23THRUST_200600_302600_NS6detail15normal_iteratorINSC_10device_ptrIKiEEEESI_EEEEESK_NSA_INS5_IJNSE_INSF_IiEEEESM_EEEEEPS7_SP_SP_NSC_11hip_rocprim7__merge17predicate_wrapperIiiNSC_7greaterIiEEEEEE10hipError_tPvRmT0_T1_T2_T3_T4_T5_mmT6_P12ihipStream_tbEUlT_E_NS1_11comp_targetILNS1_3genE0ELNS1_11target_archE4294967295ELNS1_3gpuE0ELNS1_3repE0EEENS1_30default_config_static_selectorELNS0_4arch9wavefront6targetE0EEEvS10_.uses_flat_scratch, 0
	.set _ZN7rocprim17ROCPRIM_400000_NS6detail17trampoline_kernelINS0_14default_configENS1_21merge_config_selectorINS0_5tupleIJiiEEENS0_10empty_typeEEEZNS1_10merge_implIS3_NS0_12zip_iteratorINS5_IJN6thrust23THRUST_200600_302600_NS6detail15normal_iteratorINSC_10device_ptrIKiEEEESI_EEEEESK_NSA_INS5_IJNSE_INSF_IiEEEESM_EEEEEPS7_SP_SP_NSC_11hip_rocprim7__merge17predicate_wrapperIiiNSC_7greaterIiEEEEEE10hipError_tPvRmT0_T1_T2_T3_T4_T5_mmT6_P12ihipStream_tbEUlT_E_NS1_11comp_targetILNS1_3genE0ELNS1_11target_archE4294967295ELNS1_3gpuE0ELNS1_3repE0EEENS1_30default_config_static_selectorELNS0_4arch9wavefront6targetE0EEEvS10_.has_dyn_sized_stack, 0
	.set _ZN7rocprim17ROCPRIM_400000_NS6detail17trampoline_kernelINS0_14default_configENS1_21merge_config_selectorINS0_5tupleIJiiEEENS0_10empty_typeEEEZNS1_10merge_implIS3_NS0_12zip_iteratorINS5_IJN6thrust23THRUST_200600_302600_NS6detail15normal_iteratorINSC_10device_ptrIKiEEEESI_EEEEESK_NSA_INS5_IJNSE_INSF_IiEEEESM_EEEEEPS7_SP_SP_NSC_11hip_rocprim7__merge17predicate_wrapperIiiNSC_7greaterIiEEEEEE10hipError_tPvRmT0_T1_T2_T3_T4_T5_mmT6_P12ihipStream_tbEUlT_E_NS1_11comp_targetILNS1_3genE0ELNS1_11target_archE4294967295ELNS1_3gpuE0ELNS1_3repE0EEENS1_30default_config_static_selectorELNS0_4arch9wavefront6targetE0EEEvS10_.has_recursion, 0
	.set _ZN7rocprim17ROCPRIM_400000_NS6detail17trampoline_kernelINS0_14default_configENS1_21merge_config_selectorINS0_5tupleIJiiEEENS0_10empty_typeEEEZNS1_10merge_implIS3_NS0_12zip_iteratorINS5_IJN6thrust23THRUST_200600_302600_NS6detail15normal_iteratorINSC_10device_ptrIKiEEEESI_EEEEESK_NSA_INS5_IJNSE_INSF_IiEEEESM_EEEEEPS7_SP_SP_NSC_11hip_rocprim7__merge17predicate_wrapperIiiNSC_7greaterIiEEEEEE10hipError_tPvRmT0_T1_T2_T3_T4_T5_mmT6_P12ihipStream_tbEUlT_E_NS1_11comp_targetILNS1_3genE0ELNS1_11target_archE4294967295ELNS1_3gpuE0ELNS1_3repE0EEENS1_30default_config_static_selectorELNS0_4arch9wavefront6targetE0EEEvS10_.has_indirect_call, 0
	.section	.AMDGPU.csdata,"",@progbits
; Kernel info:
; codeLenInByte = 484
; TotalNumSgprs: 16
; NumVgprs: 15
; ScratchSize: 0
; MemoryBound: 0
; FloatMode: 240
; IeeeMode: 1
; LDSByteSize: 0 bytes/workgroup (compile time only)
; SGPRBlocks: 0
; VGPRBlocks: 0
; NumSGPRsForWavesPerEU: 16
; NumVGPRsForWavesPerEU: 15
; NamedBarCnt: 0
; Occupancy: 16
; WaveLimiterHint : 0
; COMPUTE_PGM_RSRC2:SCRATCH_EN: 0
; COMPUTE_PGM_RSRC2:USER_SGPR: 2
; COMPUTE_PGM_RSRC2:TRAP_HANDLER: 0
; COMPUTE_PGM_RSRC2:TGID_X_EN: 1
; COMPUTE_PGM_RSRC2:TGID_Y_EN: 0
; COMPUTE_PGM_RSRC2:TGID_Z_EN: 0
; COMPUTE_PGM_RSRC2:TIDIG_COMP_CNT: 0
	.section	.text._ZN7rocprim17ROCPRIM_400000_NS6detail17trampoline_kernelINS0_14default_configENS1_21merge_config_selectorINS0_5tupleIJiiEEENS0_10empty_typeEEEZNS1_10merge_implIS3_NS0_12zip_iteratorINS5_IJN6thrust23THRUST_200600_302600_NS6detail15normal_iteratorINSC_10device_ptrIKiEEEESI_EEEEESK_NSA_INS5_IJNSE_INSF_IiEEEESM_EEEEEPS7_SP_SP_NSC_11hip_rocprim7__merge17predicate_wrapperIiiNSC_7greaterIiEEEEEE10hipError_tPvRmT0_T1_T2_T3_T4_T5_mmT6_P12ihipStream_tbEUlT_E_NS1_11comp_targetILNS1_3genE5ELNS1_11target_archE942ELNS1_3gpuE9ELNS1_3repE0EEENS1_30default_config_static_selectorELNS0_4arch9wavefront6targetE0EEEvS10_,"axG",@progbits,_ZN7rocprim17ROCPRIM_400000_NS6detail17trampoline_kernelINS0_14default_configENS1_21merge_config_selectorINS0_5tupleIJiiEEENS0_10empty_typeEEEZNS1_10merge_implIS3_NS0_12zip_iteratorINS5_IJN6thrust23THRUST_200600_302600_NS6detail15normal_iteratorINSC_10device_ptrIKiEEEESI_EEEEESK_NSA_INS5_IJNSE_INSF_IiEEEESM_EEEEEPS7_SP_SP_NSC_11hip_rocprim7__merge17predicate_wrapperIiiNSC_7greaterIiEEEEEE10hipError_tPvRmT0_T1_T2_T3_T4_T5_mmT6_P12ihipStream_tbEUlT_E_NS1_11comp_targetILNS1_3genE5ELNS1_11target_archE942ELNS1_3gpuE9ELNS1_3repE0EEENS1_30default_config_static_selectorELNS0_4arch9wavefront6targetE0EEEvS10_,comdat
	.protected	_ZN7rocprim17ROCPRIM_400000_NS6detail17trampoline_kernelINS0_14default_configENS1_21merge_config_selectorINS0_5tupleIJiiEEENS0_10empty_typeEEEZNS1_10merge_implIS3_NS0_12zip_iteratorINS5_IJN6thrust23THRUST_200600_302600_NS6detail15normal_iteratorINSC_10device_ptrIKiEEEESI_EEEEESK_NSA_INS5_IJNSE_INSF_IiEEEESM_EEEEEPS7_SP_SP_NSC_11hip_rocprim7__merge17predicate_wrapperIiiNSC_7greaterIiEEEEEE10hipError_tPvRmT0_T1_T2_T3_T4_T5_mmT6_P12ihipStream_tbEUlT_E_NS1_11comp_targetILNS1_3genE5ELNS1_11target_archE942ELNS1_3gpuE9ELNS1_3repE0EEENS1_30default_config_static_selectorELNS0_4arch9wavefront6targetE0EEEvS10_ ; -- Begin function _ZN7rocprim17ROCPRIM_400000_NS6detail17trampoline_kernelINS0_14default_configENS1_21merge_config_selectorINS0_5tupleIJiiEEENS0_10empty_typeEEEZNS1_10merge_implIS3_NS0_12zip_iteratorINS5_IJN6thrust23THRUST_200600_302600_NS6detail15normal_iteratorINSC_10device_ptrIKiEEEESI_EEEEESK_NSA_INS5_IJNSE_INSF_IiEEEESM_EEEEEPS7_SP_SP_NSC_11hip_rocprim7__merge17predicate_wrapperIiiNSC_7greaterIiEEEEEE10hipError_tPvRmT0_T1_T2_T3_T4_T5_mmT6_P12ihipStream_tbEUlT_E_NS1_11comp_targetILNS1_3genE5ELNS1_11target_archE942ELNS1_3gpuE9ELNS1_3repE0EEENS1_30default_config_static_selectorELNS0_4arch9wavefront6targetE0EEEvS10_
	.globl	_ZN7rocprim17ROCPRIM_400000_NS6detail17trampoline_kernelINS0_14default_configENS1_21merge_config_selectorINS0_5tupleIJiiEEENS0_10empty_typeEEEZNS1_10merge_implIS3_NS0_12zip_iteratorINS5_IJN6thrust23THRUST_200600_302600_NS6detail15normal_iteratorINSC_10device_ptrIKiEEEESI_EEEEESK_NSA_INS5_IJNSE_INSF_IiEEEESM_EEEEEPS7_SP_SP_NSC_11hip_rocprim7__merge17predicate_wrapperIiiNSC_7greaterIiEEEEEE10hipError_tPvRmT0_T1_T2_T3_T4_T5_mmT6_P12ihipStream_tbEUlT_E_NS1_11comp_targetILNS1_3genE5ELNS1_11target_archE942ELNS1_3gpuE9ELNS1_3repE0EEENS1_30default_config_static_selectorELNS0_4arch9wavefront6targetE0EEEvS10_
	.p2align	8
	.type	_ZN7rocprim17ROCPRIM_400000_NS6detail17trampoline_kernelINS0_14default_configENS1_21merge_config_selectorINS0_5tupleIJiiEEENS0_10empty_typeEEEZNS1_10merge_implIS3_NS0_12zip_iteratorINS5_IJN6thrust23THRUST_200600_302600_NS6detail15normal_iteratorINSC_10device_ptrIKiEEEESI_EEEEESK_NSA_INS5_IJNSE_INSF_IiEEEESM_EEEEEPS7_SP_SP_NSC_11hip_rocprim7__merge17predicate_wrapperIiiNSC_7greaterIiEEEEEE10hipError_tPvRmT0_T1_T2_T3_T4_T5_mmT6_P12ihipStream_tbEUlT_E_NS1_11comp_targetILNS1_3genE5ELNS1_11target_archE942ELNS1_3gpuE9ELNS1_3repE0EEENS1_30default_config_static_selectorELNS0_4arch9wavefront6targetE0EEEvS10_,@function
_ZN7rocprim17ROCPRIM_400000_NS6detail17trampoline_kernelINS0_14default_configENS1_21merge_config_selectorINS0_5tupleIJiiEEENS0_10empty_typeEEEZNS1_10merge_implIS3_NS0_12zip_iteratorINS5_IJN6thrust23THRUST_200600_302600_NS6detail15normal_iteratorINSC_10device_ptrIKiEEEESI_EEEEESK_NSA_INS5_IJNSE_INSF_IiEEEESM_EEEEEPS7_SP_SP_NSC_11hip_rocprim7__merge17predicate_wrapperIiiNSC_7greaterIiEEEEEE10hipError_tPvRmT0_T1_T2_T3_T4_T5_mmT6_P12ihipStream_tbEUlT_E_NS1_11comp_targetILNS1_3genE5ELNS1_11target_archE942ELNS1_3gpuE9ELNS1_3repE0EEENS1_30default_config_static_selectorELNS0_4arch9wavefront6targetE0EEEvS10_: ; @_ZN7rocprim17ROCPRIM_400000_NS6detail17trampoline_kernelINS0_14default_configENS1_21merge_config_selectorINS0_5tupleIJiiEEENS0_10empty_typeEEEZNS1_10merge_implIS3_NS0_12zip_iteratorINS5_IJN6thrust23THRUST_200600_302600_NS6detail15normal_iteratorINSC_10device_ptrIKiEEEESI_EEEEESK_NSA_INS5_IJNSE_INSF_IiEEEESM_EEEEEPS7_SP_SP_NSC_11hip_rocprim7__merge17predicate_wrapperIiiNSC_7greaterIiEEEEEE10hipError_tPvRmT0_T1_T2_T3_T4_T5_mmT6_P12ihipStream_tbEUlT_E_NS1_11comp_targetILNS1_3genE5ELNS1_11target_archE942ELNS1_3gpuE9ELNS1_3repE0EEENS1_30default_config_static_selectorELNS0_4arch9wavefront6targetE0EEEvS10_
; %bb.0:
	.section	.rodata,"a",@progbits
	.p2align	6, 0x0
	.amdhsa_kernel _ZN7rocprim17ROCPRIM_400000_NS6detail17trampoline_kernelINS0_14default_configENS1_21merge_config_selectorINS0_5tupleIJiiEEENS0_10empty_typeEEEZNS1_10merge_implIS3_NS0_12zip_iteratorINS5_IJN6thrust23THRUST_200600_302600_NS6detail15normal_iteratorINSC_10device_ptrIKiEEEESI_EEEEESK_NSA_INS5_IJNSE_INSF_IiEEEESM_EEEEEPS7_SP_SP_NSC_11hip_rocprim7__merge17predicate_wrapperIiiNSC_7greaterIiEEEEEE10hipError_tPvRmT0_T1_T2_T3_T4_T5_mmT6_P12ihipStream_tbEUlT_E_NS1_11comp_targetILNS1_3genE5ELNS1_11target_archE942ELNS1_3gpuE9ELNS1_3repE0EEENS1_30default_config_static_selectorELNS0_4arch9wavefront6targetE0EEEvS10_
		.amdhsa_group_segment_fixed_size 0
		.amdhsa_private_segment_fixed_size 0
		.amdhsa_kernarg_size 64
		.amdhsa_user_sgpr_count 2
		.amdhsa_user_sgpr_dispatch_ptr 0
		.amdhsa_user_sgpr_queue_ptr 0
		.amdhsa_user_sgpr_kernarg_segment_ptr 1
		.amdhsa_user_sgpr_dispatch_id 0
		.amdhsa_user_sgpr_kernarg_preload_length 0
		.amdhsa_user_sgpr_kernarg_preload_offset 0
		.amdhsa_user_sgpr_private_segment_size 0
		.amdhsa_wavefront_size32 1
		.amdhsa_uses_dynamic_stack 0
		.amdhsa_enable_private_segment 0
		.amdhsa_system_sgpr_workgroup_id_x 1
		.amdhsa_system_sgpr_workgroup_id_y 0
		.amdhsa_system_sgpr_workgroup_id_z 0
		.amdhsa_system_sgpr_workgroup_info 0
		.amdhsa_system_vgpr_workitem_id 0
		.amdhsa_next_free_vgpr 1
		.amdhsa_next_free_sgpr 1
		.amdhsa_named_barrier_count 0
		.amdhsa_reserve_vcc 0
		.amdhsa_float_round_mode_32 0
		.amdhsa_float_round_mode_16_64 0
		.amdhsa_float_denorm_mode_32 3
		.amdhsa_float_denorm_mode_16_64 3
		.amdhsa_fp16_overflow 0
		.amdhsa_memory_ordered 1
		.amdhsa_forward_progress 1
		.amdhsa_inst_pref_size 0
		.amdhsa_round_robin_scheduling 0
		.amdhsa_exception_fp_ieee_invalid_op 0
		.amdhsa_exception_fp_denorm_src 0
		.amdhsa_exception_fp_ieee_div_zero 0
		.amdhsa_exception_fp_ieee_overflow 0
		.amdhsa_exception_fp_ieee_underflow 0
		.amdhsa_exception_fp_ieee_inexact 0
		.amdhsa_exception_int_div_zero 0
	.end_amdhsa_kernel
	.section	.text._ZN7rocprim17ROCPRIM_400000_NS6detail17trampoline_kernelINS0_14default_configENS1_21merge_config_selectorINS0_5tupleIJiiEEENS0_10empty_typeEEEZNS1_10merge_implIS3_NS0_12zip_iteratorINS5_IJN6thrust23THRUST_200600_302600_NS6detail15normal_iteratorINSC_10device_ptrIKiEEEESI_EEEEESK_NSA_INS5_IJNSE_INSF_IiEEEESM_EEEEEPS7_SP_SP_NSC_11hip_rocprim7__merge17predicate_wrapperIiiNSC_7greaterIiEEEEEE10hipError_tPvRmT0_T1_T2_T3_T4_T5_mmT6_P12ihipStream_tbEUlT_E_NS1_11comp_targetILNS1_3genE5ELNS1_11target_archE942ELNS1_3gpuE9ELNS1_3repE0EEENS1_30default_config_static_selectorELNS0_4arch9wavefront6targetE0EEEvS10_,"axG",@progbits,_ZN7rocprim17ROCPRIM_400000_NS6detail17trampoline_kernelINS0_14default_configENS1_21merge_config_selectorINS0_5tupleIJiiEEENS0_10empty_typeEEEZNS1_10merge_implIS3_NS0_12zip_iteratorINS5_IJN6thrust23THRUST_200600_302600_NS6detail15normal_iteratorINSC_10device_ptrIKiEEEESI_EEEEESK_NSA_INS5_IJNSE_INSF_IiEEEESM_EEEEEPS7_SP_SP_NSC_11hip_rocprim7__merge17predicate_wrapperIiiNSC_7greaterIiEEEEEE10hipError_tPvRmT0_T1_T2_T3_T4_T5_mmT6_P12ihipStream_tbEUlT_E_NS1_11comp_targetILNS1_3genE5ELNS1_11target_archE942ELNS1_3gpuE9ELNS1_3repE0EEENS1_30default_config_static_selectorELNS0_4arch9wavefront6targetE0EEEvS10_,comdat
.Lfunc_end426:
	.size	_ZN7rocprim17ROCPRIM_400000_NS6detail17trampoline_kernelINS0_14default_configENS1_21merge_config_selectorINS0_5tupleIJiiEEENS0_10empty_typeEEEZNS1_10merge_implIS3_NS0_12zip_iteratorINS5_IJN6thrust23THRUST_200600_302600_NS6detail15normal_iteratorINSC_10device_ptrIKiEEEESI_EEEEESK_NSA_INS5_IJNSE_INSF_IiEEEESM_EEEEEPS7_SP_SP_NSC_11hip_rocprim7__merge17predicate_wrapperIiiNSC_7greaterIiEEEEEE10hipError_tPvRmT0_T1_T2_T3_T4_T5_mmT6_P12ihipStream_tbEUlT_E_NS1_11comp_targetILNS1_3genE5ELNS1_11target_archE942ELNS1_3gpuE9ELNS1_3repE0EEENS1_30default_config_static_selectorELNS0_4arch9wavefront6targetE0EEEvS10_, .Lfunc_end426-_ZN7rocprim17ROCPRIM_400000_NS6detail17trampoline_kernelINS0_14default_configENS1_21merge_config_selectorINS0_5tupleIJiiEEENS0_10empty_typeEEEZNS1_10merge_implIS3_NS0_12zip_iteratorINS5_IJN6thrust23THRUST_200600_302600_NS6detail15normal_iteratorINSC_10device_ptrIKiEEEESI_EEEEESK_NSA_INS5_IJNSE_INSF_IiEEEESM_EEEEEPS7_SP_SP_NSC_11hip_rocprim7__merge17predicate_wrapperIiiNSC_7greaterIiEEEEEE10hipError_tPvRmT0_T1_T2_T3_T4_T5_mmT6_P12ihipStream_tbEUlT_E_NS1_11comp_targetILNS1_3genE5ELNS1_11target_archE942ELNS1_3gpuE9ELNS1_3repE0EEENS1_30default_config_static_selectorELNS0_4arch9wavefront6targetE0EEEvS10_
                                        ; -- End function
	.set _ZN7rocprim17ROCPRIM_400000_NS6detail17trampoline_kernelINS0_14default_configENS1_21merge_config_selectorINS0_5tupleIJiiEEENS0_10empty_typeEEEZNS1_10merge_implIS3_NS0_12zip_iteratorINS5_IJN6thrust23THRUST_200600_302600_NS6detail15normal_iteratorINSC_10device_ptrIKiEEEESI_EEEEESK_NSA_INS5_IJNSE_INSF_IiEEEESM_EEEEEPS7_SP_SP_NSC_11hip_rocprim7__merge17predicate_wrapperIiiNSC_7greaterIiEEEEEE10hipError_tPvRmT0_T1_T2_T3_T4_T5_mmT6_P12ihipStream_tbEUlT_E_NS1_11comp_targetILNS1_3genE5ELNS1_11target_archE942ELNS1_3gpuE9ELNS1_3repE0EEENS1_30default_config_static_selectorELNS0_4arch9wavefront6targetE0EEEvS10_.num_vgpr, 0
	.set _ZN7rocprim17ROCPRIM_400000_NS6detail17trampoline_kernelINS0_14default_configENS1_21merge_config_selectorINS0_5tupleIJiiEEENS0_10empty_typeEEEZNS1_10merge_implIS3_NS0_12zip_iteratorINS5_IJN6thrust23THRUST_200600_302600_NS6detail15normal_iteratorINSC_10device_ptrIKiEEEESI_EEEEESK_NSA_INS5_IJNSE_INSF_IiEEEESM_EEEEEPS7_SP_SP_NSC_11hip_rocprim7__merge17predicate_wrapperIiiNSC_7greaterIiEEEEEE10hipError_tPvRmT0_T1_T2_T3_T4_T5_mmT6_P12ihipStream_tbEUlT_E_NS1_11comp_targetILNS1_3genE5ELNS1_11target_archE942ELNS1_3gpuE9ELNS1_3repE0EEENS1_30default_config_static_selectorELNS0_4arch9wavefront6targetE0EEEvS10_.num_agpr, 0
	.set _ZN7rocprim17ROCPRIM_400000_NS6detail17trampoline_kernelINS0_14default_configENS1_21merge_config_selectorINS0_5tupleIJiiEEENS0_10empty_typeEEEZNS1_10merge_implIS3_NS0_12zip_iteratorINS5_IJN6thrust23THRUST_200600_302600_NS6detail15normal_iteratorINSC_10device_ptrIKiEEEESI_EEEEESK_NSA_INS5_IJNSE_INSF_IiEEEESM_EEEEEPS7_SP_SP_NSC_11hip_rocprim7__merge17predicate_wrapperIiiNSC_7greaterIiEEEEEE10hipError_tPvRmT0_T1_T2_T3_T4_T5_mmT6_P12ihipStream_tbEUlT_E_NS1_11comp_targetILNS1_3genE5ELNS1_11target_archE942ELNS1_3gpuE9ELNS1_3repE0EEENS1_30default_config_static_selectorELNS0_4arch9wavefront6targetE0EEEvS10_.numbered_sgpr, 0
	.set _ZN7rocprim17ROCPRIM_400000_NS6detail17trampoline_kernelINS0_14default_configENS1_21merge_config_selectorINS0_5tupleIJiiEEENS0_10empty_typeEEEZNS1_10merge_implIS3_NS0_12zip_iteratorINS5_IJN6thrust23THRUST_200600_302600_NS6detail15normal_iteratorINSC_10device_ptrIKiEEEESI_EEEEESK_NSA_INS5_IJNSE_INSF_IiEEEESM_EEEEEPS7_SP_SP_NSC_11hip_rocprim7__merge17predicate_wrapperIiiNSC_7greaterIiEEEEEE10hipError_tPvRmT0_T1_T2_T3_T4_T5_mmT6_P12ihipStream_tbEUlT_E_NS1_11comp_targetILNS1_3genE5ELNS1_11target_archE942ELNS1_3gpuE9ELNS1_3repE0EEENS1_30default_config_static_selectorELNS0_4arch9wavefront6targetE0EEEvS10_.num_named_barrier, 0
	.set _ZN7rocprim17ROCPRIM_400000_NS6detail17trampoline_kernelINS0_14default_configENS1_21merge_config_selectorINS0_5tupleIJiiEEENS0_10empty_typeEEEZNS1_10merge_implIS3_NS0_12zip_iteratorINS5_IJN6thrust23THRUST_200600_302600_NS6detail15normal_iteratorINSC_10device_ptrIKiEEEESI_EEEEESK_NSA_INS5_IJNSE_INSF_IiEEEESM_EEEEEPS7_SP_SP_NSC_11hip_rocprim7__merge17predicate_wrapperIiiNSC_7greaterIiEEEEEE10hipError_tPvRmT0_T1_T2_T3_T4_T5_mmT6_P12ihipStream_tbEUlT_E_NS1_11comp_targetILNS1_3genE5ELNS1_11target_archE942ELNS1_3gpuE9ELNS1_3repE0EEENS1_30default_config_static_selectorELNS0_4arch9wavefront6targetE0EEEvS10_.private_seg_size, 0
	.set _ZN7rocprim17ROCPRIM_400000_NS6detail17trampoline_kernelINS0_14default_configENS1_21merge_config_selectorINS0_5tupleIJiiEEENS0_10empty_typeEEEZNS1_10merge_implIS3_NS0_12zip_iteratorINS5_IJN6thrust23THRUST_200600_302600_NS6detail15normal_iteratorINSC_10device_ptrIKiEEEESI_EEEEESK_NSA_INS5_IJNSE_INSF_IiEEEESM_EEEEEPS7_SP_SP_NSC_11hip_rocprim7__merge17predicate_wrapperIiiNSC_7greaterIiEEEEEE10hipError_tPvRmT0_T1_T2_T3_T4_T5_mmT6_P12ihipStream_tbEUlT_E_NS1_11comp_targetILNS1_3genE5ELNS1_11target_archE942ELNS1_3gpuE9ELNS1_3repE0EEENS1_30default_config_static_selectorELNS0_4arch9wavefront6targetE0EEEvS10_.uses_vcc, 0
	.set _ZN7rocprim17ROCPRIM_400000_NS6detail17trampoline_kernelINS0_14default_configENS1_21merge_config_selectorINS0_5tupleIJiiEEENS0_10empty_typeEEEZNS1_10merge_implIS3_NS0_12zip_iteratorINS5_IJN6thrust23THRUST_200600_302600_NS6detail15normal_iteratorINSC_10device_ptrIKiEEEESI_EEEEESK_NSA_INS5_IJNSE_INSF_IiEEEESM_EEEEEPS7_SP_SP_NSC_11hip_rocprim7__merge17predicate_wrapperIiiNSC_7greaterIiEEEEEE10hipError_tPvRmT0_T1_T2_T3_T4_T5_mmT6_P12ihipStream_tbEUlT_E_NS1_11comp_targetILNS1_3genE5ELNS1_11target_archE942ELNS1_3gpuE9ELNS1_3repE0EEENS1_30default_config_static_selectorELNS0_4arch9wavefront6targetE0EEEvS10_.uses_flat_scratch, 0
	.set _ZN7rocprim17ROCPRIM_400000_NS6detail17trampoline_kernelINS0_14default_configENS1_21merge_config_selectorINS0_5tupleIJiiEEENS0_10empty_typeEEEZNS1_10merge_implIS3_NS0_12zip_iteratorINS5_IJN6thrust23THRUST_200600_302600_NS6detail15normal_iteratorINSC_10device_ptrIKiEEEESI_EEEEESK_NSA_INS5_IJNSE_INSF_IiEEEESM_EEEEEPS7_SP_SP_NSC_11hip_rocprim7__merge17predicate_wrapperIiiNSC_7greaterIiEEEEEE10hipError_tPvRmT0_T1_T2_T3_T4_T5_mmT6_P12ihipStream_tbEUlT_E_NS1_11comp_targetILNS1_3genE5ELNS1_11target_archE942ELNS1_3gpuE9ELNS1_3repE0EEENS1_30default_config_static_selectorELNS0_4arch9wavefront6targetE0EEEvS10_.has_dyn_sized_stack, 0
	.set _ZN7rocprim17ROCPRIM_400000_NS6detail17trampoline_kernelINS0_14default_configENS1_21merge_config_selectorINS0_5tupleIJiiEEENS0_10empty_typeEEEZNS1_10merge_implIS3_NS0_12zip_iteratorINS5_IJN6thrust23THRUST_200600_302600_NS6detail15normal_iteratorINSC_10device_ptrIKiEEEESI_EEEEESK_NSA_INS5_IJNSE_INSF_IiEEEESM_EEEEEPS7_SP_SP_NSC_11hip_rocprim7__merge17predicate_wrapperIiiNSC_7greaterIiEEEEEE10hipError_tPvRmT0_T1_T2_T3_T4_T5_mmT6_P12ihipStream_tbEUlT_E_NS1_11comp_targetILNS1_3genE5ELNS1_11target_archE942ELNS1_3gpuE9ELNS1_3repE0EEENS1_30default_config_static_selectorELNS0_4arch9wavefront6targetE0EEEvS10_.has_recursion, 0
	.set _ZN7rocprim17ROCPRIM_400000_NS6detail17trampoline_kernelINS0_14default_configENS1_21merge_config_selectorINS0_5tupleIJiiEEENS0_10empty_typeEEEZNS1_10merge_implIS3_NS0_12zip_iteratorINS5_IJN6thrust23THRUST_200600_302600_NS6detail15normal_iteratorINSC_10device_ptrIKiEEEESI_EEEEESK_NSA_INS5_IJNSE_INSF_IiEEEESM_EEEEEPS7_SP_SP_NSC_11hip_rocprim7__merge17predicate_wrapperIiiNSC_7greaterIiEEEEEE10hipError_tPvRmT0_T1_T2_T3_T4_T5_mmT6_P12ihipStream_tbEUlT_E_NS1_11comp_targetILNS1_3genE5ELNS1_11target_archE942ELNS1_3gpuE9ELNS1_3repE0EEENS1_30default_config_static_selectorELNS0_4arch9wavefront6targetE0EEEvS10_.has_indirect_call, 0
	.section	.AMDGPU.csdata,"",@progbits
; Kernel info:
; codeLenInByte = 0
; TotalNumSgprs: 0
; NumVgprs: 0
; ScratchSize: 0
; MemoryBound: 0
; FloatMode: 240
; IeeeMode: 1
; LDSByteSize: 0 bytes/workgroup (compile time only)
; SGPRBlocks: 0
; VGPRBlocks: 0
; NumSGPRsForWavesPerEU: 1
; NumVGPRsForWavesPerEU: 1
; NamedBarCnt: 0
; Occupancy: 16
; WaveLimiterHint : 0
; COMPUTE_PGM_RSRC2:SCRATCH_EN: 0
; COMPUTE_PGM_RSRC2:USER_SGPR: 2
; COMPUTE_PGM_RSRC2:TRAP_HANDLER: 0
; COMPUTE_PGM_RSRC2:TGID_X_EN: 1
; COMPUTE_PGM_RSRC2:TGID_Y_EN: 0
; COMPUTE_PGM_RSRC2:TGID_Z_EN: 0
; COMPUTE_PGM_RSRC2:TIDIG_COMP_CNT: 0
	.section	.text._ZN7rocprim17ROCPRIM_400000_NS6detail17trampoline_kernelINS0_14default_configENS1_21merge_config_selectorINS0_5tupleIJiiEEENS0_10empty_typeEEEZNS1_10merge_implIS3_NS0_12zip_iteratorINS5_IJN6thrust23THRUST_200600_302600_NS6detail15normal_iteratorINSC_10device_ptrIKiEEEESI_EEEEESK_NSA_INS5_IJNSE_INSF_IiEEEESM_EEEEEPS7_SP_SP_NSC_11hip_rocprim7__merge17predicate_wrapperIiiNSC_7greaterIiEEEEEE10hipError_tPvRmT0_T1_T2_T3_T4_T5_mmT6_P12ihipStream_tbEUlT_E_NS1_11comp_targetILNS1_3genE4ELNS1_11target_archE910ELNS1_3gpuE8ELNS1_3repE0EEENS1_30default_config_static_selectorELNS0_4arch9wavefront6targetE0EEEvS10_,"axG",@progbits,_ZN7rocprim17ROCPRIM_400000_NS6detail17trampoline_kernelINS0_14default_configENS1_21merge_config_selectorINS0_5tupleIJiiEEENS0_10empty_typeEEEZNS1_10merge_implIS3_NS0_12zip_iteratorINS5_IJN6thrust23THRUST_200600_302600_NS6detail15normal_iteratorINSC_10device_ptrIKiEEEESI_EEEEESK_NSA_INS5_IJNSE_INSF_IiEEEESM_EEEEEPS7_SP_SP_NSC_11hip_rocprim7__merge17predicate_wrapperIiiNSC_7greaterIiEEEEEE10hipError_tPvRmT0_T1_T2_T3_T4_T5_mmT6_P12ihipStream_tbEUlT_E_NS1_11comp_targetILNS1_3genE4ELNS1_11target_archE910ELNS1_3gpuE8ELNS1_3repE0EEENS1_30default_config_static_selectorELNS0_4arch9wavefront6targetE0EEEvS10_,comdat
	.protected	_ZN7rocprim17ROCPRIM_400000_NS6detail17trampoline_kernelINS0_14default_configENS1_21merge_config_selectorINS0_5tupleIJiiEEENS0_10empty_typeEEEZNS1_10merge_implIS3_NS0_12zip_iteratorINS5_IJN6thrust23THRUST_200600_302600_NS6detail15normal_iteratorINSC_10device_ptrIKiEEEESI_EEEEESK_NSA_INS5_IJNSE_INSF_IiEEEESM_EEEEEPS7_SP_SP_NSC_11hip_rocprim7__merge17predicate_wrapperIiiNSC_7greaterIiEEEEEE10hipError_tPvRmT0_T1_T2_T3_T4_T5_mmT6_P12ihipStream_tbEUlT_E_NS1_11comp_targetILNS1_3genE4ELNS1_11target_archE910ELNS1_3gpuE8ELNS1_3repE0EEENS1_30default_config_static_selectorELNS0_4arch9wavefront6targetE0EEEvS10_ ; -- Begin function _ZN7rocprim17ROCPRIM_400000_NS6detail17trampoline_kernelINS0_14default_configENS1_21merge_config_selectorINS0_5tupleIJiiEEENS0_10empty_typeEEEZNS1_10merge_implIS3_NS0_12zip_iteratorINS5_IJN6thrust23THRUST_200600_302600_NS6detail15normal_iteratorINSC_10device_ptrIKiEEEESI_EEEEESK_NSA_INS5_IJNSE_INSF_IiEEEESM_EEEEEPS7_SP_SP_NSC_11hip_rocprim7__merge17predicate_wrapperIiiNSC_7greaterIiEEEEEE10hipError_tPvRmT0_T1_T2_T3_T4_T5_mmT6_P12ihipStream_tbEUlT_E_NS1_11comp_targetILNS1_3genE4ELNS1_11target_archE910ELNS1_3gpuE8ELNS1_3repE0EEENS1_30default_config_static_selectorELNS0_4arch9wavefront6targetE0EEEvS10_
	.globl	_ZN7rocprim17ROCPRIM_400000_NS6detail17trampoline_kernelINS0_14default_configENS1_21merge_config_selectorINS0_5tupleIJiiEEENS0_10empty_typeEEEZNS1_10merge_implIS3_NS0_12zip_iteratorINS5_IJN6thrust23THRUST_200600_302600_NS6detail15normal_iteratorINSC_10device_ptrIKiEEEESI_EEEEESK_NSA_INS5_IJNSE_INSF_IiEEEESM_EEEEEPS7_SP_SP_NSC_11hip_rocprim7__merge17predicate_wrapperIiiNSC_7greaterIiEEEEEE10hipError_tPvRmT0_T1_T2_T3_T4_T5_mmT6_P12ihipStream_tbEUlT_E_NS1_11comp_targetILNS1_3genE4ELNS1_11target_archE910ELNS1_3gpuE8ELNS1_3repE0EEENS1_30default_config_static_selectorELNS0_4arch9wavefront6targetE0EEEvS10_
	.p2align	8
	.type	_ZN7rocprim17ROCPRIM_400000_NS6detail17trampoline_kernelINS0_14default_configENS1_21merge_config_selectorINS0_5tupleIJiiEEENS0_10empty_typeEEEZNS1_10merge_implIS3_NS0_12zip_iteratorINS5_IJN6thrust23THRUST_200600_302600_NS6detail15normal_iteratorINSC_10device_ptrIKiEEEESI_EEEEESK_NSA_INS5_IJNSE_INSF_IiEEEESM_EEEEEPS7_SP_SP_NSC_11hip_rocprim7__merge17predicate_wrapperIiiNSC_7greaterIiEEEEEE10hipError_tPvRmT0_T1_T2_T3_T4_T5_mmT6_P12ihipStream_tbEUlT_E_NS1_11comp_targetILNS1_3genE4ELNS1_11target_archE910ELNS1_3gpuE8ELNS1_3repE0EEENS1_30default_config_static_selectorELNS0_4arch9wavefront6targetE0EEEvS10_,@function
_ZN7rocprim17ROCPRIM_400000_NS6detail17trampoline_kernelINS0_14default_configENS1_21merge_config_selectorINS0_5tupleIJiiEEENS0_10empty_typeEEEZNS1_10merge_implIS3_NS0_12zip_iteratorINS5_IJN6thrust23THRUST_200600_302600_NS6detail15normal_iteratorINSC_10device_ptrIKiEEEESI_EEEEESK_NSA_INS5_IJNSE_INSF_IiEEEESM_EEEEEPS7_SP_SP_NSC_11hip_rocprim7__merge17predicate_wrapperIiiNSC_7greaterIiEEEEEE10hipError_tPvRmT0_T1_T2_T3_T4_T5_mmT6_P12ihipStream_tbEUlT_E_NS1_11comp_targetILNS1_3genE4ELNS1_11target_archE910ELNS1_3gpuE8ELNS1_3repE0EEENS1_30default_config_static_selectorELNS0_4arch9wavefront6targetE0EEEvS10_: ; @_ZN7rocprim17ROCPRIM_400000_NS6detail17trampoline_kernelINS0_14default_configENS1_21merge_config_selectorINS0_5tupleIJiiEEENS0_10empty_typeEEEZNS1_10merge_implIS3_NS0_12zip_iteratorINS5_IJN6thrust23THRUST_200600_302600_NS6detail15normal_iteratorINSC_10device_ptrIKiEEEESI_EEEEESK_NSA_INS5_IJNSE_INSF_IiEEEESM_EEEEEPS7_SP_SP_NSC_11hip_rocprim7__merge17predicate_wrapperIiiNSC_7greaterIiEEEEEE10hipError_tPvRmT0_T1_T2_T3_T4_T5_mmT6_P12ihipStream_tbEUlT_E_NS1_11comp_targetILNS1_3genE4ELNS1_11target_archE910ELNS1_3gpuE8ELNS1_3repE0EEENS1_30default_config_static_selectorELNS0_4arch9wavefront6targetE0EEEvS10_
; %bb.0:
	.section	.rodata,"a",@progbits
	.p2align	6, 0x0
	.amdhsa_kernel _ZN7rocprim17ROCPRIM_400000_NS6detail17trampoline_kernelINS0_14default_configENS1_21merge_config_selectorINS0_5tupleIJiiEEENS0_10empty_typeEEEZNS1_10merge_implIS3_NS0_12zip_iteratorINS5_IJN6thrust23THRUST_200600_302600_NS6detail15normal_iteratorINSC_10device_ptrIKiEEEESI_EEEEESK_NSA_INS5_IJNSE_INSF_IiEEEESM_EEEEEPS7_SP_SP_NSC_11hip_rocprim7__merge17predicate_wrapperIiiNSC_7greaterIiEEEEEE10hipError_tPvRmT0_T1_T2_T3_T4_T5_mmT6_P12ihipStream_tbEUlT_E_NS1_11comp_targetILNS1_3genE4ELNS1_11target_archE910ELNS1_3gpuE8ELNS1_3repE0EEENS1_30default_config_static_selectorELNS0_4arch9wavefront6targetE0EEEvS10_
		.amdhsa_group_segment_fixed_size 0
		.amdhsa_private_segment_fixed_size 0
		.amdhsa_kernarg_size 64
		.amdhsa_user_sgpr_count 2
		.amdhsa_user_sgpr_dispatch_ptr 0
		.amdhsa_user_sgpr_queue_ptr 0
		.amdhsa_user_sgpr_kernarg_segment_ptr 1
		.amdhsa_user_sgpr_dispatch_id 0
		.amdhsa_user_sgpr_kernarg_preload_length 0
		.amdhsa_user_sgpr_kernarg_preload_offset 0
		.amdhsa_user_sgpr_private_segment_size 0
		.amdhsa_wavefront_size32 1
		.amdhsa_uses_dynamic_stack 0
		.amdhsa_enable_private_segment 0
		.amdhsa_system_sgpr_workgroup_id_x 1
		.amdhsa_system_sgpr_workgroup_id_y 0
		.amdhsa_system_sgpr_workgroup_id_z 0
		.amdhsa_system_sgpr_workgroup_info 0
		.amdhsa_system_vgpr_workitem_id 0
		.amdhsa_next_free_vgpr 1
		.amdhsa_next_free_sgpr 1
		.amdhsa_named_barrier_count 0
		.amdhsa_reserve_vcc 0
		.amdhsa_float_round_mode_32 0
		.amdhsa_float_round_mode_16_64 0
		.amdhsa_float_denorm_mode_32 3
		.amdhsa_float_denorm_mode_16_64 3
		.amdhsa_fp16_overflow 0
		.amdhsa_memory_ordered 1
		.amdhsa_forward_progress 1
		.amdhsa_inst_pref_size 0
		.amdhsa_round_robin_scheduling 0
		.amdhsa_exception_fp_ieee_invalid_op 0
		.amdhsa_exception_fp_denorm_src 0
		.amdhsa_exception_fp_ieee_div_zero 0
		.amdhsa_exception_fp_ieee_overflow 0
		.amdhsa_exception_fp_ieee_underflow 0
		.amdhsa_exception_fp_ieee_inexact 0
		.amdhsa_exception_int_div_zero 0
	.end_amdhsa_kernel
	.section	.text._ZN7rocprim17ROCPRIM_400000_NS6detail17trampoline_kernelINS0_14default_configENS1_21merge_config_selectorINS0_5tupleIJiiEEENS0_10empty_typeEEEZNS1_10merge_implIS3_NS0_12zip_iteratorINS5_IJN6thrust23THRUST_200600_302600_NS6detail15normal_iteratorINSC_10device_ptrIKiEEEESI_EEEEESK_NSA_INS5_IJNSE_INSF_IiEEEESM_EEEEEPS7_SP_SP_NSC_11hip_rocprim7__merge17predicate_wrapperIiiNSC_7greaterIiEEEEEE10hipError_tPvRmT0_T1_T2_T3_T4_T5_mmT6_P12ihipStream_tbEUlT_E_NS1_11comp_targetILNS1_3genE4ELNS1_11target_archE910ELNS1_3gpuE8ELNS1_3repE0EEENS1_30default_config_static_selectorELNS0_4arch9wavefront6targetE0EEEvS10_,"axG",@progbits,_ZN7rocprim17ROCPRIM_400000_NS6detail17trampoline_kernelINS0_14default_configENS1_21merge_config_selectorINS0_5tupleIJiiEEENS0_10empty_typeEEEZNS1_10merge_implIS3_NS0_12zip_iteratorINS5_IJN6thrust23THRUST_200600_302600_NS6detail15normal_iteratorINSC_10device_ptrIKiEEEESI_EEEEESK_NSA_INS5_IJNSE_INSF_IiEEEESM_EEEEEPS7_SP_SP_NSC_11hip_rocprim7__merge17predicate_wrapperIiiNSC_7greaterIiEEEEEE10hipError_tPvRmT0_T1_T2_T3_T4_T5_mmT6_P12ihipStream_tbEUlT_E_NS1_11comp_targetILNS1_3genE4ELNS1_11target_archE910ELNS1_3gpuE8ELNS1_3repE0EEENS1_30default_config_static_selectorELNS0_4arch9wavefront6targetE0EEEvS10_,comdat
.Lfunc_end427:
	.size	_ZN7rocprim17ROCPRIM_400000_NS6detail17trampoline_kernelINS0_14default_configENS1_21merge_config_selectorINS0_5tupleIJiiEEENS0_10empty_typeEEEZNS1_10merge_implIS3_NS0_12zip_iteratorINS5_IJN6thrust23THRUST_200600_302600_NS6detail15normal_iteratorINSC_10device_ptrIKiEEEESI_EEEEESK_NSA_INS5_IJNSE_INSF_IiEEEESM_EEEEEPS7_SP_SP_NSC_11hip_rocprim7__merge17predicate_wrapperIiiNSC_7greaterIiEEEEEE10hipError_tPvRmT0_T1_T2_T3_T4_T5_mmT6_P12ihipStream_tbEUlT_E_NS1_11comp_targetILNS1_3genE4ELNS1_11target_archE910ELNS1_3gpuE8ELNS1_3repE0EEENS1_30default_config_static_selectorELNS0_4arch9wavefront6targetE0EEEvS10_, .Lfunc_end427-_ZN7rocprim17ROCPRIM_400000_NS6detail17trampoline_kernelINS0_14default_configENS1_21merge_config_selectorINS0_5tupleIJiiEEENS0_10empty_typeEEEZNS1_10merge_implIS3_NS0_12zip_iteratorINS5_IJN6thrust23THRUST_200600_302600_NS6detail15normal_iteratorINSC_10device_ptrIKiEEEESI_EEEEESK_NSA_INS5_IJNSE_INSF_IiEEEESM_EEEEEPS7_SP_SP_NSC_11hip_rocprim7__merge17predicate_wrapperIiiNSC_7greaterIiEEEEEE10hipError_tPvRmT0_T1_T2_T3_T4_T5_mmT6_P12ihipStream_tbEUlT_E_NS1_11comp_targetILNS1_3genE4ELNS1_11target_archE910ELNS1_3gpuE8ELNS1_3repE0EEENS1_30default_config_static_selectorELNS0_4arch9wavefront6targetE0EEEvS10_
                                        ; -- End function
	.set _ZN7rocprim17ROCPRIM_400000_NS6detail17trampoline_kernelINS0_14default_configENS1_21merge_config_selectorINS0_5tupleIJiiEEENS0_10empty_typeEEEZNS1_10merge_implIS3_NS0_12zip_iteratorINS5_IJN6thrust23THRUST_200600_302600_NS6detail15normal_iteratorINSC_10device_ptrIKiEEEESI_EEEEESK_NSA_INS5_IJNSE_INSF_IiEEEESM_EEEEEPS7_SP_SP_NSC_11hip_rocprim7__merge17predicate_wrapperIiiNSC_7greaterIiEEEEEE10hipError_tPvRmT0_T1_T2_T3_T4_T5_mmT6_P12ihipStream_tbEUlT_E_NS1_11comp_targetILNS1_3genE4ELNS1_11target_archE910ELNS1_3gpuE8ELNS1_3repE0EEENS1_30default_config_static_selectorELNS0_4arch9wavefront6targetE0EEEvS10_.num_vgpr, 0
	.set _ZN7rocprim17ROCPRIM_400000_NS6detail17trampoline_kernelINS0_14default_configENS1_21merge_config_selectorINS0_5tupleIJiiEEENS0_10empty_typeEEEZNS1_10merge_implIS3_NS0_12zip_iteratorINS5_IJN6thrust23THRUST_200600_302600_NS6detail15normal_iteratorINSC_10device_ptrIKiEEEESI_EEEEESK_NSA_INS5_IJNSE_INSF_IiEEEESM_EEEEEPS7_SP_SP_NSC_11hip_rocprim7__merge17predicate_wrapperIiiNSC_7greaterIiEEEEEE10hipError_tPvRmT0_T1_T2_T3_T4_T5_mmT6_P12ihipStream_tbEUlT_E_NS1_11comp_targetILNS1_3genE4ELNS1_11target_archE910ELNS1_3gpuE8ELNS1_3repE0EEENS1_30default_config_static_selectorELNS0_4arch9wavefront6targetE0EEEvS10_.num_agpr, 0
	.set _ZN7rocprim17ROCPRIM_400000_NS6detail17trampoline_kernelINS0_14default_configENS1_21merge_config_selectorINS0_5tupleIJiiEEENS0_10empty_typeEEEZNS1_10merge_implIS3_NS0_12zip_iteratorINS5_IJN6thrust23THRUST_200600_302600_NS6detail15normal_iteratorINSC_10device_ptrIKiEEEESI_EEEEESK_NSA_INS5_IJNSE_INSF_IiEEEESM_EEEEEPS7_SP_SP_NSC_11hip_rocprim7__merge17predicate_wrapperIiiNSC_7greaterIiEEEEEE10hipError_tPvRmT0_T1_T2_T3_T4_T5_mmT6_P12ihipStream_tbEUlT_E_NS1_11comp_targetILNS1_3genE4ELNS1_11target_archE910ELNS1_3gpuE8ELNS1_3repE0EEENS1_30default_config_static_selectorELNS0_4arch9wavefront6targetE0EEEvS10_.numbered_sgpr, 0
	.set _ZN7rocprim17ROCPRIM_400000_NS6detail17trampoline_kernelINS0_14default_configENS1_21merge_config_selectorINS0_5tupleIJiiEEENS0_10empty_typeEEEZNS1_10merge_implIS3_NS0_12zip_iteratorINS5_IJN6thrust23THRUST_200600_302600_NS6detail15normal_iteratorINSC_10device_ptrIKiEEEESI_EEEEESK_NSA_INS5_IJNSE_INSF_IiEEEESM_EEEEEPS7_SP_SP_NSC_11hip_rocprim7__merge17predicate_wrapperIiiNSC_7greaterIiEEEEEE10hipError_tPvRmT0_T1_T2_T3_T4_T5_mmT6_P12ihipStream_tbEUlT_E_NS1_11comp_targetILNS1_3genE4ELNS1_11target_archE910ELNS1_3gpuE8ELNS1_3repE0EEENS1_30default_config_static_selectorELNS0_4arch9wavefront6targetE0EEEvS10_.num_named_barrier, 0
	.set _ZN7rocprim17ROCPRIM_400000_NS6detail17trampoline_kernelINS0_14default_configENS1_21merge_config_selectorINS0_5tupleIJiiEEENS0_10empty_typeEEEZNS1_10merge_implIS3_NS0_12zip_iteratorINS5_IJN6thrust23THRUST_200600_302600_NS6detail15normal_iteratorINSC_10device_ptrIKiEEEESI_EEEEESK_NSA_INS5_IJNSE_INSF_IiEEEESM_EEEEEPS7_SP_SP_NSC_11hip_rocprim7__merge17predicate_wrapperIiiNSC_7greaterIiEEEEEE10hipError_tPvRmT0_T1_T2_T3_T4_T5_mmT6_P12ihipStream_tbEUlT_E_NS1_11comp_targetILNS1_3genE4ELNS1_11target_archE910ELNS1_3gpuE8ELNS1_3repE0EEENS1_30default_config_static_selectorELNS0_4arch9wavefront6targetE0EEEvS10_.private_seg_size, 0
	.set _ZN7rocprim17ROCPRIM_400000_NS6detail17trampoline_kernelINS0_14default_configENS1_21merge_config_selectorINS0_5tupleIJiiEEENS0_10empty_typeEEEZNS1_10merge_implIS3_NS0_12zip_iteratorINS5_IJN6thrust23THRUST_200600_302600_NS6detail15normal_iteratorINSC_10device_ptrIKiEEEESI_EEEEESK_NSA_INS5_IJNSE_INSF_IiEEEESM_EEEEEPS7_SP_SP_NSC_11hip_rocprim7__merge17predicate_wrapperIiiNSC_7greaterIiEEEEEE10hipError_tPvRmT0_T1_T2_T3_T4_T5_mmT6_P12ihipStream_tbEUlT_E_NS1_11comp_targetILNS1_3genE4ELNS1_11target_archE910ELNS1_3gpuE8ELNS1_3repE0EEENS1_30default_config_static_selectorELNS0_4arch9wavefront6targetE0EEEvS10_.uses_vcc, 0
	.set _ZN7rocprim17ROCPRIM_400000_NS6detail17trampoline_kernelINS0_14default_configENS1_21merge_config_selectorINS0_5tupleIJiiEEENS0_10empty_typeEEEZNS1_10merge_implIS3_NS0_12zip_iteratorINS5_IJN6thrust23THRUST_200600_302600_NS6detail15normal_iteratorINSC_10device_ptrIKiEEEESI_EEEEESK_NSA_INS5_IJNSE_INSF_IiEEEESM_EEEEEPS7_SP_SP_NSC_11hip_rocprim7__merge17predicate_wrapperIiiNSC_7greaterIiEEEEEE10hipError_tPvRmT0_T1_T2_T3_T4_T5_mmT6_P12ihipStream_tbEUlT_E_NS1_11comp_targetILNS1_3genE4ELNS1_11target_archE910ELNS1_3gpuE8ELNS1_3repE0EEENS1_30default_config_static_selectorELNS0_4arch9wavefront6targetE0EEEvS10_.uses_flat_scratch, 0
	.set _ZN7rocprim17ROCPRIM_400000_NS6detail17trampoline_kernelINS0_14default_configENS1_21merge_config_selectorINS0_5tupleIJiiEEENS0_10empty_typeEEEZNS1_10merge_implIS3_NS0_12zip_iteratorINS5_IJN6thrust23THRUST_200600_302600_NS6detail15normal_iteratorINSC_10device_ptrIKiEEEESI_EEEEESK_NSA_INS5_IJNSE_INSF_IiEEEESM_EEEEEPS7_SP_SP_NSC_11hip_rocprim7__merge17predicate_wrapperIiiNSC_7greaterIiEEEEEE10hipError_tPvRmT0_T1_T2_T3_T4_T5_mmT6_P12ihipStream_tbEUlT_E_NS1_11comp_targetILNS1_3genE4ELNS1_11target_archE910ELNS1_3gpuE8ELNS1_3repE0EEENS1_30default_config_static_selectorELNS0_4arch9wavefront6targetE0EEEvS10_.has_dyn_sized_stack, 0
	.set _ZN7rocprim17ROCPRIM_400000_NS6detail17trampoline_kernelINS0_14default_configENS1_21merge_config_selectorINS0_5tupleIJiiEEENS0_10empty_typeEEEZNS1_10merge_implIS3_NS0_12zip_iteratorINS5_IJN6thrust23THRUST_200600_302600_NS6detail15normal_iteratorINSC_10device_ptrIKiEEEESI_EEEEESK_NSA_INS5_IJNSE_INSF_IiEEEESM_EEEEEPS7_SP_SP_NSC_11hip_rocprim7__merge17predicate_wrapperIiiNSC_7greaterIiEEEEEE10hipError_tPvRmT0_T1_T2_T3_T4_T5_mmT6_P12ihipStream_tbEUlT_E_NS1_11comp_targetILNS1_3genE4ELNS1_11target_archE910ELNS1_3gpuE8ELNS1_3repE0EEENS1_30default_config_static_selectorELNS0_4arch9wavefront6targetE0EEEvS10_.has_recursion, 0
	.set _ZN7rocprim17ROCPRIM_400000_NS6detail17trampoline_kernelINS0_14default_configENS1_21merge_config_selectorINS0_5tupleIJiiEEENS0_10empty_typeEEEZNS1_10merge_implIS3_NS0_12zip_iteratorINS5_IJN6thrust23THRUST_200600_302600_NS6detail15normal_iteratorINSC_10device_ptrIKiEEEESI_EEEEESK_NSA_INS5_IJNSE_INSF_IiEEEESM_EEEEEPS7_SP_SP_NSC_11hip_rocprim7__merge17predicate_wrapperIiiNSC_7greaterIiEEEEEE10hipError_tPvRmT0_T1_T2_T3_T4_T5_mmT6_P12ihipStream_tbEUlT_E_NS1_11comp_targetILNS1_3genE4ELNS1_11target_archE910ELNS1_3gpuE8ELNS1_3repE0EEENS1_30default_config_static_selectorELNS0_4arch9wavefront6targetE0EEEvS10_.has_indirect_call, 0
	.section	.AMDGPU.csdata,"",@progbits
; Kernel info:
; codeLenInByte = 0
; TotalNumSgprs: 0
; NumVgprs: 0
; ScratchSize: 0
; MemoryBound: 0
; FloatMode: 240
; IeeeMode: 1
; LDSByteSize: 0 bytes/workgroup (compile time only)
; SGPRBlocks: 0
; VGPRBlocks: 0
; NumSGPRsForWavesPerEU: 1
; NumVGPRsForWavesPerEU: 1
; NamedBarCnt: 0
; Occupancy: 16
; WaveLimiterHint : 0
; COMPUTE_PGM_RSRC2:SCRATCH_EN: 0
; COMPUTE_PGM_RSRC2:USER_SGPR: 2
; COMPUTE_PGM_RSRC2:TRAP_HANDLER: 0
; COMPUTE_PGM_RSRC2:TGID_X_EN: 1
; COMPUTE_PGM_RSRC2:TGID_Y_EN: 0
; COMPUTE_PGM_RSRC2:TGID_Z_EN: 0
; COMPUTE_PGM_RSRC2:TIDIG_COMP_CNT: 0
	.section	.text._ZN7rocprim17ROCPRIM_400000_NS6detail17trampoline_kernelINS0_14default_configENS1_21merge_config_selectorINS0_5tupleIJiiEEENS0_10empty_typeEEEZNS1_10merge_implIS3_NS0_12zip_iteratorINS5_IJN6thrust23THRUST_200600_302600_NS6detail15normal_iteratorINSC_10device_ptrIKiEEEESI_EEEEESK_NSA_INS5_IJNSE_INSF_IiEEEESM_EEEEEPS7_SP_SP_NSC_11hip_rocprim7__merge17predicate_wrapperIiiNSC_7greaterIiEEEEEE10hipError_tPvRmT0_T1_T2_T3_T4_T5_mmT6_P12ihipStream_tbEUlT_E_NS1_11comp_targetILNS1_3genE3ELNS1_11target_archE908ELNS1_3gpuE7ELNS1_3repE0EEENS1_30default_config_static_selectorELNS0_4arch9wavefront6targetE0EEEvS10_,"axG",@progbits,_ZN7rocprim17ROCPRIM_400000_NS6detail17trampoline_kernelINS0_14default_configENS1_21merge_config_selectorINS0_5tupleIJiiEEENS0_10empty_typeEEEZNS1_10merge_implIS3_NS0_12zip_iteratorINS5_IJN6thrust23THRUST_200600_302600_NS6detail15normal_iteratorINSC_10device_ptrIKiEEEESI_EEEEESK_NSA_INS5_IJNSE_INSF_IiEEEESM_EEEEEPS7_SP_SP_NSC_11hip_rocprim7__merge17predicate_wrapperIiiNSC_7greaterIiEEEEEE10hipError_tPvRmT0_T1_T2_T3_T4_T5_mmT6_P12ihipStream_tbEUlT_E_NS1_11comp_targetILNS1_3genE3ELNS1_11target_archE908ELNS1_3gpuE7ELNS1_3repE0EEENS1_30default_config_static_selectorELNS0_4arch9wavefront6targetE0EEEvS10_,comdat
	.protected	_ZN7rocprim17ROCPRIM_400000_NS6detail17trampoline_kernelINS0_14default_configENS1_21merge_config_selectorINS0_5tupleIJiiEEENS0_10empty_typeEEEZNS1_10merge_implIS3_NS0_12zip_iteratorINS5_IJN6thrust23THRUST_200600_302600_NS6detail15normal_iteratorINSC_10device_ptrIKiEEEESI_EEEEESK_NSA_INS5_IJNSE_INSF_IiEEEESM_EEEEEPS7_SP_SP_NSC_11hip_rocprim7__merge17predicate_wrapperIiiNSC_7greaterIiEEEEEE10hipError_tPvRmT0_T1_T2_T3_T4_T5_mmT6_P12ihipStream_tbEUlT_E_NS1_11comp_targetILNS1_3genE3ELNS1_11target_archE908ELNS1_3gpuE7ELNS1_3repE0EEENS1_30default_config_static_selectorELNS0_4arch9wavefront6targetE0EEEvS10_ ; -- Begin function _ZN7rocprim17ROCPRIM_400000_NS6detail17trampoline_kernelINS0_14default_configENS1_21merge_config_selectorINS0_5tupleIJiiEEENS0_10empty_typeEEEZNS1_10merge_implIS3_NS0_12zip_iteratorINS5_IJN6thrust23THRUST_200600_302600_NS6detail15normal_iteratorINSC_10device_ptrIKiEEEESI_EEEEESK_NSA_INS5_IJNSE_INSF_IiEEEESM_EEEEEPS7_SP_SP_NSC_11hip_rocprim7__merge17predicate_wrapperIiiNSC_7greaterIiEEEEEE10hipError_tPvRmT0_T1_T2_T3_T4_T5_mmT6_P12ihipStream_tbEUlT_E_NS1_11comp_targetILNS1_3genE3ELNS1_11target_archE908ELNS1_3gpuE7ELNS1_3repE0EEENS1_30default_config_static_selectorELNS0_4arch9wavefront6targetE0EEEvS10_
	.globl	_ZN7rocprim17ROCPRIM_400000_NS6detail17trampoline_kernelINS0_14default_configENS1_21merge_config_selectorINS0_5tupleIJiiEEENS0_10empty_typeEEEZNS1_10merge_implIS3_NS0_12zip_iteratorINS5_IJN6thrust23THRUST_200600_302600_NS6detail15normal_iteratorINSC_10device_ptrIKiEEEESI_EEEEESK_NSA_INS5_IJNSE_INSF_IiEEEESM_EEEEEPS7_SP_SP_NSC_11hip_rocprim7__merge17predicate_wrapperIiiNSC_7greaterIiEEEEEE10hipError_tPvRmT0_T1_T2_T3_T4_T5_mmT6_P12ihipStream_tbEUlT_E_NS1_11comp_targetILNS1_3genE3ELNS1_11target_archE908ELNS1_3gpuE7ELNS1_3repE0EEENS1_30default_config_static_selectorELNS0_4arch9wavefront6targetE0EEEvS10_
	.p2align	8
	.type	_ZN7rocprim17ROCPRIM_400000_NS6detail17trampoline_kernelINS0_14default_configENS1_21merge_config_selectorINS0_5tupleIJiiEEENS0_10empty_typeEEEZNS1_10merge_implIS3_NS0_12zip_iteratorINS5_IJN6thrust23THRUST_200600_302600_NS6detail15normal_iteratorINSC_10device_ptrIKiEEEESI_EEEEESK_NSA_INS5_IJNSE_INSF_IiEEEESM_EEEEEPS7_SP_SP_NSC_11hip_rocprim7__merge17predicate_wrapperIiiNSC_7greaterIiEEEEEE10hipError_tPvRmT0_T1_T2_T3_T4_T5_mmT6_P12ihipStream_tbEUlT_E_NS1_11comp_targetILNS1_3genE3ELNS1_11target_archE908ELNS1_3gpuE7ELNS1_3repE0EEENS1_30default_config_static_selectorELNS0_4arch9wavefront6targetE0EEEvS10_,@function
_ZN7rocprim17ROCPRIM_400000_NS6detail17trampoline_kernelINS0_14default_configENS1_21merge_config_selectorINS0_5tupleIJiiEEENS0_10empty_typeEEEZNS1_10merge_implIS3_NS0_12zip_iteratorINS5_IJN6thrust23THRUST_200600_302600_NS6detail15normal_iteratorINSC_10device_ptrIKiEEEESI_EEEEESK_NSA_INS5_IJNSE_INSF_IiEEEESM_EEEEEPS7_SP_SP_NSC_11hip_rocprim7__merge17predicate_wrapperIiiNSC_7greaterIiEEEEEE10hipError_tPvRmT0_T1_T2_T3_T4_T5_mmT6_P12ihipStream_tbEUlT_E_NS1_11comp_targetILNS1_3genE3ELNS1_11target_archE908ELNS1_3gpuE7ELNS1_3repE0EEENS1_30default_config_static_selectorELNS0_4arch9wavefront6targetE0EEEvS10_: ; @_ZN7rocprim17ROCPRIM_400000_NS6detail17trampoline_kernelINS0_14default_configENS1_21merge_config_selectorINS0_5tupleIJiiEEENS0_10empty_typeEEEZNS1_10merge_implIS3_NS0_12zip_iteratorINS5_IJN6thrust23THRUST_200600_302600_NS6detail15normal_iteratorINSC_10device_ptrIKiEEEESI_EEEEESK_NSA_INS5_IJNSE_INSF_IiEEEESM_EEEEEPS7_SP_SP_NSC_11hip_rocprim7__merge17predicate_wrapperIiiNSC_7greaterIiEEEEEE10hipError_tPvRmT0_T1_T2_T3_T4_T5_mmT6_P12ihipStream_tbEUlT_E_NS1_11comp_targetILNS1_3genE3ELNS1_11target_archE908ELNS1_3gpuE7ELNS1_3repE0EEENS1_30default_config_static_selectorELNS0_4arch9wavefront6targetE0EEEvS10_
; %bb.0:
	.section	.rodata,"a",@progbits
	.p2align	6, 0x0
	.amdhsa_kernel _ZN7rocprim17ROCPRIM_400000_NS6detail17trampoline_kernelINS0_14default_configENS1_21merge_config_selectorINS0_5tupleIJiiEEENS0_10empty_typeEEEZNS1_10merge_implIS3_NS0_12zip_iteratorINS5_IJN6thrust23THRUST_200600_302600_NS6detail15normal_iteratorINSC_10device_ptrIKiEEEESI_EEEEESK_NSA_INS5_IJNSE_INSF_IiEEEESM_EEEEEPS7_SP_SP_NSC_11hip_rocprim7__merge17predicate_wrapperIiiNSC_7greaterIiEEEEEE10hipError_tPvRmT0_T1_T2_T3_T4_T5_mmT6_P12ihipStream_tbEUlT_E_NS1_11comp_targetILNS1_3genE3ELNS1_11target_archE908ELNS1_3gpuE7ELNS1_3repE0EEENS1_30default_config_static_selectorELNS0_4arch9wavefront6targetE0EEEvS10_
		.amdhsa_group_segment_fixed_size 0
		.amdhsa_private_segment_fixed_size 0
		.amdhsa_kernarg_size 64
		.amdhsa_user_sgpr_count 2
		.amdhsa_user_sgpr_dispatch_ptr 0
		.amdhsa_user_sgpr_queue_ptr 0
		.amdhsa_user_sgpr_kernarg_segment_ptr 1
		.amdhsa_user_sgpr_dispatch_id 0
		.amdhsa_user_sgpr_kernarg_preload_length 0
		.amdhsa_user_sgpr_kernarg_preload_offset 0
		.amdhsa_user_sgpr_private_segment_size 0
		.amdhsa_wavefront_size32 1
		.amdhsa_uses_dynamic_stack 0
		.amdhsa_enable_private_segment 0
		.amdhsa_system_sgpr_workgroup_id_x 1
		.amdhsa_system_sgpr_workgroup_id_y 0
		.amdhsa_system_sgpr_workgroup_id_z 0
		.amdhsa_system_sgpr_workgroup_info 0
		.amdhsa_system_vgpr_workitem_id 0
		.amdhsa_next_free_vgpr 1
		.amdhsa_next_free_sgpr 1
		.amdhsa_named_barrier_count 0
		.amdhsa_reserve_vcc 0
		.amdhsa_float_round_mode_32 0
		.amdhsa_float_round_mode_16_64 0
		.amdhsa_float_denorm_mode_32 3
		.amdhsa_float_denorm_mode_16_64 3
		.amdhsa_fp16_overflow 0
		.amdhsa_memory_ordered 1
		.amdhsa_forward_progress 1
		.amdhsa_inst_pref_size 0
		.amdhsa_round_robin_scheduling 0
		.amdhsa_exception_fp_ieee_invalid_op 0
		.amdhsa_exception_fp_denorm_src 0
		.amdhsa_exception_fp_ieee_div_zero 0
		.amdhsa_exception_fp_ieee_overflow 0
		.amdhsa_exception_fp_ieee_underflow 0
		.amdhsa_exception_fp_ieee_inexact 0
		.amdhsa_exception_int_div_zero 0
	.end_amdhsa_kernel
	.section	.text._ZN7rocprim17ROCPRIM_400000_NS6detail17trampoline_kernelINS0_14default_configENS1_21merge_config_selectorINS0_5tupleIJiiEEENS0_10empty_typeEEEZNS1_10merge_implIS3_NS0_12zip_iteratorINS5_IJN6thrust23THRUST_200600_302600_NS6detail15normal_iteratorINSC_10device_ptrIKiEEEESI_EEEEESK_NSA_INS5_IJNSE_INSF_IiEEEESM_EEEEEPS7_SP_SP_NSC_11hip_rocprim7__merge17predicate_wrapperIiiNSC_7greaterIiEEEEEE10hipError_tPvRmT0_T1_T2_T3_T4_T5_mmT6_P12ihipStream_tbEUlT_E_NS1_11comp_targetILNS1_3genE3ELNS1_11target_archE908ELNS1_3gpuE7ELNS1_3repE0EEENS1_30default_config_static_selectorELNS0_4arch9wavefront6targetE0EEEvS10_,"axG",@progbits,_ZN7rocprim17ROCPRIM_400000_NS6detail17trampoline_kernelINS0_14default_configENS1_21merge_config_selectorINS0_5tupleIJiiEEENS0_10empty_typeEEEZNS1_10merge_implIS3_NS0_12zip_iteratorINS5_IJN6thrust23THRUST_200600_302600_NS6detail15normal_iteratorINSC_10device_ptrIKiEEEESI_EEEEESK_NSA_INS5_IJNSE_INSF_IiEEEESM_EEEEEPS7_SP_SP_NSC_11hip_rocprim7__merge17predicate_wrapperIiiNSC_7greaterIiEEEEEE10hipError_tPvRmT0_T1_T2_T3_T4_T5_mmT6_P12ihipStream_tbEUlT_E_NS1_11comp_targetILNS1_3genE3ELNS1_11target_archE908ELNS1_3gpuE7ELNS1_3repE0EEENS1_30default_config_static_selectorELNS0_4arch9wavefront6targetE0EEEvS10_,comdat
.Lfunc_end428:
	.size	_ZN7rocprim17ROCPRIM_400000_NS6detail17trampoline_kernelINS0_14default_configENS1_21merge_config_selectorINS0_5tupleIJiiEEENS0_10empty_typeEEEZNS1_10merge_implIS3_NS0_12zip_iteratorINS5_IJN6thrust23THRUST_200600_302600_NS6detail15normal_iteratorINSC_10device_ptrIKiEEEESI_EEEEESK_NSA_INS5_IJNSE_INSF_IiEEEESM_EEEEEPS7_SP_SP_NSC_11hip_rocprim7__merge17predicate_wrapperIiiNSC_7greaterIiEEEEEE10hipError_tPvRmT0_T1_T2_T3_T4_T5_mmT6_P12ihipStream_tbEUlT_E_NS1_11comp_targetILNS1_3genE3ELNS1_11target_archE908ELNS1_3gpuE7ELNS1_3repE0EEENS1_30default_config_static_selectorELNS0_4arch9wavefront6targetE0EEEvS10_, .Lfunc_end428-_ZN7rocprim17ROCPRIM_400000_NS6detail17trampoline_kernelINS0_14default_configENS1_21merge_config_selectorINS0_5tupleIJiiEEENS0_10empty_typeEEEZNS1_10merge_implIS3_NS0_12zip_iteratorINS5_IJN6thrust23THRUST_200600_302600_NS6detail15normal_iteratorINSC_10device_ptrIKiEEEESI_EEEEESK_NSA_INS5_IJNSE_INSF_IiEEEESM_EEEEEPS7_SP_SP_NSC_11hip_rocprim7__merge17predicate_wrapperIiiNSC_7greaterIiEEEEEE10hipError_tPvRmT0_T1_T2_T3_T4_T5_mmT6_P12ihipStream_tbEUlT_E_NS1_11comp_targetILNS1_3genE3ELNS1_11target_archE908ELNS1_3gpuE7ELNS1_3repE0EEENS1_30default_config_static_selectorELNS0_4arch9wavefront6targetE0EEEvS10_
                                        ; -- End function
	.set _ZN7rocprim17ROCPRIM_400000_NS6detail17trampoline_kernelINS0_14default_configENS1_21merge_config_selectorINS0_5tupleIJiiEEENS0_10empty_typeEEEZNS1_10merge_implIS3_NS0_12zip_iteratorINS5_IJN6thrust23THRUST_200600_302600_NS6detail15normal_iteratorINSC_10device_ptrIKiEEEESI_EEEEESK_NSA_INS5_IJNSE_INSF_IiEEEESM_EEEEEPS7_SP_SP_NSC_11hip_rocprim7__merge17predicate_wrapperIiiNSC_7greaterIiEEEEEE10hipError_tPvRmT0_T1_T2_T3_T4_T5_mmT6_P12ihipStream_tbEUlT_E_NS1_11comp_targetILNS1_3genE3ELNS1_11target_archE908ELNS1_3gpuE7ELNS1_3repE0EEENS1_30default_config_static_selectorELNS0_4arch9wavefront6targetE0EEEvS10_.num_vgpr, 0
	.set _ZN7rocprim17ROCPRIM_400000_NS6detail17trampoline_kernelINS0_14default_configENS1_21merge_config_selectorINS0_5tupleIJiiEEENS0_10empty_typeEEEZNS1_10merge_implIS3_NS0_12zip_iteratorINS5_IJN6thrust23THRUST_200600_302600_NS6detail15normal_iteratorINSC_10device_ptrIKiEEEESI_EEEEESK_NSA_INS5_IJNSE_INSF_IiEEEESM_EEEEEPS7_SP_SP_NSC_11hip_rocprim7__merge17predicate_wrapperIiiNSC_7greaterIiEEEEEE10hipError_tPvRmT0_T1_T2_T3_T4_T5_mmT6_P12ihipStream_tbEUlT_E_NS1_11comp_targetILNS1_3genE3ELNS1_11target_archE908ELNS1_3gpuE7ELNS1_3repE0EEENS1_30default_config_static_selectorELNS0_4arch9wavefront6targetE0EEEvS10_.num_agpr, 0
	.set _ZN7rocprim17ROCPRIM_400000_NS6detail17trampoline_kernelINS0_14default_configENS1_21merge_config_selectorINS0_5tupleIJiiEEENS0_10empty_typeEEEZNS1_10merge_implIS3_NS0_12zip_iteratorINS5_IJN6thrust23THRUST_200600_302600_NS6detail15normal_iteratorINSC_10device_ptrIKiEEEESI_EEEEESK_NSA_INS5_IJNSE_INSF_IiEEEESM_EEEEEPS7_SP_SP_NSC_11hip_rocprim7__merge17predicate_wrapperIiiNSC_7greaterIiEEEEEE10hipError_tPvRmT0_T1_T2_T3_T4_T5_mmT6_P12ihipStream_tbEUlT_E_NS1_11comp_targetILNS1_3genE3ELNS1_11target_archE908ELNS1_3gpuE7ELNS1_3repE0EEENS1_30default_config_static_selectorELNS0_4arch9wavefront6targetE0EEEvS10_.numbered_sgpr, 0
	.set _ZN7rocprim17ROCPRIM_400000_NS6detail17trampoline_kernelINS0_14default_configENS1_21merge_config_selectorINS0_5tupleIJiiEEENS0_10empty_typeEEEZNS1_10merge_implIS3_NS0_12zip_iteratorINS5_IJN6thrust23THRUST_200600_302600_NS6detail15normal_iteratorINSC_10device_ptrIKiEEEESI_EEEEESK_NSA_INS5_IJNSE_INSF_IiEEEESM_EEEEEPS7_SP_SP_NSC_11hip_rocprim7__merge17predicate_wrapperIiiNSC_7greaterIiEEEEEE10hipError_tPvRmT0_T1_T2_T3_T4_T5_mmT6_P12ihipStream_tbEUlT_E_NS1_11comp_targetILNS1_3genE3ELNS1_11target_archE908ELNS1_3gpuE7ELNS1_3repE0EEENS1_30default_config_static_selectorELNS0_4arch9wavefront6targetE0EEEvS10_.num_named_barrier, 0
	.set _ZN7rocprim17ROCPRIM_400000_NS6detail17trampoline_kernelINS0_14default_configENS1_21merge_config_selectorINS0_5tupleIJiiEEENS0_10empty_typeEEEZNS1_10merge_implIS3_NS0_12zip_iteratorINS5_IJN6thrust23THRUST_200600_302600_NS6detail15normal_iteratorINSC_10device_ptrIKiEEEESI_EEEEESK_NSA_INS5_IJNSE_INSF_IiEEEESM_EEEEEPS7_SP_SP_NSC_11hip_rocprim7__merge17predicate_wrapperIiiNSC_7greaterIiEEEEEE10hipError_tPvRmT0_T1_T2_T3_T4_T5_mmT6_P12ihipStream_tbEUlT_E_NS1_11comp_targetILNS1_3genE3ELNS1_11target_archE908ELNS1_3gpuE7ELNS1_3repE0EEENS1_30default_config_static_selectorELNS0_4arch9wavefront6targetE0EEEvS10_.private_seg_size, 0
	.set _ZN7rocprim17ROCPRIM_400000_NS6detail17trampoline_kernelINS0_14default_configENS1_21merge_config_selectorINS0_5tupleIJiiEEENS0_10empty_typeEEEZNS1_10merge_implIS3_NS0_12zip_iteratorINS5_IJN6thrust23THRUST_200600_302600_NS6detail15normal_iteratorINSC_10device_ptrIKiEEEESI_EEEEESK_NSA_INS5_IJNSE_INSF_IiEEEESM_EEEEEPS7_SP_SP_NSC_11hip_rocprim7__merge17predicate_wrapperIiiNSC_7greaterIiEEEEEE10hipError_tPvRmT0_T1_T2_T3_T4_T5_mmT6_P12ihipStream_tbEUlT_E_NS1_11comp_targetILNS1_3genE3ELNS1_11target_archE908ELNS1_3gpuE7ELNS1_3repE0EEENS1_30default_config_static_selectorELNS0_4arch9wavefront6targetE0EEEvS10_.uses_vcc, 0
	.set _ZN7rocprim17ROCPRIM_400000_NS6detail17trampoline_kernelINS0_14default_configENS1_21merge_config_selectorINS0_5tupleIJiiEEENS0_10empty_typeEEEZNS1_10merge_implIS3_NS0_12zip_iteratorINS5_IJN6thrust23THRUST_200600_302600_NS6detail15normal_iteratorINSC_10device_ptrIKiEEEESI_EEEEESK_NSA_INS5_IJNSE_INSF_IiEEEESM_EEEEEPS7_SP_SP_NSC_11hip_rocprim7__merge17predicate_wrapperIiiNSC_7greaterIiEEEEEE10hipError_tPvRmT0_T1_T2_T3_T4_T5_mmT6_P12ihipStream_tbEUlT_E_NS1_11comp_targetILNS1_3genE3ELNS1_11target_archE908ELNS1_3gpuE7ELNS1_3repE0EEENS1_30default_config_static_selectorELNS0_4arch9wavefront6targetE0EEEvS10_.uses_flat_scratch, 0
	.set _ZN7rocprim17ROCPRIM_400000_NS6detail17trampoline_kernelINS0_14default_configENS1_21merge_config_selectorINS0_5tupleIJiiEEENS0_10empty_typeEEEZNS1_10merge_implIS3_NS0_12zip_iteratorINS5_IJN6thrust23THRUST_200600_302600_NS6detail15normal_iteratorINSC_10device_ptrIKiEEEESI_EEEEESK_NSA_INS5_IJNSE_INSF_IiEEEESM_EEEEEPS7_SP_SP_NSC_11hip_rocprim7__merge17predicate_wrapperIiiNSC_7greaterIiEEEEEE10hipError_tPvRmT0_T1_T2_T3_T4_T5_mmT6_P12ihipStream_tbEUlT_E_NS1_11comp_targetILNS1_3genE3ELNS1_11target_archE908ELNS1_3gpuE7ELNS1_3repE0EEENS1_30default_config_static_selectorELNS0_4arch9wavefront6targetE0EEEvS10_.has_dyn_sized_stack, 0
	.set _ZN7rocprim17ROCPRIM_400000_NS6detail17trampoline_kernelINS0_14default_configENS1_21merge_config_selectorINS0_5tupleIJiiEEENS0_10empty_typeEEEZNS1_10merge_implIS3_NS0_12zip_iteratorINS5_IJN6thrust23THRUST_200600_302600_NS6detail15normal_iteratorINSC_10device_ptrIKiEEEESI_EEEEESK_NSA_INS5_IJNSE_INSF_IiEEEESM_EEEEEPS7_SP_SP_NSC_11hip_rocprim7__merge17predicate_wrapperIiiNSC_7greaterIiEEEEEE10hipError_tPvRmT0_T1_T2_T3_T4_T5_mmT6_P12ihipStream_tbEUlT_E_NS1_11comp_targetILNS1_3genE3ELNS1_11target_archE908ELNS1_3gpuE7ELNS1_3repE0EEENS1_30default_config_static_selectorELNS0_4arch9wavefront6targetE0EEEvS10_.has_recursion, 0
	.set _ZN7rocprim17ROCPRIM_400000_NS6detail17trampoline_kernelINS0_14default_configENS1_21merge_config_selectorINS0_5tupleIJiiEEENS0_10empty_typeEEEZNS1_10merge_implIS3_NS0_12zip_iteratorINS5_IJN6thrust23THRUST_200600_302600_NS6detail15normal_iteratorINSC_10device_ptrIKiEEEESI_EEEEESK_NSA_INS5_IJNSE_INSF_IiEEEESM_EEEEEPS7_SP_SP_NSC_11hip_rocprim7__merge17predicate_wrapperIiiNSC_7greaterIiEEEEEE10hipError_tPvRmT0_T1_T2_T3_T4_T5_mmT6_P12ihipStream_tbEUlT_E_NS1_11comp_targetILNS1_3genE3ELNS1_11target_archE908ELNS1_3gpuE7ELNS1_3repE0EEENS1_30default_config_static_selectorELNS0_4arch9wavefront6targetE0EEEvS10_.has_indirect_call, 0
	.section	.AMDGPU.csdata,"",@progbits
; Kernel info:
; codeLenInByte = 0
; TotalNumSgprs: 0
; NumVgprs: 0
; ScratchSize: 0
; MemoryBound: 0
; FloatMode: 240
; IeeeMode: 1
; LDSByteSize: 0 bytes/workgroup (compile time only)
; SGPRBlocks: 0
; VGPRBlocks: 0
; NumSGPRsForWavesPerEU: 1
; NumVGPRsForWavesPerEU: 1
; NamedBarCnt: 0
; Occupancy: 16
; WaveLimiterHint : 0
; COMPUTE_PGM_RSRC2:SCRATCH_EN: 0
; COMPUTE_PGM_RSRC2:USER_SGPR: 2
; COMPUTE_PGM_RSRC2:TRAP_HANDLER: 0
; COMPUTE_PGM_RSRC2:TGID_X_EN: 1
; COMPUTE_PGM_RSRC2:TGID_Y_EN: 0
; COMPUTE_PGM_RSRC2:TGID_Z_EN: 0
; COMPUTE_PGM_RSRC2:TIDIG_COMP_CNT: 0
	.section	.text._ZN7rocprim17ROCPRIM_400000_NS6detail17trampoline_kernelINS0_14default_configENS1_21merge_config_selectorINS0_5tupleIJiiEEENS0_10empty_typeEEEZNS1_10merge_implIS3_NS0_12zip_iteratorINS5_IJN6thrust23THRUST_200600_302600_NS6detail15normal_iteratorINSC_10device_ptrIKiEEEESI_EEEEESK_NSA_INS5_IJNSE_INSF_IiEEEESM_EEEEEPS7_SP_SP_NSC_11hip_rocprim7__merge17predicate_wrapperIiiNSC_7greaterIiEEEEEE10hipError_tPvRmT0_T1_T2_T3_T4_T5_mmT6_P12ihipStream_tbEUlT_E_NS1_11comp_targetILNS1_3genE2ELNS1_11target_archE906ELNS1_3gpuE6ELNS1_3repE0EEENS1_30default_config_static_selectorELNS0_4arch9wavefront6targetE0EEEvS10_,"axG",@progbits,_ZN7rocprim17ROCPRIM_400000_NS6detail17trampoline_kernelINS0_14default_configENS1_21merge_config_selectorINS0_5tupleIJiiEEENS0_10empty_typeEEEZNS1_10merge_implIS3_NS0_12zip_iteratorINS5_IJN6thrust23THRUST_200600_302600_NS6detail15normal_iteratorINSC_10device_ptrIKiEEEESI_EEEEESK_NSA_INS5_IJNSE_INSF_IiEEEESM_EEEEEPS7_SP_SP_NSC_11hip_rocprim7__merge17predicate_wrapperIiiNSC_7greaterIiEEEEEE10hipError_tPvRmT0_T1_T2_T3_T4_T5_mmT6_P12ihipStream_tbEUlT_E_NS1_11comp_targetILNS1_3genE2ELNS1_11target_archE906ELNS1_3gpuE6ELNS1_3repE0EEENS1_30default_config_static_selectorELNS0_4arch9wavefront6targetE0EEEvS10_,comdat
	.protected	_ZN7rocprim17ROCPRIM_400000_NS6detail17trampoline_kernelINS0_14default_configENS1_21merge_config_selectorINS0_5tupleIJiiEEENS0_10empty_typeEEEZNS1_10merge_implIS3_NS0_12zip_iteratorINS5_IJN6thrust23THRUST_200600_302600_NS6detail15normal_iteratorINSC_10device_ptrIKiEEEESI_EEEEESK_NSA_INS5_IJNSE_INSF_IiEEEESM_EEEEEPS7_SP_SP_NSC_11hip_rocprim7__merge17predicate_wrapperIiiNSC_7greaterIiEEEEEE10hipError_tPvRmT0_T1_T2_T3_T4_T5_mmT6_P12ihipStream_tbEUlT_E_NS1_11comp_targetILNS1_3genE2ELNS1_11target_archE906ELNS1_3gpuE6ELNS1_3repE0EEENS1_30default_config_static_selectorELNS0_4arch9wavefront6targetE0EEEvS10_ ; -- Begin function _ZN7rocprim17ROCPRIM_400000_NS6detail17trampoline_kernelINS0_14default_configENS1_21merge_config_selectorINS0_5tupleIJiiEEENS0_10empty_typeEEEZNS1_10merge_implIS3_NS0_12zip_iteratorINS5_IJN6thrust23THRUST_200600_302600_NS6detail15normal_iteratorINSC_10device_ptrIKiEEEESI_EEEEESK_NSA_INS5_IJNSE_INSF_IiEEEESM_EEEEEPS7_SP_SP_NSC_11hip_rocprim7__merge17predicate_wrapperIiiNSC_7greaterIiEEEEEE10hipError_tPvRmT0_T1_T2_T3_T4_T5_mmT6_P12ihipStream_tbEUlT_E_NS1_11comp_targetILNS1_3genE2ELNS1_11target_archE906ELNS1_3gpuE6ELNS1_3repE0EEENS1_30default_config_static_selectorELNS0_4arch9wavefront6targetE0EEEvS10_
	.globl	_ZN7rocprim17ROCPRIM_400000_NS6detail17trampoline_kernelINS0_14default_configENS1_21merge_config_selectorINS0_5tupleIJiiEEENS0_10empty_typeEEEZNS1_10merge_implIS3_NS0_12zip_iteratorINS5_IJN6thrust23THRUST_200600_302600_NS6detail15normal_iteratorINSC_10device_ptrIKiEEEESI_EEEEESK_NSA_INS5_IJNSE_INSF_IiEEEESM_EEEEEPS7_SP_SP_NSC_11hip_rocprim7__merge17predicate_wrapperIiiNSC_7greaterIiEEEEEE10hipError_tPvRmT0_T1_T2_T3_T4_T5_mmT6_P12ihipStream_tbEUlT_E_NS1_11comp_targetILNS1_3genE2ELNS1_11target_archE906ELNS1_3gpuE6ELNS1_3repE0EEENS1_30default_config_static_selectorELNS0_4arch9wavefront6targetE0EEEvS10_
	.p2align	8
	.type	_ZN7rocprim17ROCPRIM_400000_NS6detail17trampoline_kernelINS0_14default_configENS1_21merge_config_selectorINS0_5tupleIJiiEEENS0_10empty_typeEEEZNS1_10merge_implIS3_NS0_12zip_iteratorINS5_IJN6thrust23THRUST_200600_302600_NS6detail15normal_iteratorINSC_10device_ptrIKiEEEESI_EEEEESK_NSA_INS5_IJNSE_INSF_IiEEEESM_EEEEEPS7_SP_SP_NSC_11hip_rocprim7__merge17predicate_wrapperIiiNSC_7greaterIiEEEEEE10hipError_tPvRmT0_T1_T2_T3_T4_T5_mmT6_P12ihipStream_tbEUlT_E_NS1_11comp_targetILNS1_3genE2ELNS1_11target_archE906ELNS1_3gpuE6ELNS1_3repE0EEENS1_30default_config_static_selectorELNS0_4arch9wavefront6targetE0EEEvS10_,@function
_ZN7rocprim17ROCPRIM_400000_NS6detail17trampoline_kernelINS0_14default_configENS1_21merge_config_selectorINS0_5tupleIJiiEEENS0_10empty_typeEEEZNS1_10merge_implIS3_NS0_12zip_iteratorINS5_IJN6thrust23THRUST_200600_302600_NS6detail15normal_iteratorINSC_10device_ptrIKiEEEESI_EEEEESK_NSA_INS5_IJNSE_INSF_IiEEEESM_EEEEEPS7_SP_SP_NSC_11hip_rocprim7__merge17predicate_wrapperIiiNSC_7greaterIiEEEEEE10hipError_tPvRmT0_T1_T2_T3_T4_T5_mmT6_P12ihipStream_tbEUlT_E_NS1_11comp_targetILNS1_3genE2ELNS1_11target_archE906ELNS1_3gpuE6ELNS1_3repE0EEENS1_30default_config_static_selectorELNS0_4arch9wavefront6targetE0EEEvS10_: ; @_ZN7rocprim17ROCPRIM_400000_NS6detail17trampoline_kernelINS0_14default_configENS1_21merge_config_selectorINS0_5tupleIJiiEEENS0_10empty_typeEEEZNS1_10merge_implIS3_NS0_12zip_iteratorINS5_IJN6thrust23THRUST_200600_302600_NS6detail15normal_iteratorINSC_10device_ptrIKiEEEESI_EEEEESK_NSA_INS5_IJNSE_INSF_IiEEEESM_EEEEEPS7_SP_SP_NSC_11hip_rocprim7__merge17predicate_wrapperIiiNSC_7greaterIiEEEEEE10hipError_tPvRmT0_T1_T2_T3_T4_T5_mmT6_P12ihipStream_tbEUlT_E_NS1_11comp_targetILNS1_3genE2ELNS1_11target_archE906ELNS1_3gpuE6ELNS1_3repE0EEENS1_30default_config_static_selectorELNS0_4arch9wavefront6targetE0EEEvS10_
; %bb.0:
	.section	.rodata,"a",@progbits
	.p2align	6, 0x0
	.amdhsa_kernel _ZN7rocprim17ROCPRIM_400000_NS6detail17trampoline_kernelINS0_14default_configENS1_21merge_config_selectorINS0_5tupleIJiiEEENS0_10empty_typeEEEZNS1_10merge_implIS3_NS0_12zip_iteratorINS5_IJN6thrust23THRUST_200600_302600_NS6detail15normal_iteratorINSC_10device_ptrIKiEEEESI_EEEEESK_NSA_INS5_IJNSE_INSF_IiEEEESM_EEEEEPS7_SP_SP_NSC_11hip_rocprim7__merge17predicate_wrapperIiiNSC_7greaterIiEEEEEE10hipError_tPvRmT0_T1_T2_T3_T4_T5_mmT6_P12ihipStream_tbEUlT_E_NS1_11comp_targetILNS1_3genE2ELNS1_11target_archE906ELNS1_3gpuE6ELNS1_3repE0EEENS1_30default_config_static_selectorELNS0_4arch9wavefront6targetE0EEEvS10_
		.amdhsa_group_segment_fixed_size 0
		.amdhsa_private_segment_fixed_size 0
		.amdhsa_kernarg_size 64
		.amdhsa_user_sgpr_count 2
		.amdhsa_user_sgpr_dispatch_ptr 0
		.amdhsa_user_sgpr_queue_ptr 0
		.amdhsa_user_sgpr_kernarg_segment_ptr 1
		.amdhsa_user_sgpr_dispatch_id 0
		.amdhsa_user_sgpr_kernarg_preload_length 0
		.amdhsa_user_sgpr_kernarg_preload_offset 0
		.amdhsa_user_sgpr_private_segment_size 0
		.amdhsa_wavefront_size32 1
		.amdhsa_uses_dynamic_stack 0
		.amdhsa_enable_private_segment 0
		.amdhsa_system_sgpr_workgroup_id_x 1
		.amdhsa_system_sgpr_workgroup_id_y 0
		.amdhsa_system_sgpr_workgroup_id_z 0
		.amdhsa_system_sgpr_workgroup_info 0
		.amdhsa_system_vgpr_workitem_id 0
		.amdhsa_next_free_vgpr 1
		.amdhsa_next_free_sgpr 1
		.amdhsa_named_barrier_count 0
		.amdhsa_reserve_vcc 0
		.amdhsa_float_round_mode_32 0
		.amdhsa_float_round_mode_16_64 0
		.amdhsa_float_denorm_mode_32 3
		.amdhsa_float_denorm_mode_16_64 3
		.amdhsa_fp16_overflow 0
		.amdhsa_memory_ordered 1
		.amdhsa_forward_progress 1
		.amdhsa_inst_pref_size 0
		.amdhsa_round_robin_scheduling 0
		.amdhsa_exception_fp_ieee_invalid_op 0
		.amdhsa_exception_fp_denorm_src 0
		.amdhsa_exception_fp_ieee_div_zero 0
		.amdhsa_exception_fp_ieee_overflow 0
		.amdhsa_exception_fp_ieee_underflow 0
		.amdhsa_exception_fp_ieee_inexact 0
		.amdhsa_exception_int_div_zero 0
	.end_amdhsa_kernel
	.section	.text._ZN7rocprim17ROCPRIM_400000_NS6detail17trampoline_kernelINS0_14default_configENS1_21merge_config_selectorINS0_5tupleIJiiEEENS0_10empty_typeEEEZNS1_10merge_implIS3_NS0_12zip_iteratorINS5_IJN6thrust23THRUST_200600_302600_NS6detail15normal_iteratorINSC_10device_ptrIKiEEEESI_EEEEESK_NSA_INS5_IJNSE_INSF_IiEEEESM_EEEEEPS7_SP_SP_NSC_11hip_rocprim7__merge17predicate_wrapperIiiNSC_7greaterIiEEEEEE10hipError_tPvRmT0_T1_T2_T3_T4_T5_mmT6_P12ihipStream_tbEUlT_E_NS1_11comp_targetILNS1_3genE2ELNS1_11target_archE906ELNS1_3gpuE6ELNS1_3repE0EEENS1_30default_config_static_selectorELNS0_4arch9wavefront6targetE0EEEvS10_,"axG",@progbits,_ZN7rocprim17ROCPRIM_400000_NS6detail17trampoline_kernelINS0_14default_configENS1_21merge_config_selectorINS0_5tupleIJiiEEENS0_10empty_typeEEEZNS1_10merge_implIS3_NS0_12zip_iteratorINS5_IJN6thrust23THRUST_200600_302600_NS6detail15normal_iteratorINSC_10device_ptrIKiEEEESI_EEEEESK_NSA_INS5_IJNSE_INSF_IiEEEESM_EEEEEPS7_SP_SP_NSC_11hip_rocprim7__merge17predicate_wrapperIiiNSC_7greaterIiEEEEEE10hipError_tPvRmT0_T1_T2_T3_T4_T5_mmT6_P12ihipStream_tbEUlT_E_NS1_11comp_targetILNS1_3genE2ELNS1_11target_archE906ELNS1_3gpuE6ELNS1_3repE0EEENS1_30default_config_static_selectorELNS0_4arch9wavefront6targetE0EEEvS10_,comdat
.Lfunc_end429:
	.size	_ZN7rocprim17ROCPRIM_400000_NS6detail17trampoline_kernelINS0_14default_configENS1_21merge_config_selectorINS0_5tupleIJiiEEENS0_10empty_typeEEEZNS1_10merge_implIS3_NS0_12zip_iteratorINS5_IJN6thrust23THRUST_200600_302600_NS6detail15normal_iteratorINSC_10device_ptrIKiEEEESI_EEEEESK_NSA_INS5_IJNSE_INSF_IiEEEESM_EEEEEPS7_SP_SP_NSC_11hip_rocprim7__merge17predicate_wrapperIiiNSC_7greaterIiEEEEEE10hipError_tPvRmT0_T1_T2_T3_T4_T5_mmT6_P12ihipStream_tbEUlT_E_NS1_11comp_targetILNS1_3genE2ELNS1_11target_archE906ELNS1_3gpuE6ELNS1_3repE0EEENS1_30default_config_static_selectorELNS0_4arch9wavefront6targetE0EEEvS10_, .Lfunc_end429-_ZN7rocprim17ROCPRIM_400000_NS6detail17trampoline_kernelINS0_14default_configENS1_21merge_config_selectorINS0_5tupleIJiiEEENS0_10empty_typeEEEZNS1_10merge_implIS3_NS0_12zip_iteratorINS5_IJN6thrust23THRUST_200600_302600_NS6detail15normal_iteratorINSC_10device_ptrIKiEEEESI_EEEEESK_NSA_INS5_IJNSE_INSF_IiEEEESM_EEEEEPS7_SP_SP_NSC_11hip_rocprim7__merge17predicate_wrapperIiiNSC_7greaterIiEEEEEE10hipError_tPvRmT0_T1_T2_T3_T4_T5_mmT6_P12ihipStream_tbEUlT_E_NS1_11comp_targetILNS1_3genE2ELNS1_11target_archE906ELNS1_3gpuE6ELNS1_3repE0EEENS1_30default_config_static_selectorELNS0_4arch9wavefront6targetE0EEEvS10_
                                        ; -- End function
	.set _ZN7rocprim17ROCPRIM_400000_NS6detail17trampoline_kernelINS0_14default_configENS1_21merge_config_selectorINS0_5tupleIJiiEEENS0_10empty_typeEEEZNS1_10merge_implIS3_NS0_12zip_iteratorINS5_IJN6thrust23THRUST_200600_302600_NS6detail15normal_iteratorINSC_10device_ptrIKiEEEESI_EEEEESK_NSA_INS5_IJNSE_INSF_IiEEEESM_EEEEEPS7_SP_SP_NSC_11hip_rocprim7__merge17predicate_wrapperIiiNSC_7greaterIiEEEEEE10hipError_tPvRmT0_T1_T2_T3_T4_T5_mmT6_P12ihipStream_tbEUlT_E_NS1_11comp_targetILNS1_3genE2ELNS1_11target_archE906ELNS1_3gpuE6ELNS1_3repE0EEENS1_30default_config_static_selectorELNS0_4arch9wavefront6targetE0EEEvS10_.num_vgpr, 0
	.set _ZN7rocprim17ROCPRIM_400000_NS6detail17trampoline_kernelINS0_14default_configENS1_21merge_config_selectorINS0_5tupleIJiiEEENS0_10empty_typeEEEZNS1_10merge_implIS3_NS0_12zip_iteratorINS5_IJN6thrust23THRUST_200600_302600_NS6detail15normal_iteratorINSC_10device_ptrIKiEEEESI_EEEEESK_NSA_INS5_IJNSE_INSF_IiEEEESM_EEEEEPS7_SP_SP_NSC_11hip_rocprim7__merge17predicate_wrapperIiiNSC_7greaterIiEEEEEE10hipError_tPvRmT0_T1_T2_T3_T4_T5_mmT6_P12ihipStream_tbEUlT_E_NS1_11comp_targetILNS1_3genE2ELNS1_11target_archE906ELNS1_3gpuE6ELNS1_3repE0EEENS1_30default_config_static_selectorELNS0_4arch9wavefront6targetE0EEEvS10_.num_agpr, 0
	.set _ZN7rocprim17ROCPRIM_400000_NS6detail17trampoline_kernelINS0_14default_configENS1_21merge_config_selectorINS0_5tupleIJiiEEENS0_10empty_typeEEEZNS1_10merge_implIS3_NS0_12zip_iteratorINS5_IJN6thrust23THRUST_200600_302600_NS6detail15normal_iteratorINSC_10device_ptrIKiEEEESI_EEEEESK_NSA_INS5_IJNSE_INSF_IiEEEESM_EEEEEPS7_SP_SP_NSC_11hip_rocprim7__merge17predicate_wrapperIiiNSC_7greaterIiEEEEEE10hipError_tPvRmT0_T1_T2_T3_T4_T5_mmT6_P12ihipStream_tbEUlT_E_NS1_11comp_targetILNS1_3genE2ELNS1_11target_archE906ELNS1_3gpuE6ELNS1_3repE0EEENS1_30default_config_static_selectorELNS0_4arch9wavefront6targetE0EEEvS10_.numbered_sgpr, 0
	.set _ZN7rocprim17ROCPRIM_400000_NS6detail17trampoline_kernelINS0_14default_configENS1_21merge_config_selectorINS0_5tupleIJiiEEENS0_10empty_typeEEEZNS1_10merge_implIS3_NS0_12zip_iteratorINS5_IJN6thrust23THRUST_200600_302600_NS6detail15normal_iteratorINSC_10device_ptrIKiEEEESI_EEEEESK_NSA_INS5_IJNSE_INSF_IiEEEESM_EEEEEPS7_SP_SP_NSC_11hip_rocprim7__merge17predicate_wrapperIiiNSC_7greaterIiEEEEEE10hipError_tPvRmT0_T1_T2_T3_T4_T5_mmT6_P12ihipStream_tbEUlT_E_NS1_11comp_targetILNS1_3genE2ELNS1_11target_archE906ELNS1_3gpuE6ELNS1_3repE0EEENS1_30default_config_static_selectorELNS0_4arch9wavefront6targetE0EEEvS10_.num_named_barrier, 0
	.set _ZN7rocprim17ROCPRIM_400000_NS6detail17trampoline_kernelINS0_14default_configENS1_21merge_config_selectorINS0_5tupleIJiiEEENS0_10empty_typeEEEZNS1_10merge_implIS3_NS0_12zip_iteratorINS5_IJN6thrust23THRUST_200600_302600_NS6detail15normal_iteratorINSC_10device_ptrIKiEEEESI_EEEEESK_NSA_INS5_IJNSE_INSF_IiEEEESM_EEEEEPS7_SP_SP_NSC_11hip_rocprim7__merge17predicate_wrapperIiiNSC_7greaterIiEEEEEE10hipError_tPvRmT0_T1_T2_T3_T4_T5_mmT6_P12ihipStream_tbEUlT_E_NS1_11comp_targetILNS1_3genE2ELNS1_11target_archE906ELNS1_3gpuE6ELNS1_3repE0EEENS1_30default_config_static_selectorELNS0_4arch9wavefront6targetE0EEEvS10_.private_seg_size, 0
	.set _ZN7rocprim17ROCPRIM_400000_NS6detail17trampoline_kernelINS0_14default_configENS1_21merge_config_selectorINS0_5tupleIJiiEEENS0_10empty_typeEEEZNS1_10merge_implIS3_NS0_12zip_iteratorINS5_IJN6thrust23THRUST_200600_302600_NS6detail15normal_iteratorINSC_10device_ptrIKiEEEESI_EEEEESK_NSA_INS5_IJNSE_INSF_IiEEEESM_EEEEEPS7_SP_SP_NSC_11hip_rocprim7__merge17predicate_wrapperIiiNSC_7greaterIiEEEEEE10hipError_tPvRmT0_T1_T2_T3_T4_T5_mmT6_P12ihipStream_tbEUlT_E_NS1_11comp_targetILNS1_3genE2ELNS1_11target_archE906ELNS1_3gpuE6ELNS1_3repE0EEENS1_30default_config_static_selectorELNS0_4arch9wavefront6targetE0EEEvS10_.uses_vcc, 0
	.set _ZN7rocprim17ROCPRIM_400000_NS6detail17trampoline_kernelINS0_14default_configENS1_21merge_config_selectorINS0_5tupleIJiiEEENS0_10empty_typeEEEZNS1_10merge_implIS3_NS0_12zip_iteratorINS5_IJN6thrust23THRUST_200600_302600_NS6detail15normal_iteratorINSC_10device_ptrIKiEEEESI_EEEEESK_NSA_INS5_IJNSE_INSF_IiEEEESM_EEEEEPS7_SP_SP_NSC_11hip_rocprim7__merge17predicate_wrapperIiiNSC_7greaterIiEEEEEE10hipError_tPvRmT0_T1_T2_T3_T4_T5_mmT6_P12ihipStream_tbEUlT_E_NS1_11comp_targetILNS1_3genE2ELNS1_11target_archE906ELNS1_3gpuE6ELNS1_3repE0EEENS1_30default_config_static_selectorELNS0_4arch9wavefront6targetE0EEEvS10_.uses_flat_scratch, 0
	.set _ZN7rocprim17ROCPRIM_400000_NS6detail17trampoline_kernelINS0_14default_configENS1_21merge_config_selectorINS0_5tupleIJiiEEENS0_10empty_typeEEEZNS1_10merge_implIS3_NS0_12zip_iteratorINS5_IJN6thrust23THRUST_200600_302600_NS6detail15normal_iteratorINSC_10device_ptrIKiEEEESI_EEEEESK_NSA_INS5_IJNSE_INSF_IiEEEESM_EEEEEPS7_SP_SP_NSC_11hip_rocprim7__merge17predicate_wrapperIiiNSC_7greaterIiEEEEEE10hipError_tPvRmT0_T1_T2_T3_T4_T5_mmT6_P12ihipStream_tbEUlT_E_NS1_11comp_targetILNS1_3genE2ELNS1_11target_archE906ELNS1_3gpuE6ELNS1_3repE0EEENS1_30default_config_static_selectorELNS0_4arch9wavefront6targetE0EEEvS10_.has_dyn_sized_stack, 0
	.set _ZN7rocprim17ROCPRIM_400000_NS6detail17trampoline_kernelINS0_14default_configENS1_21merge_config_selectorINS0_5tupleIJiiEEENS0_10empty_typeEEEZNS1_10merge_implIS3_NS0_12zip_iteratorINS5_IJN6thrust23THRUST_200600_302600_NS6detail15normal_iteratorINSC_10device_ptrIKiEEEESI_EEEEESK_NSA_INS5_IJNSE_INSF_IiEEEESM_EEEEEPS7_SP_SP_NSC_11hip_rocprim7__merge17predicate_wrapperIiiNSC_7greaterIiEEEEEE10hipError_tPvRmT0_T1_T2_T3_T4_T5_mmT6_P12ihipStream_tbEUlT_E_NS1_11comp_targetILNS1_3genE2ELNS1_11target_archE906ELNS1_3gpuE6ELNS1_3repE0EEENS1_30default_config_static_selectorELNS0_4arch9wavefront6targetE0EEEvS10_.has_recursion, 0
	.set _ZN7rocprim17ROCPRIM_400000_NS6detail17trampoline_kernelINS0_14default_configENS1_21merge_config_selectorINS0_5tupleIJiiEEENS0_10empty_typeEEEZNS1_10merge_implIS3_NS0_12zip_iteratorINS5_IJN6thrust23THRUST_200600_302600_NS6detail15normal_iteratorINSC_10device_ptrIKiEEEESI_EEEEESK_NSA_INS5_IJNSE_INSF_IiEEEESM_EEEEEPS7_SP_SP_NSC_11hip_rocprim7__merge17predicate_wrapperIiiNSC_7greaterIiEEEEEE10hipError_tPvRmT0_T1_T2_T3_T4_T5_mmT6_P12ihipStream_tbEUlT_E_NS1_11comp_targetILNS1_3genE2ELNS1_11target_archE906ELNS1_3gpuE6ELNS1_3repE0EEENS1_30default_config_static_selectorELNS0_4arch9wavefront6targetE0EEEvS10_.has_indirect_call, 0
	.section	.AMDGPU.csdata,"",@progbits
; Kernel info:
; codeLenInByte = 0
; TotalNumSgprs: 0
; NumVgprs: 0
; ScratchSize: 0
; MemoryBound: 0
; FloatMode: 240
; IeeeMode: 1
; LDSByteSize: 0 bytes/workgroup (compile time only)
; SGPRBlocks: 0
; VGPRBlocks: 0
; NumSGPRsForWavesPerEU: 1
; NumVGPRsForWavesPerEU: 1
; NamedBarCnt: 0
; Occupancy: 16
; WaveLimiterHint : 0
; COMPUTE_PGM_RSRC2:SCRATCH_EN: 0
; COMPUTE_PGM_RSRC2:USER_SGPR: 2
; COMPUTE_PGM_RSRC2:TRAP_HANDLER: 0
; COMPUTE_PGM_RSRC2:TGID_X_EN: 1
; COMPUTE_PGM_RSRC2:TGID_Y_EN: 0
; COMPUTE_PGM_RSRC2:TGID_Z_EN: 0
; COMPUTE_PGM_RSRC2:TIDIG_COMP_CNT: 0
	.section	.text._ZN7rocprim17ROCPRIM_400000_NS6detail17trampoline_kernelINS0_14default_configENS1_21merge_config_selectorINS0_5tupleIJiiEEENS0_10empty_typeEEEZNS1_10merge_implIS3_NS0_12zip_iteratorINS5_IJN6thrust23THRUST_200600_302600_NS6detail15normal_iteratorINSC_10device_ptrIKiEEEESI_EEEEESK_NSA_INS5_IJNSE_INSF_IiEEEESM_EEEEEPS7_SP_SP_NSC_11hip_rocprim7__merge17predicate_wrapperIiiNSC_7greaterIiEEEEEE10hipError_tPvRmT0_T1_T2_T3_T4_T5_mmT6_P12ihipStream_tbEUlT_E_NS1_11comp_targetILNS1_3genE10ELNS1_11target_archE1201ELNS1_3gpuE5ELNS1_3repE0EEENS1_30default_config_static_selectorELNS0_4arch9wavefront6targetE0EEEvS10_,"axG",@progbits,_ZN7rocprim17ROCPRIM_400000_NS6detail17trampoline_kernelINS0_14default_configENS1_21merge_config_selectorINS0_5tupleIJiiEEENS0_10empty_typeEEEZNS1_10merge_implIS3_NS0_12zip_iteratorINS5_IJN6thrust23THRUST_200600_302600_NS6detail15normal_iteratorINSC_10device_ptrIKiEEEESI_EEEEESK_NSA_INS5_IJNSE_INSF_IiEEEESM_EEEEEPS7_SP_SP_NSC_11hip_rocprim7__merge17predicate_wrapperIiiNSC_7greaterIiEEEEEE10hipError_tPvRmT0_T1_T2_T3_T4_T5_mmT6_P12ihipStream_tbEUlT_E_NS1_11comp_targetILNS1_3genE10ELNS1_11target_archE1201ELNS1_3gpuE5ELNS1_3repE0EEENS1_30default_config_static_selectorELNS0_4arch9wavefront6targetE0EEEvS10_,comdat
	.protected	_ZN7rocprim17ROCPRIM_400000_NS6detail17trampoline_kernelINS0_14default_configENS1_21merge_config_selectorINS0_5tupleIJiiEEENS0_10empty_typeEEEZNS1_10merge_implIS3_NS0_12zip_iteratorINS5_IJN6thrust23THRUST_200600_302600_NS6detail15normal_iteratorINSC_10device_ptrIKiEEEESI_EEEEESK_NSA_INS5_IJNSE_INSF_IiEEEESM_EEEEEPS7_SP_SP_NSC_11hip_rocprim7__merge17predicate_wrapperIiiNSC_7greaterIiEEEEEE10hipError_tPvRmT0_T1_T2_T3_T4_T5_mmT6_P12ihipStream_tbEUlT_E_NS1_11comp_targetILNS1_3genE10ELNS1_11target_archE1201ELNS1_3gpuE5ELNS1_3repE0EEENS1_30default_config_static_selectorELNS0_4arch9wavefront6targetE0EEEvS10_ ; -- Begin function _ZN7rocprim17ROCPRIM_400000_NS6detail17trampoline_kernelINS0_14default_configENS1_21merge_config_selectorINS0_5tupleIJiiEEENS0_10empty_typeEEEZNS1_10merge_implIS3_NS0_12zip_iteratorINS5_IJN6thrust23THRUST_200600_302600_NS6detail15normal_iteratorINSC_10device_ptrIKiEEEESI_EEEEESK_NSA_INS5_IJNSE_INSF_IiEEEESM_EEEEEPS7_SP_SP_NSC_11hip_rocprim7__merge17predicate_wrapperIiiNSC_7greaterIiEEEEEE10hipError_tPvRmT0_T1_T2_T3_T4_T5_mmT6_P12ihipStream_tbEUlT_E_NS1_11comp_targetILNS1_3genE10ELNS1_11target_archE1201ELNS1_3gpuE5ELNS1_3repE0EEENS1_30default_config_static_selectorELNS0_4arch9wavefront6targetE0EEEvS10_
	.globl	_ZN7rocprim17ROCPRIM_400000_NS6detail17trampoline_kernelINS0_14default_configENS1_21merge_config_selectorINS0_5tupleIJiiEEENS0_10empty_typeEEEZNS1_10merge_implIS3_NS0_12zip_iteratorINS5_IJN6thrust23THRUST_200600_302600_NS6detail15normal_iteratorINSC_10device_ptrIKiEEEESI_EEEEESK_NSA_INS5_IJNSE_INSF_IiEEEESM_EEEEEPS7_SP_SP_NSC_11hip_rocprim7__merge17predicate_wrapperIiiNSC_7greaterIiEEEEEE10hipError_tPvRmT0_T1_T2_T3_T4_T5_mmT6_P12ihipStream_tbEUlT_E_NS1_11comp_targetILNS1_3genE10ELNS1_11target_archE1201ELNS1_3gpuE5ELNS1_3repE0EEENS1_30default_config_static_selectorELNS0_4arch9wavefront6targetE0EEEvS10_
	.p2align	8
	.type	_ZN7rocprim17ROCPRIM_400000_NS6detail17trampoline_kernelINS0_14default_configENS1_21merge_config_selectorINS0_5tupleIJiiEEENS0_10empty_typeEEEZNS1_10merge_implIS3_NS0_12zip_iteratorINS5_IJN6thrust23THRUST_200600_302600_NS6detail15normal_iteratorINSC_10device_ptrIKiEEEESI_EEEEESK_NSA_INS5_IJNSE_INSF_IiEEEESM_EEEEEPS7_SP_SP_NSC_11hip_rocprim7__merge17predicate_wrapperIiiNSC_7greaterIiEEEEEE10hipError_tPvRmT0_T1_T2_T3_T4_T5_mmT6_P12ihipStream_tbEUlT_E_NS1_11comp_targetILNS1_3genE10ELNS1_11target_archE1201ELNS1_3gpuE5ELNS1_3repE0EEENS1_30default_config_static_selectorELNS0_4arch9wavefront6targetE0EEEvS10_,@function
_ZN7rocprim17ROCPRIM_400000_NS6detail17trampoline_kernelINS0_14default_configENS1_21merge_config_selectorINS0_5tupleIJiiEEENS0_10empty_typeEEEZNS1_10merge_implIS3_NS0_12zip_iteratorINS5_IJN6thrust23THRUST_200600_302600_NS6detail15normal_iteratorINSC_10device_ptrIKiEEEESI_EEEEESK_NSA_INS5_IJNSE_INSF_IiEEEESM_EEEEEPS7_SP_SP_NSC_11hip_rocprim7__merge17predicate_wrapperIiiNSC_7greaterIiEEEEEE10hipError_tPvRmT0_T1_T2_T3_T4_T5_mmT6_P12ihipStream_tbEUlT_E_NS1_11comp_targetILNS1_3genE10ELNS1_11target_archE1201ELNS1_3gpuE5ELNS1_3repE0EEENS1_30default_config_static_selectorELNS0_4arch9wavefront6targetE0EEEvS10_: ; @_ZN7rocprim17ROCPRIM_400000_NS6detail17trampoline_kernelINS0_14default_configENS1_21merge_config_selectorINS0_5tupleIJiiEEENS0_10empty_typeEEEZNS1_10merge_implIS3_NS0_12zip_iteratorINS5_IJN6thrust23THRUST_200600_302600_NS6detail15normal_iteratorINSC_10device_ptrIKiEEEESI_EEEEESK_NSA_INS5_IJNSE_INSF_IiEEEESM_EEEEEPS7_SP_SP_NSC_11hip_rocprim7__merge17predicate_wrapperIiiNSC_7greaterIiEEEEEE10hipError_tPvRmT0_T1_T2_T3_T4_T5_mmT6_P12ihipStream_tbEUlT_E_NS1_11comp_targetILNS1_3genE10ELNS1_11target_archE1201ELNS1_3gpuE5ELNS1_3repE0EEENS1_30default_config_static_selectorELNS0_4arch9wavefront6targetE0EEEvS10_
; %bb.0:
	.section	.rodata,"a",@progbits
	.p2align	6, 0x0
	.amdhsa_kernel _ZN7rocprim17ROCPRIM_400000_NS6detail17trampoline_kernelINS0_14default_configENS1_21merge_config_selectorINS0_5tupleIJiiEEENS0_10empty_typeEEEZNS1_10merge_implIS3_NS0_12zip_iteratorINS5_IJN6thrust23THRUST_200600_302600_NS6detail15normal_iteratorINSC_10device_ptrIKiEEEESI_EEEEESK_NSA_INS5_IJNSE_INSF_IiEEEESM_EEEEEPS7_SP_SP_NSC_11hip_rocprim7__merge17predicate_wrapperIiiNSC_7greaterIiEEEEEE10hipError_tPvRmT0_T1_T2_T3_T4_T5_mmT6_P12ihipStream_tbEUlT_E_NS1_11comp_targetILNS1_3genE10ELNS1_11target_archE1201ELNS1_3gpuE5ELNS1_3repE0EEENS1_30default_config_static_selectorELNS0_4arch9wavefront6targetE0EEEvS10_
		.amdhsa_group_segment_fixed_size 0
		.amdhsa_private_segment_fixed_size 0
		.amdhsa_kernarg_size 64
		.amdhsa_user_sgpr_count 2
		.amdhsa_user_sgpr_dispatch_ptr 0
		.amdhsa_user_sgpr_queue_ptr 0
		.amdhsa_user_sgpr_kernarg_segment_ptr 1
		.amdhsa_user_sgpr_dispatch_id 0
		.amdhsa_user_sgpr_kernarg_preload_length 0
		.amdhsa_user_sgpr_kernarg_preload_offset 0
		.amdhsa_user_sgpr_private_segment_size 0
		.amdhsa_wavefront_size32 1
		.amdhsa_uses_dynamic_stack 0
		.amdhsa_enable_private_segment 0
		.amdhsa_system_sgpr_workgroup_id_x 1
		.amdhsa_system_sgpr_workgroup_id_y 0
		.amdhsa_system_sgpr_workgroup_id_z 0
		.amdhsa_system_sgpr_workgroup_info 0
		.amdhsa_system_vgpr_workitem_id 0
		.amdhsa_next_free_vgpr 1
		.amdhsa_next_free_sgpr 1
		.amdhsa_named_barrier_count 0
		.amdhsa_reserve_vcc 0
		.amdhsa_float_round_mode_32 0
		.amdhsa_float_round_mode_16_64 0
		.amdhsa_float_denorm_mode_32 3
		.amdhsa_float_denorm_mode_16_64 3
		.amdhsa_fp16_overflow 0
		.amdhsa_memory_ordered 1
		.amdhsa_forward_progress 1
		.amdhsa_inst_pref_size 0
		.amdhsa_round_robin_scheduling 0
		.amdhsa_exception_fp_ieee_invalid_op 0
		.amdhsa_exception_fp_denorm_src 0
		.amdhsa_exception_fp_ieee_div_zero 0
		.amdhsa_exception_fp_ieee_overflow 0
		.amdhsa_exception_fp_ieee_underflow 0
		.amdhsa_exception_fp_ieee_inexact 0
		.amdhsa_exception_int_div_zero 0
	.end_amdhsa_kernel
	.section	.text._ZN7rocprim17ROCPRIM_400000_NS6detail17trampoline_kernelINS0_14default_configENS1_21merge_config_selectorINS0_5tupleIJiiEEENS0_10empty_typeEEEZNS1_10merge_implIS3_NS0_12zip_iteratorINS5_IJN6thrust23THRUST_200600_302600_NS6detail15normal_iteratorINSC_10device_ptrIKiEEEESI_EEEEESK_NSA_INS5_IJNSE_INSF_IiEEEESM_EEEEEPS7_SP_SP_NSC_11hip_rocprim7__merge17predicate_wrapperIiiNSC_7greaterIiEEEEEE10hipError_tPvRmT0_T1_T2_T3_T4_T5_mmT6_P12ihipStream_tbEUlT_E_NS1_11comp_targetILNS1_3genE10ELNS1_11target_archE1201ELNS1_3gpuE5ELNS1_3repE0EEENS1_30default_config_static_selectorELNS0_4arch9wavefront6targetE0EEEvS10_,"axG",@progbits,_ZN7rocprim17ROCPRIM_400000_NS6detail17trampoline_kernelINS0_14default_configENS1_21merge_config_selectorINS0_5tupleIJiiEEENS0_10empty_typeEEEZNS1_10merge_implIS3_NS0_12zip_iteratorINS5_IJN6thrust23THRUST_200600_302600_NS6detail15normal_iteratorINSC_10device_ptrIKiEEEESI_EEEEESK_NSA_INS5_IJNSE_INSF_IiEEEESM_EEEEEPS7_SP_SP_NSC_11hip_rocprim7__merge17predicate_wrapperIiiNSC_7greaterIiEEEEEE10hipError_tPvRmT0_T1_T2_T3_T4_T5_mmT6_P12ihipStream_tbEUlT_E_NS1_11comp_targetILNS1_3genE10ELNS1_11target_archE1201ELNS1_3gpuE5ELNS1_3repE0EEENS1_30default_config_static_selectorELNS0_4arch9wavefront6targetE0EEEvS10_,comdat
.Lfunc_end430:
	.size	_ZN7rocprim17ROCPRIM_400000_NS6detail17trampoline_kernelINS0_14default_configENS1_21merge_config_selectorINS0_5tupleIJiiEEENS0_10empty_typeEEEZNS1_10merge_implIS3_NS0_12zip_iteratorINS5_IJN6thrust23THRUST_200600_302600_NS6detail15normal_iteratorINSC_10device_ptrIKiEEEESI_EEEEESK_NSA_INS5_IJNSE_INSF_IiEEEESM_EEEEEPS7_SP_SP_NSC_11hip_rocprim7__merge17predicate_wrapperIiiNSC_7greaterIiEEEEEE10hipError_tPvRmT0_T1_T2_T3_T4_T5_mmT6_P12ihipStream_tbEUlT_E_NS1_11comp_targetILNS1_3genE10ELNS1_11target_archE1201ELNS1_3gpuE5ELNS1_3repE0EEENS1_30default_config_static_selectorELNS0_4arch9wavefront6targetE0EEEvS10_, .Lfunc_end430-_ZN7rocprim17ROCPRIM_400000_NS6detail17trampoline_kernelINS0_14default_configENS1_21merge_config_selectorINS0_5tupleIJiiEEENS0_10empty_typeEEEZNS1_10merge_implIS3_NS0_12zip_iteratorINS5_IJN6thrust23THRUST_200600_302600_NS6detail15normal_iteratorINSC_10device_ptrIKiEEEESI_EEEEESK_NSA_INS5_IJNSE_INSF_IiEEEESM_EEEEEPS7_SP_SP_NSC_11hip_rocprim7__merge17predicate_wrapperIiiNSC_7greaterIiEEEEEE10hipError_tPvRmT0_T1_T2_T3_T4_T5_mmT6_P12ihipStream_tbEUlT_E_NS1_11comp_targetILNS1_3genE10ELNS1_11target_archE1201ELNS1_3gpuE5ELNS1_3repE0EEENS1_30default_config_static_selectorELNS0_4arch9wavefront6targetE0EEEvS10_
                                        ; -- End function
	.set _ZN7rocprim17ROCPRIM_400000_NS6detail17trampoline_kernelINS0_14default_configENS1_21merge_config_selectorINS0_5tupleIJiiEEENS0_10empty_typeEEEZNS1_10merge_implIS3_NS0_12zip_iteratorINS5_IJN6thrust23THRUST_200600_302600_NS6detail15normal_iteratorINSC_10device_ptrIKiEEEESI_EEEEESK_NSA_INS5_IJNSE_INSF_IiEEEESM_EEEEEPS7_SP_SP_NSC_11hip_rocprim7__merge17predicate_wrapperIiiNSC_7greaterIiEEEEEE10hipError_tPvRmT0_T1_T2_T3_T4_T5_mmT6_P12ihipStream_tbEUlT_E_NS1_11comp_targetILNS1_3genE10ELNS1_11target_archE1201ELNS1_3gpuE5ELNS1_3repE0EEENS1_30default_config_static_selectorELNS0_4arch9wavefront6targetE0EEEvS10_.num_vgpr, 0
	.set _ZN7rocprim17ROCPRIM_400000_NS6detail17trampoline_kernelINS0_14default_configENS1_21merge_config_selectorINS0_5tupleIJiiEEENS0_10empty_typeEEEZNS1_10merge_implIS3_NS0_12zip_iteratorINS5_IJN6thrust23THRUST_200600_302600_NS6detail15normal_iteratorINSC_10device_ptrIKiEEEESI_EEEEESK_NSA_INS5_IJNSE_INSF_IiEEEESM_EEEEEPS7_SP_SP_NSC_11hip_rocprim7__merge17predicate_wrapperIiiNSC_7greaterIiEEEEEE10hipError_tPvRmT0_T1_T2_T3_T4_T5_mmT6_P12ihipStream_tbEUlT_E_NS1_11comp_targetILNS1_3genE10ELNS1_11target_archE1201ELNS1_3gpuE5ELNS1_3repE0EEENS1_30default_config_static_selectorELNS0_4arch9wavefront6targetE0EEEvS10_.num_agpr, 0
	.set _ZN7rocprim17ROCPRIM_400000_NS6detail17trampoline_kernelINS0_14default_configENS1_21merge_config_selectorINS0_5tupleIJiiEEENS0_10empty_typeEEEZNS1_10merge_implIS3_NS0_12zip_iteratorINS5_IJN6thrust23THRUST_200600_302600_NS6detail15normal_iteratorINSC_10device_ptrIKiEEEESI_EEEEESK_NSA_INS5_IJNSE_INSF_IiEEEESM_EEEEEPS7_SP_SP_NSC_11hip_rocprim7__merge17predicate_wrapperIiiNSC_7greaterIiEEEEEE10hipError_tPvRmT0_T1_T2_T3_T4_T5_mmT6_P12ihipStream_tbEUlT_E_NS1_11comp_targetILNS1_3genE10ELNS1_11target_archE1201ELNS1_3gpuE5ELNS1_3repE0EEENS1_30default_config_static_selectorELNS0_4arch9wavefront6targetE0EEEvS10_.numbered_sgpr, 0
	.set _ZN7rocprim17ROCPRIM_400000_NS6detail17trampoline_kernelINS0_14default_configENS1_21merge_config_selectorINS0_5tupleIJiiEEENS0_10empty_typeEEEZNS1_10merge_implIS3_NS0_12zip_iteratorINS5_IJN6thrust23THRUST_200600_302600_NS6detail15normal_iteratorINSC_10device_ptrIKiEEEESI_EEEEESK_NSA_INS5_IJNSE_INSF_IiEEEESM_EEEEEPS7_SP_SP_NSC_11hip_rocprim7__merge17predicate_wrapperIiiNSC_7greaterIiEEEEEE10hipError_tPvRmT0_T1_T2_T3_T4_T5_mmT6_P12ihipStream_tbEUlT_E_NS1_11comp_targetILNS1_3genE10ELNS1_11target_archE1201ELNS1_3gpuE5ELNS1_3repE0EEENS1_30default_config_static_selectorELNS0_4arch9wavefront6targetE0EEEvS10_.num_named_barrier, 0
	.set _ZN7rocprim17ROCPRIM_400000_NS6detail17trampoline_kernelINS0_14default_configENS1_21merge_config_selectorINS0_5tupleIJiiEEENS0_10empty_typeEEEZNS1_10merge_implIS3_NS0_12zip_iteratorINS5_IJN6thrust23THRUST_200600_302600_NS6detail15normal_iteratorINSC_10device_ptrIKiEEEESI_EEEEESK_NSA_INS5_IJNSE_INSF_IiEEEESM_EEEEEPS7_SP_SP_NSC_11hip_rocprim7__merge17predicate_wrapperIiiNSC_7greaterIiEEEEEE10hipError_tPvRmT0_T1_T2_T3_T4_T5_mmT6_P12ihipStream_tbEUlT_E_NS1_11comp_targetILNS1_3genE10ELNS1_11target_archE1201ELNS1_3gpuE5ELNS1_3repE0EEENS1_30default_config_static_selectorELNS0_4arch9wavefront6targetE0EEEvS10_.private_seg_size, 0
	.set _ZN7rocprim17ROCPRIM_400000_NS6detail17trampoline_kernelINS0_14default_configENS1_21merge_config_selectorINS0_5tupleIJiiEEENS0_10empty_typeEEEZNS1_10merge_implIS3_NS0_12zip_iteratorINS5_IJN6thrust23THRUST_200600_302600_NS6detail15normal_iteratorINSC_10device_ptrIKiEEEESI_EEEEESK_NSA_INS5_IJNSE_INSF_IiEEEESM_EEEEEPS7_SP_SP_NSC_11hip_rocprim7__merge17predicate_wrapperIiiNSC_7greaterIiEEEEEE10hipError_tPvRmT0_T1_T2_T3_T4_T5_mmT6_P12ihipStream_tbEUlT_E_NS1_11comp_targetILNS1_3genE10ELNS1_11target_archE1201ELNS1_3gpuE5ELNS1_3repE0EEENS1_30default_config_static_selectorELNS0_4arch9wavefront6targetE0EEEvS10_.uses_vcc, 0
	.set _ZN7rocprim17ROCPRIM_400000_NS6detail17trampoline_kernelINS0_14default_configENS1_21merge_config_selectorINS0_5tupleIJiiEEENS0_10empty_typeEEEZNS1_10merge_implIS3_NS0_12zip_iteratorINS5_IJN6thrust23THRUST_200600_302600_NS6detail15normal_iteratorINSC_10device_ptrIKiEEEESI_EEEEESK_NSA_INS5_IJNSE_INSF_IiEEEESM_EEEEEPS7_SP_SP_NSC_11hip_rocprim7__merge17predicate_wrapperIiiNSC_7greaterIiEEEEEE10hipError_tPvRmT0_T1_T2_T3_T4_T5_mmT6_P12ihipStream_tbEUlT_E_NS1_11comp_targetILNS1_3genE10ELNS1_11target_archE1201ELNS1_3gpuE5ELNS1_3repE0EEENS1_30default_config_static_selectorELNS0_4arch9wavefront6targetE0EEEvS10_.uses_flat_scratch, 0
	.set _ZN7rocprim17ROCPRIM_400000_NS6detail17trampoline_kernelINS0_14default_configENS1_21merge_config_selectorINS0_5tupleIJiiEEENS0_10empty_typeEEEZNS1_10merge_implIS3_NS0_12zip_iteratorINS5_IJN6thrust23THRUST_200600_302600_NS6detail15normal_iteratorINSC_10device_ptrIKiEEEESI_EEEEESK_NSA_INS5_IJNSE_INSF_IiEEEESM_EEEEEPS7_SP_SP_NSC_11hip_rocprim7__merge17predicate_wrapperIiiNSC_7greaterIiEEEEEE10hipError_tPvRmT0_T1_T2_T3_T4_T5_mmT6_P12ihipStream_tbEUlT_E_NS1_11comp_targetILNS1_3genE10ELNS1_11target_archE1201ELNS1_3gpuE5ELNS1_3repE0EEENS1_30default_config_static_selectorELNS0_4arch9wavefront6targetE0EEEvS10_.has_dyn_sized_stack, 0
	.set _ZN7rocprim17ROCPRIM_400000_NS6detail17trampoline_kernelINS0_14default_configENS1_21merge_config_selectorINS0_5tupleIJiiEEENS0_10empty_typeEEEZNS1_10merge_implIS3_NS0_12zip_iteratorINS5_IJN6thrust23THRUST_200600_302600_NS6detail15normal_iteratorINSC_10device_ptrIKiEEEESI_EEEEESK_NSA_INS5_IJNSE_INSF_IiEEEESM_EEEEEPS7_SP_SP_NSC_11hip_rocprim7__merge17predicate_wrapperIiiNSC_7greaterIiEEEEEE10hipError_tPvRmT0_T1_T2_T3_T4_T5_mmT6_P12ihipStream_tbEUlT_E_NS1_11comp_targetILNS1_3genE10ELNS1_11target_archE1201ELNS1_3gpuE5ELNS1_3repE0EEENS1_30default_config_static_selectorELNS0_4arch9wavefront6targetE0EEEvS10_.has_recursion, 0
	.set _ZN7rocprim17ROCPRIM_400000_NS6detail17trampoline_kernelINS0_14default_configENS1_21merge_config_selectorINS0_5tupleIJiiEEENS0_10empty_typeEEEZNS1_10merge_implIS3_NS0_12zip_iteratorINS5_IJN6thrust23THRUST_200600_302600_NS6detail15normal_iteratorINSC_10device_ptrIKiEEEESI_EEEEESK_NSA_INS5_IJNSE_INSF_IiEEEESM_EEEEEPS7_SP_SP_NSC_11hip_rocprim7__merge17predicate_wrapperIiiNSC_7greaterIiEEEEEE10hipError_tPvRmT0_T1_T2_T3_T4_T5_mmT6_P12ihipStream_tbEUlT_E_NS1_11comp_targetILNS1_3genE10ELNS1_11target_archE1201ELNS1_3gpuE5ELNS1_3repE0EEENS1_30default_config_static_selectorELNS0_4arch9wavefront6targetE0EEEvS10_.has_indirect_call, 0
	.section	.AMDGPU.csdata,"",@progbits
; Kernel info:
; codeLenInByte = 0
; TotalNumSgprs: 0
; NumVgprs: 0
; ScratchSize: 0
; MemoryBound: 0
; FloatMode: 240
; IeeeMode: 1
; LDSByteSize: 0 bytes/workgroup (compile time only)
; SGPRBlocks: 0
; VGPRBlocks: 0
; NumSGPRsForWavesPerEU: 1
; NumVGPRsForWavesPerEU: 1
; NamedBarCnt: 0
; Occupancy: 16
; WaveLimiterHint : 0
; COMPUTE_PGM_RSRC2:SCRATCH_EN: 0
; COMPUTE_PGM_RSRC2:USER_SGPR: 2
; COMPUTE_PGM_RSRC2:TRAP_HANDLER: 0
; COMPUTE_PGM_RSRC2:TGID_X_EN: 1
; COMPUTE_PGM_RSRC2:TGID_Y_EN: 0
; COMPUTE_PGM_RSRC2:TGID_Z_EN: 0
; COMPUTE_PGM_RSRC2:TIDIG_COMP_CNT: 0
	.section	.text._ZN7rocprim17ROCPRIM_400000_NS6detail17trampoline_kernelINS0_14default_configENS1_21merge_config_selectorINS0_5tupleIJiiEEENS0_10empty_typeEEEZNS1_10merge_implIS3_NS0_12zip_iteratorINS5_IJN6thrust23THRUST_200600_302600_NS6detail15normal_iteratorINSC_10device_ptrIKiEEEESI_EEEEESK_NSA_INS5_IJNSE_INSF_IiEEEESM_EEEEEPS7_SP_SP_NSC_11hip_rocprim7__merge17predicate_wrapperIiiNSC_7greaterIiEEEEEE10hipError_tPvRmT0_T1_T2_T3_T4_T5_mmT6_P12ihipStream_tbEUlT_E_NS1_11comp_targetILNS1_3genE10ELNS1_11target_archE1200ELNS1_3gpuE4ELNS1_3repE0EEENS1_30default_config_static_selectorELNS0_4arch9wavefront6targetE0EEEvS10_,"axG",@progbits,_ZN7rocprim17ROCPRIM_400000_NS6detail17trampoline_kernelINS0_14default_configENS1_21merge_config_selectorINS0_5tupleIJiiEEENS0_10empty_typeEEEZNS1_10merge_implIS3_NS0_12zip_iteratorINS5_IJN6thrust23THRUST_200600_302600_NS6detail15normal_iteratorINSC_10device_ptrIKiEEEESI_EEEEESK_NSA_INS5_IJNSE_INSF_IiEEEESM_EEEEEPS7_SP_SP_NSC_11hip_rocprim7__merge17predicate_wrapperIiiNSC_7greaterIiEEEEEE10hipError_tPvRmT0_T1_T2_T3_T4_T5_mmT6_P12ihipStream_tbEUlT_E_NS1_11comp_targetILNS1_3genE10ELNS1_11target_archE1200ELNS1_3gpuE4ELNS1_3repE0EEENS1_30default_config_static_selectorELNS0_4arch9wavefront6targetE0EEEvS10_,comdat
	.protected	_ZN7rocprim17ROCPRIM_400000_NS6detail17trampoline_kernelINS0_14default_configENS1_21merge_config_selectorINS0_5tupleIJiiEEENS0_10empty_typeEEEZNS1_10merge_implIS3_NS0_12zip_iteratorINS5_IJN6thrust23THRUST_200600_302600_NS6detail15normal_iteratorINSC_10device_ptrIKiEEEESI_EEEEESK_NSA_INS5_IJNSE_INSF_IiEEEESM_EEEEEPS7_SP_SP_NSC_11hip_rocprim7__merge17predicate_wrapperIiiNSC_7greaterIiEEEEEE10hipError_tPvRmT0_T1_T2_T3_T4_T5_mmT6_P12ihipStream_tbEUlT_E_NS1_11comp_targetILNS1_3genE10ELNS1_11target_archE1200ELNS1_3gpuE4ELNS1_3repE0EEENS1_30default_config_static_selectorELNS0_4arch9wavefront6targetE0EEEvS10_ ; -- Begin function _ZN7rocprim17ROCPRIM_400000_NS6detail17trampoline_kernelINS0_14default_configENS1_21merge_config_selectorINS0_5tupleIJiiEEENS0_10empty_typeEEEZNS1_10merge_implIS3_NS0_12zip_iteratorINS5_IJN6thrust23THRUST_200600_302600_NS6detail15normal_iteratorINSC_10device_ptrIKiEEEESI_EEEEESK_NSA_INS5_IJNSE_INSF_IiEEEESM_EEEEEPS7_SP_SP_NSC_11hip_rocprim7__merge17predicate_wrapperIiiNSC_7greaterIiEEEEEE10hipError_tPvRmT0_T1_T2_T3_T4_T5_mmT6_P12ihipStream_tbEUlT_E_NS1_11comp_targetILNS1_3genE10ELNS1_11target_archE1200ELNS1_3gpuE4ELNS1_3repE0EEENS1_30default_config_static_selectorELNS0_4arch9wavefront6targetE0EEEvS10_
	.globl	_ZN7rocprim17ROCPRIM_400000_NS6detail17trampoline_kernelINS0_14default_configENS1_21merge_config_selectorINS0_5tupleIJiiEEENS0_10empty_typeEEEZNS1_10merge_implIS3_NS0_12zip_iteratorINS5_IJN6thrust23THRUST_200600_302600_NS6detail15normal_iteratorINSC_10device_ptrIKiEEEESI_EEEEESK_NSA_INS5_IJNSE_INSF_IiEEEESM_EEEEEPS7_SP_SP_NSC_11hip_rocprim7__merge17predicate_wrapperIiiNSC_7greaterIiEEEEEE10hipError_tPvRmT0_T1_T2_T3_T4_T5_mmT6_P12ihipStream_tbEUlT_E_NS1_11comp_targetILNS1_3genE10ELNS1_11target_archE1200ELNS1_3gpuE4ELNS1_3repE0EEENS1_30default_config_static_selectorELNS0_4arch9wavefront6targetE0EEEvS10_
	.p2align	8
	.type	_ZN7rocprim17ROCPRIM_400000_NS6detail17trampoline_kernelINS0_14default_configENS1_21merge_config_selectorINS0_5tupleIJiiEEENS0_10empty_typeEEEZNS1_10merge_implIS3_NS0_12zip_iteratorINS5_IJN6thrust23THRUST_200600_302600_NS6detail15normal_iteratorINSC_10device_ptrIKiEEEESI_EEEEESK_NSA_INS5_IJNSE_INSF_IiEEEESM_EEEEEPS7_SP_SP_NSC_11hip_rocprim7__merge17predicate_wrapperIiiNSC_7greaterIiEEEEEE10hipError_tPvRmT0_T1_T2_T3_T4_T5_mmT6_P12ihipStream_tbEUlT_E_NS1_11comp_targetILNS1_3genE10ELNS1_11target_archE1200ELNS1_3gpuE4ELNS1_3repE0EEENS1_30default_config_static_selectorELNS0_4arch9wavefront6targetE0EEEvS10_,@function
_ZN7rocprim17ROCPRIM_400000_NS6detail17trampoline_kernelINS0_14default_configENS1_21merge_config_selectorINS0_5tupleIJiiEEENS0_10empty_typeEEEZNS1_10merge_implIS3_NS0_12zip_iteratorINS5_IJN6thrust23THRUST_200600_302600_NS6detail15normal_iteratorINSC_10device_ptrIKiEEEESI_EEEEESK_NSA_INS5_IJNSE_INSF_IiEEEESM_EEEEEPS7_SP_SP_NSC_11hip_rocprim7__merge17predicate_wrapperIiiNSC_7greaterIiEEEEEE10hipError_tPvRmT0_T1_T2_T3_T4_T5_mmT6_P12ihipStream_tbEUlT_E_NS1_11comp_targetILNS1_3genE10ELNS1_11target_archE1200ELNS1_3gpuE4ELNS1_3repE0EEENS1_30default_config_static_selectorELNS0_4arch9wavefront6targetE0EEEvS10_: ; @_ZN7rocprim17ROCPRIM_400000_NS6detail17trampoline_kernelINS0_14default_configENS1_21merge_config_selectorINS0_5tupleIJiiEEENS0_10empty_typeEEEZNS1_10merge_implIS3_NS0_12zip_iteratorINS5_IJN6thrust23THRUST_200600_302600_NS6detail15normal_iteratorINSC_10device_ptrIKiEEEESI_EEEEESK_NSA_INS5_IJNSE_INSF_IiEEEESM_EEEEEPS7_SP_SP_NSC_11hip_rocprim7__merge17predicate_wrapperIiiNSC_7greaterIiEEEEEE10hipError_tPvRmT0_T1_T2_T3_T4_T5_mmT6_P12ihipStream_tbEUlT_E_NS1_11comp_targetILNS1_3genE10ELNS1_11target_archE1200ELNS1_3gpuE4ELNS1_3repE0EEENS1_30default_config_static_selectorELNS0_4arch9wavefront6targetE0EEEvS10_
; %bb.0:
	.section	.rodata,"a",@progbits
	.p2align	6, 0x0
	.amdhsa_kernel _ZN7rocprim17ROCPRIM_400000_NS6detail17trampoline_kernelINS0_14default_configENS1_21merge_config_selectorINS0_5tupleIJiiEEENS0_10empty_typeEEEZNS1_10merge_implIS3_NS0_12zip_iteratorINS5_IJN6thrust23THRUST_200600_302600_NS6detail15normal_iteratorINSC_10device_ptrIKiEEEESI_EEEEESK_NSA_INS5_IJNSE_INSF_IiEEEESM_EEEEEPS7_SP_SP_NSC_11hip_rocprim7__merge17predicate_wrapperIiiNSC_7greaterIiEEEEEE10hipError_tPvRmT0_T1_T2_T3_T4_T5_mmT6_P12ihipStream_tbEUlT_E_NS1_11comp_targetILNS1_3genE10ELNS1_11target_archE1200ELNS1_3gpuE4ELNS1_3repE0EEENS1_30default_config_static_selectorELNS0_4arch9wavefront6targetE0EEEvS10_
		.amdhsa_group_segment_fixed_size 0
		.amdhsa_private_segment_fixed_size 0
		.amdhsa_kernarg_size 64
		.amdhsa_user_sgpr_count 2
		.amdhsa_user_sgpr_dispatch_ptr 0
		.amdhsa_user_sgpr_queue_ptr 0
		.amdhsa_user_sgpr_kernarg_segment_ptr 1
		.amdhsa_user_sgpr_dispatch_id 0
		.amdhsa_user_sgpr_kernarg_preload_length 0
		.amdhsa_user_sgpr_kernarg_preload_offset 0
		.amdhsa_user_sgpr_private_segment_size 0
		.amdhsa_wavefront_size32 1
		.amdhsa_uses_dynamic_stack 0
		.amdhsa_enable_private_segment 0
		.amdhsa_system_sgpr_workgroup_id_x 1
		.amdhsa_system_sgpr_workgroup_id_y 0
		.amdhsa_system_sgpr_workgroup_id_z 0
		.amdhsa_system_sgpr_workgroup_info 0
		.amdhsa_system_vgpr_workitem_id 0
		.amdhsa_next_free_vgpr 1
		.amdhsa_next_free_sgpr 1
		.amdhsa_named_barrier_count 0
		.amdhsa_reserve_vcc 0
		.amdhsa_float_round_mode_32 0
		.amdhsa_float_round_mode_16_64 0
		.amdhsa_float_denorm_mode_32 3
		.amdhsa_float_denorm_mode_16_64 3
		.amdhsa_fp16_overflow 0
		.amdhsa_memory_ordered 1
		.amdhsa_forward_progress 1
		.amdhsa_inst_pref_size 0
		.amdhsa_round_robin_scheduling 0
		.amdhsa_exception_fp_ieee_invalid_op 0
		.amdhsa_exception_fp_denorm_src 0
		.amdhsa_exception_fp_ieee_div_zero 0
		.amdhsa_exception_fp_ieee_overflow 0
		.amdhsa_exception_fp_ieee_underflow 0
		.amdhsa_exception_fp_ieee_inexact 0
		.amdhsa_exception_int_div_zero 0
	.end_amdhsa_kernel
	.section	.text._ZN7rocprim17ROCPRIM_400000_NS6detail17trampoline_kernelINS0_14default_configENS1_21merge_config_selectorINS0_5tupleIJiiEEENS0_10empty_typeEEEZNS1_10merge_implIS3_NS0_12zip_iteratorINS5_IJN6thrust23THRUST_200600_302600_NS6detail15normal_iteratorINSC_10device_ptrIKiEEEESI_EEEEESK_NSA_INS5_IJNSE_INSF_IiEEEESM_EEEEEPS7_SP_SP_NSC_11hip_rocprim7__merge17predicate_wrapperIiiNSC_7greaterIiEEEEEE10hipError_tPvRmT0_T1_T2_T3_T4_T5_mmT6_P12ihipStream_tbEUlT_E_NS1_11comp_targetILNS1_3genE10ELNS1_11target_archE1200ELNS1_3gpuE4ELNS1_3repE0EEENS1_30default_config_static_selectorELNS0_4arch9wavefront6targetE0EEEvS10_,"axG",@progbits,_ZN7rocprim17ROCPRIM_400000_NS6detail17trampoline_kernelINS0_14default_configENS1_21merge_config_selectorINS0_5tupleIJiiEEENS0_10empty_typeEEEZNS1_10merge_implIS3_NS0_12zip_iteratorINS5_IJN6thrust23THRUST_200600_302600_NS6detail15normal_iteratorINSC_10device_ptrIKiEEEESI_EEEEESK_NSA_INS5_IJNSE_INSF_IiEEEESM_EEEEEPS7_SP_SP_NSC_11hip_rocprim7__merge17predicate_wrapperIiiNSC_7greaterIiEEEEEE10hipError_tPvRmT0_T1_T2_T3_T4_T5_mmT6_P12ihipStream_tbEUlT_E_NS1_11comp_targetILNS1_3genE10ELNS1_11target_archE1200ELNS1_3gpuE4ELNS1_3repE0EEENS1_30default_config_static_selectorELNS0_4arch9wavefront6targetE0EEEvS10_,comdat
.Lfunc_end431:
	.size	_ZN7rocprim17ROCPRIM_400000_NS6detail17trampoline_kernelINS0_14default_configENS1_21merge_config_selectorINS0_5tupleIJiiEEENS0_10empty_typeEEEZNS1_10merge_implIS3_NS0_12zip_iteratorINS5_IJN6thrust23THRUST_200600_302600_NS6detail15normal_iteratorINSC_10device_ptrIKiEEEESI_EEEEESK_NSA_INS5_IJNSE_INSF_IiEEEESM_EEEEEPS7_SP_SP_NSC_11hip_rocprim7__merge17predicate_wrapperIiiNSC_7greaterIiEEEEEE10hipError_tPvRmT0_T1_T2_T3_T4_T5_mmT6_P12ihipStream_tbEUlT_E_NS1_11comp_targetILNS1_3genE10ELNS1_11target_archE1200ELNS1_3gpuE4ELNS1_3repE0EEENS1_30default_config_static_selectorELNS0_4arch9wavefront6targetE0EEEvS10_, .Lfunc_end431-_ZN7rocprim17ROCPRIM_400000_NS6detail17trampoline_kernelINS0_14default_configENS1_21merge_config_selectorINS0_5tupleIJiiEEENS0_10empty_typeEEEZNS1_10merge_implIS3_NS0_12zip_iteratorINS5_IJN6thrust23THRUST_200600_302600_NS6detail15normal_iteratorINSC_10device_ptrIKiEEEESI_EEEEESK_NSA_INS5_IJNSE_INSF_IiEEEESM_EEEEEPS7_SP_SP_NSC_11hip_rocprim7__merge17predicate_wrapperIiiNSC_7greaterIiEEEEEE10hipError_tPvRmT0_T1_T2_T3_T4_T5_mmT6_P12ihipStream_tbEUlT_E_NS1_11comp_targetILNS1_3genE10ELNS1_11target_archE1200ELNS1_3gpuE4ELNS1_3repE0EEENS1_30default_config_static_selectorELNS0_4arch9wavefront6targetE0EEEvS10_
                                        ; -- End function
	.set _ZN7rocprim17ROCPRIM_400000_NS6detail17trampoline_kernelINS0_14default_configENS1_21merge_config_selectorINS0_5tupleIJiiEEENS0_10empty_typeEEEZNS1_10merge_implIS3_NS0_12zip_iteratorINS5_IJN6thrust23THRUST_200600_302600_NS6detail15normal_iteratorINSC_10device_ptrIKiEEEESI_EEEEESK_NSA_INS5_IJNSE_INSF_IiEEEESM_EEEEEPS7_SP_SP_NSC_11hip_rocprim7__merge17predicate_wrapperIiiNSC_7greaterIiEEEEEE10hipError_tPvRmT0_T1_T2_T3_T4_T5_mmT6_P12ihipStream_tbEUlT_E_NS1_11comp_targetILNS1_3genE10ELNS1_11target_archE1200ELNS1_3gpuE4ELNS1_3repE0EEENS1_30default_config_static_selectorELNS0_4arch9wavefront6targetE0EEEvS10_.num_vgpr, 0
	.set _ZN7rocprim17ROCPRIM_400000_NS6detail17trampoline_kernelINS0_14default_configENS1_21merge_config_selectorINS0_5tupleIJiiEEENS0_10empty_typeEEEZNS1_10merge_implIS3_NS0_12zip_iteratorINS5_IJN6thrust23THRUST_200600_302600_NS6detail15normal_iteratorINSC_10device_ptrIKiEEEESI_EEEEESK_NSA_INS5_IJNSE_INSF_IiEEEESM_EEEEEPS7_SP_SP_NSC_11hip_rocprim7__merge17predicate_wrapperIiiNSC_7greaterIiEEEEEE10hipError_tPvRmT0_T1_T2_T3_T4_T5_mmT6_P12ihipStream_tbEUlT_E_NS1_11comp_targetILNS1_3genE10ELNS1_11target_archE1200ELNS1_3gpuE4ELNS1_3repE0EEENS1_30default_config_static_selectorELNS0_4arch9wavefront6targetE0EEEvS10_.num_agpr, 0
	.set _ZN7rocprim17ROCPRIM_400000_NS6detail17trampoline_kernelINS0_14default_configENS1_21merge_config_selectorINS0_5tupleIJiiEEENS0_10empty_typeEEEZNS1_10merge_implIS3_NS0_12zip_iteratorINS5_IJN6thrust23THRUST_200600_302600_NS6detail15normal_iteratorINSC_10device_ptrIKiEEEESI_EEEEESK_NSA_INS5_IJNSE_INSF_IiEEEESM_EEEEEPS7_SP_SP_NSC_11hip_rocprim7__merge17predicate_wrapperIiiNSC_7greaterIiEEEEEE10hipError_tPvRmT0_T1_T2_T3_T4_T5_mmT6_P12ihipStream_tbEUlT_E_NS1_11comp_targetILNS1_3genE10ELNS1_11target_archE1200ELNS1_3gpuE4ELNS1_3repE0EEENS1_30default_config_static_selectorELNS0_4arch9wavefront6targetE0EEEvS10_.numbered_sgpr, 0
	.set _ZN7rocprim17ROCPRIM_400000_NS6detail17trampoline_kernelINS0_14default_configENS1_21merge_config_selectorINS0_5tupleIJiiEEENS0_10empty_typeEEEZNS1_10merge_implIS3_NS0_12zip_iteratorINS5_IJN6thrust23THRUST_200600_302600_NS6detail15normal_iteratorINSC_10device_ptrIKiEEEESI_EEEEESK_NSA_INS5_IJNSE_INSF_IiEEEESM_EEEEEPS7_SP_SP_NSC_11hip_rocprim7__merge17predicate_wrapperIiiNSC_7greaterIiEEEEEE10hipError_tPvRmT0_T1_T2_T3_T4_T5_mmT6_P12ihipStream_tbEUlT_E_NS1_11comp_targetILNS1_3genE10ELNS1_11target_archE1200ELNS1_3gpuE4ELNS1_3repE0EEENS1_30default_config_static_selectorELNS0_4arch9wavefront6targetE0EEEvS10_.num_named_barrier, 0
	.set _ZN7rocprim17ROCPRIM_400000_NS6detail17trampoline_kernelINS0_14default_configENS1_21merge_config_selectorINS0_5tupleIJiiEEENS0_10empty_typeEEEZNS1_10merge_implIS3_NS0_12zip_iteratorINS5_IJN6thrust23THRUST_200600_302600_NS6detail15normal_iteratorINSC_10device_ptrIKiEEEESI_EEEEESK_NSA_INS5_IJNSE_INSF_IiEEEESM_EEEEEPS7_SP_SP_NSC_11hip_rocprim7__merge17predicate_wrapperIiiNSC_7greaterIiEEEEEE10hipError_tPvRmT0_T1_T2_T3_T4_T5_mmT6_P12ihipStream_tbEUlT_E_NS1_11comp_targetILNS1_3genE10ELNS1_11target_archE1200ELNS1_3gpuE4ELNS1_3repE0EEENS1_30default_config_static_selectorELNS0_4arch9wavefront6targetE0EEEvS10_.private_seg_size, 0
	.set _ZN7rocprim17ROCPRIM_400000_NS6detail17trampoline_kernelINS0_14default_configENS1_21merge_config_selectorINS0_5tupleIJiiEEENS0_10empty_typeEEEZNS1_10merge_implIS3_NS0_12zip_iteratorINS5_IJN6thrust23THRUST_200600_302600_NS6detail15normal_iteratorINSC_10device_ptrIKiEEEESI_EEEEESK_NSA_INS5_IJNSE_INSF_IiEEEESM_EEEEEPS7_SP_SP_NSC_11hip_rocprim7__merge17predicate_wrapperIiiNSC_7greaterIiEEEEEE10hipError_tPvRmT0_T1_T2_T3_T4_T5_mmT6_P12ihipStream_tbEUlT_E_NS1_11comp_targetILNS1_3genE10ELNS1_11target_archE1200ELNS1_3gpuE4ELNS1_3repE0EEENS1_30default_config_static_selectorELNS0_4arch9wavefront6targetE0EEEvS10_.uses_vcc, 0
	.set _ZN7rocprim17ROCPRIM_400000_NS6detail17trampoline_kernelINS0_14default_configENS1_21merge_config_selectorINS0_5tupleIJiiEEENS0_10empty_typeEEEZNS1_10merge_implIS3_NS0_12zip_iteratorINS5_IJN6thrust23THRUST_200600_302600_NS6detail15normal_iteratorINSC_10device_ptrIKiEEEESI_EEEEESK_NSA_INS5_IJNSE_INSF_IiEEEESM_EEEEEPS7_SP_SP_NSC_11hip_rocprim7__merge17predicate_wrapperIiiNSC_7greaterIiEEEEEE10hipError_tPvRmT0_T1_T2_T3_T4_T5_mmT6_P12ihipStream_tbEUlT_E_NS1_11comp_targetILNS1_3genE10ELNS1_11target_archE1200ELNS1_3gpuE4ELNS1_3repE0EEENS1_30default_config_static_selectorELNS0_4arch9wavefront6targetE0EEEvS10_.uses_flat_scratch, 0
	.set _ZN7rocprim17ROCPRIM_400000_NS6detail17trampoline_kernelINS0_14default_configENS1_21merge_config_selectorINS0_5tupleIJiiEEENS0_10empty_typeEEEZNS1_10merge_implIS3_NS0_12zip_iteratorINS5_IJN6thrust23THRUST_200600_302600_NS6detail15normal_iteratorINSC_10device_ptrIKiEEEESI_EEEEESK_NSA_INS5_IJNSE_INSF_IiEEEESM_EEEEEPS7_SP_SP_NSC_11hip_rocprim7__merge17predicate_wrapperIiiNSC_7greaterIiEEEEEE10hipError_tPvRmT0_T1_T2_T3_T4_T5_mmT6_P12ihipStream_tbEUlT_E_NS1_11comp_targetILNS1_3genE10ELNS1_11target_archE1200ELNS1_3gpuE4ELNS1_3repE0EEENS1_30default_config_static_selectorELNS0_4arch9wavefront6targetE0EEEvS10_.has_dyn_sized_stack, 0
	.set _ZN7rocprim17ROCPRIM_400000_NS6detail17trampoline_kernelINS0_14default_configENS1_21merge_config_selectorINS0_5tupleIJiiEEENS0_10empty_typeEEEZNS1_10merge_implIS3_NS0_12zip_iteratorINS5_IJN6thrust23THRUST_200600_302600_NS6detail15normal_iteratorINSC_10device_ptrIKiEEEESI_EEEEESK_NSA_INS5_IJNSE_INSF_IiEEEESM_EEEEEPS7_SP_SP_NSC_11hip_rocprim7__merge17predicate_wrapperIiiNSC_7greaterIiEEEEEE10hipError_tPvRmT0_T1_T2_T3_T4_T5_mmT6_P12ihipStream_tbEUlT_E_NS1_11comp_targetILNS1_3genE10ELNS1_11target_archE1200ELNS1_3gpuE4ELNS1_3repE0EEENS1_30default_config_static_selectorELNS0_4arch9wavefront6targetE0EEEvS10_.has_recursion, 0
	.set _ZN7rocprim17ROCPRIM_400000_NS6detail17trampoline_kernelINS0_14default_configENS1_21merge_config_selectorINS0_5tupleIJiiEEENS0_10empty_typeEEEZNS1_10merge_implIS3_NS0_12zip_iteratorINS5_IJN6thrust23THRUST_200600_302600_NS6detail15normal_iteratorINSC_10device_ptrIKiEEEESI_EEEEESK_NSA_INS5_IJNSE_INSF_IiEEEESM_EEEEEPS7_SP_SP_NSC_11hip_rocprim7__merge17predicate_wrapperIiiNSC_7greaterIiEEEEEE10hipError_tPvRmT0_T1_T2_T3_T4_T5_mmT6_P12ihipStream_tbEUlT_E_NS1_11comp_targetILNS1_3genE10ELNS1_11target_archE1200ELNS1_3gpuE4ELNS1_3repE0EEENS1_30default_config_static_selectorELNS0_4arch9wavefront6targetE0EEEvS10_.has_indirect_call, 0
	.section	.AMDGPU.csdata,"",@progbits
; Kernel info:
; codeLenInByte = 0
; TotalNumSgprs: 0
; NumVgprs: 0
; ScratchSize: 0
; MemoryBound: 0
; FloatMode: 240
; IeeeMode: 1
; LDSByteSize: 0 bytes/workgroup (compile time only)
; SGPRBlocks: 0
; VGPRBlocks: 0
; NumSGPRsForWavesPerEU: 1
; NumVGPRsForWavesPerEU: 1
; NamedBarCnt: 0
; Occupancy: 16
; WaveLimiterHint : 0
; COMPUTE_PGM_RSRC2:SCRATCH_EN: 0
; COMPUTE_PGM_RSRC2:USER_SGPR: 2
; COMPUTE_PGM_RSRC2:TRAP_HANDLER: 0
; COMPUTE_PGM_RSRC2:TGID_X_EN: 1
; COMPUTE_PGM_RSRC2:TGID_Y_EN: 0
; COMPUTE_PGM_RSRC2:TGID_Z_EN: 0
; COMPUTE_PGM_RSRC2:TIDIG_COMP_CNT: 0
	.section	.text._ZN7rocprim17ROCPRIM_400000_NS6detail17trampoline_kernelINS0_14default_configENS1_21merge_config_selectorINS0_5tupleIJiiEEENS0_10empty_typeEEEZNS1_10merge_implIS3_NS0_12zip_iteratorINS5_IJN6thrust23THRUST_200600_302600_NS6detail15normal_iteratorINSC_10device_ptrIKiEEEESI_EEEEESK_NSA_INS5_IJNSE_INSF_IiEEEESM_EEEEEPS7_SP_SP_NSC_11hip_rocprim7__merge17predicate_wrapperIiiNSC_7greaterIiEEEEEE10hipError_tPvRmT0_T1_T2_T3_T4_T5_mmT6_P12ihipStream_tbEUlT_E_NS1_11comp_targetILNS1_3genE9ELNS1_11target_archE1100ELNS1_3gpuE3ELNS1_3repE0EEENS1_30default_config_static_selectorELNS0_4arch9wavefront6targetE0EEEvS10_,"axG",@progbits,_ZN7rocprim17ROCPRIM_400000_NS6detail17trampoline_kernelINS0_14default_configENS1_21merge_config_selectorINS0_5tupleIJiiEEENS0_10empty_typeEEEZNS1_10merge_implIS3_NS0_12zip_iteratorINS5_IJN6thrust23THRUST_200600_302600_NS6detail15normal_iteratorINSC_10device_ptrIKiEEEESI_EEEEESK_NSA_INS5_IJNSE_INSF_IiEEEESM_EEEEEPS7_SP_SP_NSC_11hip_rocprim7__merge17predicate_wrapperIiiNSC_7greaterIiEEEEEE10hipError_tPvRmT0_T1_T2_T3_T4_T5_mmT6_P12ihipStream_tbEUlT_E_NS1_11comp_targetILNS1_3genE9ELNS1_11target_archE1100ELNS1_3gpuE3ELNS1_3repE0EEENS1_30default_config_static_selectorELNS0_4arch9wavefront6targetE0EEEvS10_,comdat
	.protected	_ZN7rocprim17ROCPRIM_400000_NS6detail17trampoline_kernelINS0_14default_configENS1_21merge_config_selectorINS0_5tupleIJiiEEENS0_10empty_typeEEEZNS1_10merge_implIS3_NS0_12zip_iteratorINS5_IJN6thrust23THRUST_200600_302600_NS6detail15normal_iteratorINSC_10device_ptrIKiEEEESI_EEEEESK_NSA_INS5_IJNSE_INSF_IiEEEESM_EEEEEPS7_SP_SP_NSC_11hip_rocprim7__merge17predicate_wrapperIiiNSC_7greaterIiEEEEEE10hipError_tPvRmT0_T1_T2_T3_T4_T5_mmT6_P12ihipStream_tbEUlT_E_NS1_11comp_targetILNS1_3genE9ELNS1_11target_archE1100ELNS1_3gpuE3ELNS1_3repE0EEENS1_30default_config_static_selectorELNS0_4arch9wavefront6targetE0EEEvS10_ ; -- Begin function _ZN7rocprim17ROCPRIM_400000_NS6detail17trampoline_kernelINS0_14default_configENS1_21merge_config_selectorINS0_5tupleIJiiEEENS0_10empty_typeEEEZNS1_10merge_implIS3_NS0_12zip_iteratorINS5_IJN6thrust23THRUST_200600_302600_NS6detail15normal_iteratorINSC_10device_ptrIKiEEEESI_EEEEESK_NSA_INS5_IJNSE_INSF_IiEEEESM_EEEEEPS7_SP_SP_NSC_11hip_rocprim7__merge17predicate_wrapperIiiNSC_7greaterIiEEEEEE10hipError_tPvRmT0_T1_T2_T3_T4_T5_mmT6_P12ihipStream_tbEUlT_E_NS1_11comp_targetILNS1_3genE9ELNS1_11target_archE1100ELNS1_3gpuE3ELNS1_3repE0EEENS1_30default_config_static_selectorELNS0_4arch9wavefront6targetE0EEEvS10_
	.globl	_ZN7rocprim17ROCPRIM_400000_NS6detail17trampoline_kernelINS0_14default_configENS1_21merge_config_selectorINS0_5tupleIJiiEEENS0_10empty_typeEEEZNS1_10merge_implIS3_NS0_12zip_iteratorINS5_IJN6thrust23THRUST_200600_302600_NS6detail15normal_iteratorINSC_10device_ptrIKiEEEESI_EEEEESK_NSA_INS5_IJNSE_INSF_IiEEEESM_EEEEEPS7_SP_SP_NSC_11hip_rocprim7__merge17predicate_wrapperIiiNSC_7greaterIiEEEEEE10hipError_tPvRmT0_T1_T2_T3_T4_T5_mmT6_P12ihipStream_tbEUlT_E_NS1_11comp_targetILNS1_3genE9ELNS1_11target_archE1100ELNS1_3gpuE3ELNS1_3repE0EEENS1_30default_config_static_selectorELNS0_4arch9wavefront6targetE0EEEvS10_
	.p2align	8
	.type	_ZN7rocprim17ROCPRIM_400000_NS6detail17trampoline_kernelINS0_14default_configENS1_21merge_config_selectorINS0_5tupleIJiiEEENS0_10empty_typeEEEZNS1_10merge_implIS3_NS0_12zip_iteratorINS5_IJN6thrust23THRUST_200600_302600_NS6detail15normal_iteratorINSC_10device_ptrIKiEEEESI_EEEEESK_NSA_INS5_IJNSE_INSF_IiEEEESM_EEEEEPS7_SP_SP_NSC_11hip_rocprim7__merge17predicate_wrapperIiiNSC_7greaterIiEEEEEE10hipError_tPvRmT0_T1_T2_T3_T4_T5_mmT6_P12ihipStream_tbEUlT_E_NS1_11comp_targetILNS1_3genE9ELNS1_11target_archE1100ELNS1_3gpuE3ELNS1_3repE0EEENS1_30default_config_static_selectorELNS0_4arch9wavefront6targetE0EEEvS10_,@function
_ZN7rocprim17ROCPRIM_400000_NS6detail17trampoline_kernelINS0_14default_configENS1_21merge_config_selectorINS0_5tupleIJiiEEENS0_10empty_typeEEEZNS1_10merge_implIS3_NS0_12zip_iteratorINS5_IJN6thrust23THRUST_200600_302600_NS6detail15normal_iteratorINSC_10device_ptrIKiEEEESI_EEEEESK_NSA_INS5_IJNSE_INSF_IiEEEESM_EEEEEPS7_SP_SP_NSC_11hip_rocprim7__merge17predicate_wrapperIiiNSC_7greaterIiEEEEEE10hipError_tPvRmT0_T1_T2_T3_T4_T5_mmT6_P12ihipStream_tbEUlT_E_NS1_11comp_targetILNS1_3genE9ELNS1_11target_archE1100ELNS1_3gpuE3ELNS1_3repE0EEENS1_30default_config_static_selectorELNS0_4arch9wavefront6targetE0EEEvS10_: ; @_ZN7rocprim17ROCPRIM_400000_NS6detail17trampoline_kernelINS0_14default_configENS1_21merge_config_selectorINS0_5tupleIJiiEEENS0_10empty_typeEEEZNS1_10merge_implIS3_NS0_12zip_iteratorINS5_IJN6thrust23THRUST_200600_302600_NS6detail15normal_iteratorINSC_10device_ptrIKiEEEESI_EEEEESK_NSA_INS5_IJNSE_INSF_IiEEEESM_EEEEEPS7_SP_SP_NSC_11hip_rocprim7__merge17predicate_wrapperIiiNSC_7greaterIiEEEEEE10hipError_tPvRmT0_T1_T2_T3_T4_T5_mmT6_P12ihipStream_tbEUlT_E_NS1_11comp_targetILNS1_3genE9ELNS1_11target_archE1100ELNS1_3gpuE3ELNS1_3repE0EEENS1_30default_config_static_selectorELNS0_4arch9wavefront6targetE0EEEvS10_
; %bb.0:
	.section	.rodata,"a",@progbits
	.p2align	6, 0x0
	.amdhsa_kernel _ZN7rocprim17ROCPRIM_400000_NS6detail17trampoline_kernelINS0_14default_configENS1_21merge_config_selectorINS0_5tupleIJiiEEENS0_10empty_typeEEEZNS1_10merge_implIS3_NS0_12zip_iteratorINS5_IJN6thrust23THRUST_200600_302600_NS6detail15normal_iteratorINSC_10device_ptrIKiEEEESI_EEEEESK_NSA_INS5_IJNSE_INSF_IiEEEESM_EEEEEPS7_SP_SP_NSC_11hip_rocprim7__merge17predicate_wrapperIiiNSC_7greaterIiEEEEEE10hipError_tPvRmT0_T1_T2_T3_T4_T5_mmT6_P12ihipStream_tbEUlT_E_NS1_11comp_targetILNS1_3genE9ELNS1_11target_archE1100ELNS1_3gpuE3ELNS1_3repE0EEENS1_30default_config_static_selectorELNS0_4arch9wavefront6targetE0EEEvS10_
		.amdhsa_group_segment_fixed_size 0
		.amdhsa_private_segment_fixed_size 0
		.amdhsa_kernarg_size 64
		.amdhsa_user_sgpr_count 2
		.amdhsa_user_sgpr_dispatch_ptr 0
		.amdhsa_user_sgpr_queue_ptr 0
		.amdhsa_user_sgpr_kernarg_segment_ptr 1
		.amdhsa_user_sgpr_dispatch_id 0
		.amdhsa_user_sgpr_kernarg_preload_length 0
		.amdhsa_user_sgpr_kernarg_preload_offset 0
		.amdhsa_user_sgpr_private_segment_size 0
		.amdhsa_wavefront_size32 1
		.amdhsa_uses_dynamic_stack 0
		.amdhsa_enable_private_segment 0
		.amdhsa_system_sgpr_workgroup_id_x 1
		.amdhsa_system_sgpr_workgroup_id_y 0
		.amdhsa_system_sgpr_workgroup_id_z 0
		.amdhsa_system_sgpr_workgroup_info 0
		.amdhsa_system_vgpr_workitem_id 0
		.amdhsa_next_free_vgpr 1
		.amdhsa_next_free_sgpr 1
		.amdhsa_named_barrier_count 0
		.amdhsa_reserve_vcc 0
		.amdhsa_float_round_mode_32 0
		.amdhsa_float_round_mode_16_64 0
		.amdhsa_float_denorm_mode_32 3
		.amdhsa_float_denorm_mode_16_64 3
		.amdhsa_fp16_overflow 0
		.amdhsa_memory_ordered 1
		.amdhsa_forward_progress 1
		.amdhsa_inst_pref_size 0
		.amdhsa_round_robin_scheduling 0
		.amdhsa_exception_fp_ieee_invalid_op 0
		.amdhsa_exception_fp_denorm_src 0
		.amdhsa_exception_fp_ieee_div_zero 0
		.amdhsa_exception_fp_ieee_overflow 0
		.amdhsa_exception_fp_ieee_underflow 0
		.amdhsa_exception_fp_ieee_inexact 0
		.amdhsa_exception_int_div_zero 0
	.end_amdhsa_kernel
	.section	.text._ZN7rocprim17ROCPRIM_400000_NS6detail17trampoline_kernelINS0_14default_configENS1_21merge_config_selectorINS0_5tupleIJiiEEENS0_10empty_typeEEEZNS1_10merge_implIS3_NS0_12zip_iteratorINS5_IJN6thrust23THRUST_200600_302600_NS6detail15normal_iteratorINSC_10device_ptrIKiEEEESI_EEEEESK_NSA_INS5_IJNSE_INSF_IiEEEESM_EEEEEPS7_SP_SP_NSC_11hip_rocprim7__merge17predicate_wrapperIiiNSC_7greaterIiEEEEEE10hipError_tPvRmT0_T1_T2_T3_T4_T5_mmT6_P12ihipStream_tbEUlT_E_NS1_11comp_targetILNS1_3genE9ELNS1_11target_archE1100ELNS1_3gpuE3ELNS1_3repE0EEENS1_30default_config_static_selectorELNS0_4arch9wavefront6targetE0EEEvS10_,"axG",@progbits,_ZN7rocprim17ROCPRIM_400000_NS6detail17trampoline_kernelINS0_14default_configENS1_21merge_config_selectorINS0_5tupleIJiiEEENS0_10empty_typeEEEZNS1_10merge_implIS3_NS0_12zip_iteratorINS5_IJN6thrust23THRUST_200600_302600_NS6detail15normal_iteratorINSC_10device_ptrIKiEEEESI_EEEEESK_NSA_INS5_IJNSE_INSF_IiEEEESM_EEEEEPS7_SP_SP_NSC_11hip_rocprim7__merge17predicate_wrapperIiiNSC_7greaterIiEEEEEE10hipError_tPvRmT0_T1_T2_T3_T4_T5_mmT6_P12ihipStream_tbEUlT_E_NS1_11comp_targetILNS1_3genE9ELNS1_11target_archE1100ELNS1_3gpuE3ELNS1_3repE0EEENS1_30default_config_static_selectorELNS0_4arch9wavefront6targetE0EEEvS10_,comdat
.Lfunc_end432:
	.size	_ZN7rocprim17ROCPRIM_400000_NS6detail17trampoline_kernelINS0_14default_configENS1_21merge_config_selectorINS0_5tupleIJiiEEENS0_10empty_typeEEEZNS1_10merge_implIS3_NS0_12zip_iteratorINS5_IJN6thrust23THRUST_200600_302600_NS6detail15normal_iteratorINSC_10device_ptrIKiEEEESI_EEEEESK_NSA_INS5_IJNSE_INSF_IiEEEESM_EEEEEPS7_SP_SP_NSC_11hip_rocprim7__merge17predicate_wrapperIiiNSC_7greaterIiEEEEEE10hipError_tPvRmT0_T1_T2_T3_T4_T5_mmT6_P12ihipStream_tbEUlT_E_NS1_11comp_targetILNS1_3genE9ELNS1_11target_archE1100ELNS1_3gpuE3ELNS1_3repE0EEENS1_30default_config_static_selectorELNS0_4arch9wavefront6targetE0EEEvS10_, .Lfunc_end432-_ZN7rocprim17ROCPRIM_400000_NS6detail17trampoline_kernelINS0_14default_configENS1_21merge_config_selectorINS0_5tupleIJiiEEENS0_10empty_typeEEEZNS1_10merge_implIS3_NS0_12zip_iteratorINS5_IJN6thrust23THRUST_200600_302600_NS6detail15normal_iteratorINSC_10device_ptrIKiEEEESI_EEEEESK_NSA_INS5_IJNSE_INSF_IiEEEESM_EEEEEPS7_SP_SP_NSC_11hip_rocprim7__merge17predicate_wrapperIiiNSC_7greaterIiEEEEEE10hipError_tPvRmT0_T1_T2_T3_T4_T5_mmT6_P12ihipStream_tbEUlT_E_NS1_11comp_targetILNS1_3genE9ELNS1_11target_archE1100ELNS1_3gpuE3ELNS1_3repE0EEENS1_30default_config_static_selectorELNS0_4arch9wavefront6targetE0EEEvS10_
                                        ; -- End function
	.set _ZN7rocprim17ROCPRIM_400000_NS6detail17trampoline_kernelINS0_14default_configENS1_21merge_config_selectorINS0_5tupleIJiiEEENS0_10empty_typeEEEZNS1_10merge_implIS3_NS0_12zip_iteratorINS5_IJN6thrust23THRUST_200600_302600_NS6detail15normal_iteratorINSC_10device_ptrIKiEEEESI_EEEEESK_NSA_INS5_IJNSE_INSF_IiEEEESM_EEEEEPS7_SP_SP_NSC_11hip_rocprim7__merge17predicate_wrapperIiiNSC_7greaterIiEEEEEE10hipError_tPvRmT0_T1_T2_T3_T4_T5_mmT6_P12ihipStream_tbEUlT_E_NS1_11comp_targetILNS1_3genE9ELNS1_11target_archE1100ELNS1_3gpuE3ELNS1_3repE0EEENS1_30default_config_static_selectorELNS0_4arch9wavefront6targetE0EEEvS10_.num_vgpr, 0
	.set _ZN7rocprim17ROCPRIM_400000_NS6detail17trampoline_kernelINS0_14default_configENS1_21merge_config_selectorINS0_5tupleIJiiEEENS0_10empty_typeEEEZNS1_10merge_implIS3_NS0_12zip_iteratorINS5_IJN6thrust23THRUST_200600_302600_NS6detail15normal_iteratorINSC_10device_ptrIKiEEEESI_EEEEESK_NSA_INS5_IJNSE_INSF_IiEEEESM_EEEEEPS7_SP_SP_NSC_11hip_rocprim7__merge17predicate_wrapperIiiNSC_7greaterIiEEEEEE10hipError_tPvRmT0_T1_T2_T3_T4_T5_mmT6_P12ihipStream_tbEUlT_E_NS1_11comp_targetILNS1_3genE9ELNS1_11target_archE1100ELNS1_3gpuE3ELNS1_3repE0EEENS1_30default_config_static_selectorELNS0_4arch9wavefront6targetE0EEEvS10_.num_agpr, 0
	.set _ZN7rocprim17ROCPRIM_400000_NS6detail17trampoline_kernelINS0_14default_configENS1_21merge_config_selectorINS0_5tupleIJiiEEENS0_10empty_typeEEEZNS1_10merge_implIS3_NS0_12zip_iteratorINS5_IJN6thrust23THRUST_200600_302600_NS6detail15normal_iteratorINSC_10device_ptrIKiEEEESI_EEEEESK_NSA_INS5_IJNSE_INSF_IiEEEESM_EEEEEPS7_SP_SP_NSC_11hip_rocprim7__merge17predicate_wrapperIiiNSC_7greaterIiEEEEEE10hipError_tPvRmT0_T1_T2_T3_T4_T5_mmT6_P12ihipStream_tbEUlT_E_NS1_11comp_targetILNS1_3genE9ELNS1_11target_archE1100ELNS1_3gpuE3ELNS1_3repE0EEENS1_30default_config_static_selectorELNS0_4arch9wavefront6targetE0EEEvS10_.numbered_sgpr, 0
	.set _ZN7rocprim17ROCPRIM_400000_NS6detail17trampoline_kernelINS0_14default_configENS1_21merge_config_selectorINS0_5tupleIJiiEEENS0_10empty_typeEEEZNS1_10merge_implIS3_NS0_12zip_iteratorINS5_IJN6thrust23THRUST_200600_302600_NS6detail15normal_iteratorINSC_10device_ptrIKiEEEESI_EEEEESK_NSA_INS5_IJNSE_INSF_IiEEEESM_EEEEEPS7_SP_SP_NSC_11hip_rocprim7__merge17predicate_wrapperIiiNSC_7greaterIiEEEEEE10hipError_tPvRmT0_T1_T2_T3_T4_T5_mmT6_P12ihipStream_tbEUlT_E_NS1_11comp_targetILNS1_3genE9ELNS1_11target_archE1100ELNS1_3gpuE3ELNS1_3repE0EEENS1_30default_config_static_selectorELNS0_4arch9wavefront6targetE0EEEvS10_.num_named_barrier, 0
	.set _ZN7rocprim17ROCPRIM_400000_NS6detail17trampoline_kernelINS0_14default_configENS1_21merge_config_selectorINS0_5tupleIJiiEEENS0_10empty_typeEEEZNS1_10merge_implIS3_NS0_12zip_iteratorINS5_IJN6thrust23THRUST_200600_302600_NS6detail15normal_iteratorINSC_10device_ptrIKiEEEESI_EEEEESK_NSA_INS5_IJNSE_INSF_IiEEEESM_EEEEEPS7_SP_SP_NSC_11hip_rocprim7__merge17predicate_wrapperIiiNSC_7greaterIiEEEEEE10hipError_tPvRmT0_T1_T2_T3_T4_T5_mmT6_P12ihipStream_tbEUlT_E_NS1_11comp_targetILNS1_3genE9ELNS1_11target_archE1100ELNS1_3gpuE3ELNS1_3repE0EEENS1_30default_config_static_selectorELNS0_4arch9wavefront6targetE0EEEvS10_.private_seg_size, 0
	.set _ZN7rocprim17ROCPRIM_400000_NS6detail17trampoline_kernelINS0_14default_configENS1_21merge_config_selectorINS0_5tupleIJiiEEENS0_10empty_typeEEEZNS1_10merge_implIS3_NS0_12zip_iteratorINS5_IJN6thrust23THRUST_200600_302600_NS6detail15normal_iteratorINSC_10device_ptrIKiEEEESI_EEEEESK_NSA_INS5_IJNSE_INSF_IiEEEESM_EEEEEPS7_SP_SP_NSC_11hip_rocprim7__merge17predicate_wrapperIiiNSC_7greaterIiEEEEEE10hipError_tPvRmT0_T1_T2_T3_T4_T5_mmT6_P12ihipStream_tbEUlT_E_NS1_11comp_targetILNS1_3genE9ELNS1_11target_archE1100ELNS1_3gpuE3ELNS1_3repE0EEENS1_30default_config_static_selectorELNS0_4arch9wavefront6targetE0EEEvS10_.uses_vcc, 0
	.set _ZN7rocprim17ROCPRIM_400000_NS6detail17trampoline_kernelINS0_14default_configENS1_21merge_config_selectorINS0_5tupleIJiiEEENS0_10empty_typeEEEZNS1_10merge_implIS3_NS0_12zip_iteratorINS5_IJN6thrust23THRUST_200600_302600_NS6detail15normal_iteratorINSC_10device_ptrIKiEEEESI_EEEEESK_NSA_INS5_IJNSE_INSF_IiEEEESM_EEEEEPS7_SP_SP_NSC_11hip_rocprim7__merge17predicate_wrapperIiiNSC_7greaterIiEEEEEE10hipError_tPvRmT0_T1_T2_T3_T4_T5_mmT6_P12ihipStream_tbEUlT_E_NS1_11comp_targetILNS1_3genE9ELNS1_11target_archE1100ELNS1_3gpuE3ELNS1_3repE0EEENS1_30default_config_static_selectorELNS0_4arch9wavefront6targetE0EEEvS10_.uses_flat_scratch, 0
	.set _ZN7rocprim17ROCPRIM_400000_NS6detail17trampoline_kernelINS0_14default_configENS1_21merge_config_selectorINS0_5tupleIJiiEEENS0_10empty_typeEEEZNS1_10merge_implIS3_NS0_12zip_iteratorINS5_IJN6thrust23THRUST_200600_302600_NS6detail15normal_iteratorINSC_10device_ptrIKiEEEESI_EEEEESK_NSA_INS5_IJNSE_INSF_IiEEEESM_EEEEEPS7_SP_SP_NSC_11hip_rocprim7__merge17predicate_wrapperIiiNSC_7greaterIiEEEEEE10hipError_tPvRmT0_T1_T2_T3_T4_T5_mmT6_P12ihipStream_tbEUlT_E_NS1_11comp_targetILNS1_3genE9ELNS1_11target_archE1100ELNS1_3gpuE3ELNS1_3repE0EEENS1_30default_config_static_selectorELNS0_4arch9wavefront6targetE0EEEvS10_.has_dyn_sized_stack, 0
	.set _ZN7rocprim17ROCPRIM_400000_NS6detail17trampoline_kernelINS0_14default_configENS1_21merge_config_selectorINS0_5tupleIJiiEEENS0_10empty_typeEEEZNS1_10merge_implIS3_NS0_12zip_iteratorINS5_IJN6thrust23THRUST_200600_302600_NS6detail15normal_iteratorINSC_10device_ptrIKiEEEESI_EEEEESK_NSA_INS5_IJNSE_INSF_IiEEEESM_EEEEEPS7_SP_SP_NSC_11hip_rocprim7__merge17predicate_wrapperIiiNSC_7greaterIiEEEEEE10hipError_tPvRmT0_T1_T2_T3_T4_T5_mmT6_P12ihipStream_tbEUlT_E_NS1_11comp_targetILNS1_3genE9ELNS1_11target_archE1100ELNS1_3gpuE3ELNS1_3repE0EEENS1_30default_config_static_selectorELNS0_4arch9wavefront6targetE0EEEvS10_.has_recursion, 0
	.set _ZN7rocprim17ROCPRIM_400000_NS6detail17trampoline_kernelINS0_14default_configENS1_21merge_config_selectorINS0_5tupleIJiiEEENS0_10empty_typeEEEZNS1_10merge_implIS3_NS0_12zip_iteratorINS5_IJN6thrust23THRUST_200600_302600_NS6detail15normal_iteratorINSC_10device_ptrIKiEEEESI_EEEEESK_NSA_INS5_IJNSE_INSF_IiEEEESM_EEEEEPS7_SP_SP_NSC_11hip_rocprim7__merge17predicate_wrapperIiiNSC_7greaterIiEEEEEE10hipError_tPvRmT0_T1_T2_T3_T4_T5_mmT6_P12ihipStream_tbEUlT_E_NS1_11comp_targetILNS1_3genE9ELNS1_11target_archE1100ELNS1_3gpuE3ELNS1_3repE0EEENS1_30default_config_static_selectorELNS0_4arch9wavefront6targetE0EEEvS10_.has_indirect_call, 0
	.section	.AMDGPU.csdata,"",@progbits
; Kernel info:
; codeLenInByte = 0
; TotalNumSgprs: 0
; NumVgprs: 0
; ScratchSize: 0
; MemoryBound: 0
; FloatMode: 240
; IeeeMode: 1
; LDSByteSize: 0 bytes/workgroup (compile time only)
; SGPRBlocks: 0
; VGPRBlocks: 0
; NumSGPRsForWavesPerEU: 1
; NumVGPRsForWavesPerEU: 1
; NamedBarCnt: 0
; Occupancy: 16
; WaveLimiterHint : 0
; COMPUTE_PGM_RSRC2:SCRATCH_EN: 0
; COMPUTE_PGM_RSRC2:USER_SGPR: 2
; COMPUTE_PGM_RSRC2:TRAP_HANDLER: 0
; COMPUTE_PGM_RSRC2:TGID_X_EN: 1
; COMPUTE_PGM_RSRC2:TGID_Y_EN: 0
; COMPUTE_PGM_RSRC2:TGID_Z_EN: 0
; COMPUTE_PGM_RSRC2:TIDIG_COMP_CNT: 0
	.section	.text._ZN7rocprim17ROCPRIM_400000_NS6detail17trampoline_kernelINS0_14default_configENS1_21merge_config_selectorINS0_5tupleIJiiEEENS0_10empty_typeEEEZNS1_10merge_implIS3_NS0_12zip_iteratorINS5_IJN6thrust23THRUST_200600_302600_NS6detail15normal_iteratorINSC_10device_ptrIKiEEEESI_EEEEESK_NSA_INS5_IJNSE_INSF_IiEEEESM_EEEEEPS7_SP_SP_NSC_11hip_rocprim7__merge17predicate_wrapperIiiNSC_7greaterIiEEEEEE10hipError_tPvRmT0_T1_T2_T3_T4_T5_mmT6_P12ihipStream_tbEUlT_E_NS1_11comp_targetILNS1_3genE8ELNS1_11target_archE1030ELNS1_3gpuE2ELNS1_3repE0EEENS1_30default_config_static_selectorELNS0_4arch9wavefront6targetE0EEEvS10_,"axG",@progbits,_ZN7rocprim17ROCPRIM_400000_NS6detail17trampoline_kernelINS0_14default_configENS1_21merge_config_selectorINS0_5tupleIJiiEEENS0_10empty_typeEEEZNS1_10merge_implIS3_NS0_12zip_iteratorINS5_IJN6thrust23THRUST_200600_302600_NS6detail15normal_iteratorINSC_10device_ptrIKiEEEESI_EEEEESK_NSA_INS5_IJNSE_INSF_IiEEEESM_EEEEEPS7_SP_SP_NSC_11hip_rocprim7__merge17predicate_wrapperIiiNSC_7greaterIiEEEEEE10hipError_tPvRmT0_T1_T2_T3_T4_T5_mmT6_P12ihipStream_tbEUlT_E_NS1_11comp_targetILNS1_3genE8ELNS1_11target_archE1030ELNS1_3gpuE2ELNS1_3repE0EEENS1_30default_config_static_selectorELNS0_4arch9wavefront6targetE0EEEvS10_,comdat
	.protected	_ZN7rocprim17ROCPRIM_400000_NS6detail17trampoline_kernelINS0_14default_configENS1_21merge_config_selectorINS0_5tupleIJiiEEENS0_10empty_typeEEEZNS1_10merge_implIS3_NS0_12zip_iteratorINS5_IJN6thrust23THRUST_200600_302600_NS6detail15normal_iteratorINSC_10device_ptrIKiEEEESI_EEEEESK_NSA_INS5_IJNSE_INSF_IiEEEESM_EEEEEPS7_SP_SP_NSC_11hip_rocprim7__merge17predicate_wrapperIiiNSC_7greaterIiEEEEEE10hipError_tPvRmT0_T1_T2_T3_T4_T5_mmT6_P12ihipStream_tbEUlT_E_NS1_11comp_targetILNS1_3genE8ELNS1_11target_archE1030ELNS1_3gpuE2ELNS1_3repE0EEENS1_30default_config_static_selectorELNS0_4arch9wavefront6targetE0EEEvS10_ ; -- Begin function _ZN7rocprim17ROCPRIM_400000_NS6detail17trampoline_kernelINS0_14default_configENS1_21merge_config_selectorINS0_5tupleIJiiEEENS0_10empty_typeEEEZNS1_10merge_implIS3_NS0_12zip_iteratorINS5_IJN6thrust23THRUST_200600_302600_NS6detail15normal_iteratorINSC_10device_ptrIKiEEEESI_EEEEESK_NSA_INS5_IJNSE_INSF_IiEEEESM_EEEEEPS7_SP_SP_NSC_11hip_rocprim7__merge17predicate_wrapperIiiNSC_7greaterIiEEEEEE10hipError_tPvRmT0_T1_T2_T3_T4_T5_mmT6_P12ihipStream_tbEUlT_E_NS1_11comp_targetILNS1_3genE8ELNS1_11target_archE1030ELNS1_3gpuE2ELNS1_3repE0EEENS1_30default_config_static_selectorELNS0_4arch9wavefront6targetE0EEEvS10_
	.globl	_ZN7rocprim17ROCPRIM_400000_NS6detail17trampoline_kernelINS0_14default_configENS1_21merge_config_selectorINS0_5tupleIJiiEEENS0_10empty_typeEEEZNS1_10merge_implIS3_NS0_12zip_iteratorINS5_IJN6thrust23THRUST_200600_302600_NS6detail15normal_iteratorINSC_10device_ptrIKiEEEESI_EEEEESK_NSA_INS5_IJNSE_INSF_IiEEEESM_EEEEEPS7_SP_SP_NSC_11hip_rocprim7__merge17predicate_wrapperIiiNSC_7greaterIiEEEEEE10hipError_tPvRmT0_T1_T2_T3_T4_T5_mmT6_P12ihipStream_tbEUlT_E_NS1_11comp_targetILNS1_3genE8ELNS1_11target_archE1030ELNS1_3gpuE2ELNS1_3repE0EEENS1_30default_config_static_selectorELNS0_4arch9wavefront6targetE0EEEvS10_
	.p2align	8
	.type	_ZN7rocprim17ROCPRIM_400000_NS6detail17trampoline_kernelINS0_14default_configENS1_21merge_config_selectorINS0_5tupleIJiiEEENS0_10empty_typeEEEZNS1_10merge_implIS3_NS0_12zip_iteratorINS5_IJN6thrust23THRUST_200600_302600_NS6detail15normal_iteratorINSC_10device_ptrIKiEEEESI_EEEEESK_NSA_INS5_IJNSE_INSF_IiEEEESM_EEEEEPS7_SP_SP_NSC_11hip_rocprim7__merge17predicate_wrapperIiiNSC_7greaterIiEEEEEE10hipError_tPvRmT0_T1_T2_T3_T4_T5_mmT6_P12ihipStream_tbEUlT_E_NS1_11comp_targetILNS1_3genE8ELNS1_11target_archE1030ELNS1_3gpuE2ELNS1_3repE0EEENS1_30default_config_static_selectorELNS0_4arch9wavefront6targetE0EEEvS10_,@function
_ZN7rocprim17ROCPRIM_400000_NS6detail17trampoline_kernelINS0_14default_configENS1_21merge_config_selectorINS0_5tupleIJiiEEENS0_10empty_typeEEEZNS1_10merge_implIS3_NS0_12zip_iteratorINS5_IJN6thrust23THRUST_200600_302600_NS6detail15normal_iteratorINSC_10device_ptrIKiEEEESI_EEEEESK_NSA_INS5_IJNSE_INSF_IiEEEESM_EEEEEPS7_SP_SP_NSC_11hip_rocprim7__merge17predicate_wrapperIiiNSC_7greaterIiEEEEEE10hipError_tPvRmT0_T1_T2_T3_T4_T5_mmT6_P12ihipStream_tbEUlT_E_NS1_11comp_targetILNS1_3genE8ELNS1_11target_archE1030ELNS1_3gpuE2ELNS1_3repE0EEENS1_30default_config_static_selectorELNS0_4arch9wavefront6targetE0EEEvS10_: ; @_ZN7rocprim17ROCPRIM_400000_NS6detail17trampoline_kernelINS0_14default_configENS1_21merge_config_selectorINS0_5tupleIJiiEEENS0_10empty_typeEEEZNS1_10merge_implIS3_NS0_12zip_iteratorINS5_IJN6thrust23THRUST_200600_302600_NS6detail15normal_iteratorINSC_10device_ptrIKiEEEESI_EEEEESK_NSA_INS5_IJNSE_INSF_IiEEEESM_EEEEEPS7_SP_SP_NSC_11hip_rocprim7__merge17predicate_wrapperIiiNSC_7greaterIiEEEEEE10hipError_tPvRmT0_T1_T2_T3_T4_T5_mmT6_P12ihipStream_tbEUlT_E_NS1_11comp_targetILNS1_3genE8ELNS1_11target_archE1030ELNS1_3gpuE2ELNS1_3repE0EEENS1_30default_config_static_selectorELNS0_4arch9wavefront6targetE0EEEvS10_
; %bb.0:
	.section	.rodata,"a",@progbits
	.p2align	6, 0x0
	.amdhsa_kernel _ZN7rocprim17ROCPRIM_400000_NS6detail17trampoline_kernelINS0_14default_configENS1_21merge_config_selectorINS0_5tupleIJiiEEENS0_10empty_typeEEEZNS1_10merge_implIS3_NS0_12zip_iteratorINS5_IJN6thrust23THRUST_200600_302600_NS6detail15normal_iteratorINSC_10device_ptrIKiEEEESI_EEEEESK_NSA_INS5_IJNSE_INSF_IiEEEESM_EEEEEPS7_SP_SP_NSC_11hip_rocprim7__merge17predicate_wrapperIiiNSC_7greaterIiEEEEEE10hipError_tPvRmT0_T1_T2_T3_T4_T5_mmT6_P12ihipStream_tbEUlT_E_NS1_11comp_targetILNS1_3genE8ELNS1_11target_archE1030ELNS1_3gpuE2ELNS1_3repE0EEENS1_30default_config_static_selectorELNS0_4arch9wavefront6targetE0EEEvS10_
		.amdhsa_group_segment_fixed_size 0
		.amdhsa_private_segment_fixed_size 0
		.amdhsa_kernarg_size 64
		.amdhsa_user_sgpr_count 2
		.amdhsa_user_sgpr_dispatch_ptr 0
		.amdhsa_user_sgpr_queue_ptr 0
		.amdhsa_user_sgpr_kernarg_segment_ptr 1
		.amdhsa_user_sgpr_dispatch_id 0
		.amdhsa_user_sgpr_kernarg_preload_length 0
		.amdhsa_user_sgpr_kernarg_preload_offset 0
		.amdhsa_user_sgpr_private_segment_size 0
		.amdhsa_wavefront_size32 1
		.amdhsa_uses_dynamic_stack 0
		.amdhsa_enable_private_segment 0
		.amdhsa_system_sgpr_workgroup_id_x 1
		.amdhsa_system_sgpr_workgroup_id_y 0
		.amdhsa_system_sgpr_workgroup_id_z 0
		.amdhsa_system_sgpr_workgroup_info 0
		.amdhsa_system_vgpr_workitem_id 0
		.amdhsa_next_free_vgpr 1
		.amdhsa_next_free_sgpr 1
		.amdhsa_named_barrier_count 0
		.amdhsa_reserve_vcc 0
		.amdhsa_float_round_mode_32 0
		.amdhsa_float_round_mode_16_64 0
		.amdhsa_float_denorm_mode_32 3
		.amdhsa_float_denorm_mode_16_64 3
		.amdhsa_fp16_overflow 0
		.amdhsa_memory_ordered 1
		.amdhsa_forward_progress 1
		.amdhsa_inst_pref_size 0
		.amdhsa_round_robin_scheduling 0
		.amdhsa_exception_fp_ieee_invalid_op 0
		.amdhsa_exception_fp_denorm_src 0
		.amdhsa_exception_fp_ieee_div_zero 0
		.amdhsa_exception_fp_ieee_overflow 0
		.amdhsa_exception_fp_ieee_underflow 0
		.amdhsa_exception_fp_ieee_inexact 0
		.amdhsa_exception_int_div_zero 0
	.end_amdhsa_kernel
	.section	.text._ZN7rocprim17ROCPRIM_400000_NS6detail17trampoline_kernelINS0_14default_configENS1_21merge_config_selectorINS0_5tupleIJiiEEENS0_10empty_typeEEEZNS1_10merge_implIS3_NS0_12zip_iteratorINS5_IJN6thrust23THRUST_200600_302600_NS6detail15normal_iteratorINSC_10device_ptrIKiEEEESI_EEEEESK_NSA_INS5_IJNSE_INSF_IiEEEESM_EEEEEPS7_SP_SP_NSC_11hip_rocprim7__merge17predicate_wrapperIiiNSC_7greaterIiEEEEEE10hipError_tPvRmT0_T1_T2_T3_T4_T5_mmT6_P12ihipStream_tbEUlT_E_NS1_11comp_targetILNS1_3genE8ELNS1_11target_archE1030ELNS1_3gpuE2ELNS1_3repE0EEENS1_30default_config_static_selectorELNS0_4arch9wavefront6targetE0EEEvS10_,"axG",@progbits,_ZN7rocprim17ROCPRIM_400000_NS6detail17trampoline_kernelINS0_14default_configENS1_21merge_config_selectorINS0_5tupleIJiiEEENS0_10empty_typeEEEZNS1_10merge_implIS3_NS0_12zip_iteratorINS5_IJN6thrust23THRUST_200600_302600_NS6detail15normal_iteratorINSC_10device_ptrIKiEEEESI_EEEEESK_NSA_INS5_IJNSE_INSF_IiEEEESM_EEEEEPS7_SP_SP_NSC_11hip_rocprim7__merge17predicate_wrapperIiiNSC_7greaterIiEEEEEE10hipError_tPvRmT0_T1_T2_T3_T4_T5_mmT6_P12ihipStream_tbEUlT_E_NS1_11comp_targetILNS1_3genE8ELNS1_11target_archE1030ELNS1_3gpuE2ELNS1_3repE0EEENS1_30default_config_static_selectorELNS0_4arch9wavefront6targetE0EEEvS10_,comdat
.Lfunc_end433:
	.size	_ZN7rocprim17ROCPRIM_400000_NS6detail17trampoline_kernelINS0_14default_configENS1_21merge_config_selectorINS0_5tupleIJiiEEENS0_10empty_typeEEEZNS1_10merge_implIS3_NS0_12zip_iteratorINS5_IJN6thrust23THRUST_200600_302600_NS6detail15normal_iteratorINSC_10device_ptrIKiEEEESI_EEEEESK_NSA_INS5_IJNSE_INSF_IiEEEESM_EEEEEPS7_SP_SP_NSC_11hip_rocprim7__merge17predicate_wrapperIiiNSC_7greaterIiEEEEEE10hipError_tPvRmT0_T1_T2_T3_T4_T5_mmT6_P12ihipStream_tbEUlT_E_NS1_11comp_targetILNS1_3genE8ELNS1_11target_archE1030ELNS1_3gpuE2ELNS1_3repE0EEENS1_30default_config_static_selectorELNS0_4arch9wavefront6targetE0EEEvS10_, .Lfunc_end433-_ZN7rocprim17ROCPRIM_400000_NS6detail17trampoline_kernelINS0_14default_configENS1_21merge_config_selectorINS0_5tupleIJiiEEENS0_10empty_typeEEEZNS1_10merge_implIS3_NS0_12zip_iteratorINS5_IJN6thrust23THRUST_200600_302600_NS6detail15normal_iteratorINSC_10device_ptrIKiEEEESI_EEEEESK_NSA_INS5_IJNSE_INSF_IiEEEESM_EEEEEPS7_SP_SP_NSC_11hip_rocprim7__merge17predicate_wrapperIiiNSC_7greaterIiEEEEEE10hipError_tPvRmT0_T1_T2_T3_T4_T5_mmT6_P12ihipStream_tbEUlT_E_NS1_11comp_targetILNS1_3genE8ELNS1_11target_archE1030ELNS1_3gpuE2ELNS1_3repE0EEENS1_30default_config_static_selectorELNS0_4arch9wavefront6targetE0EEEvS10_
                                        ; -- End function
	.set _ZN7rocprim17ROCPRIM_400000_NS6detail17trampoline_kernelINS0_14default_configENS1_21merge_config_selectorINS0_5tupleIJiiEEENS0_10empty_typeEEEZNS1_10merge_implIS3_NS0_12zip_iteratorINS5_IJN6thrust23THRUST_200600_302600_NS6detail15normal_iteratorINSC_10device_ptrIKiEEEESI_EEEEESK_NSA_INS5_IJNSE_INSF_IiEEEESM_EEEEEPS7_SP_SP_NSC_11hip_rocprim7__merge17predicate_wrapperIiiNSC_7greaterIiEEEEEE10hipError_tPvRmT0_T1_T2_T3_T4_T5_mmT6_P12ihipStream_tbEUlT_E_NS1_11comp_targetILNS1_3genE8ELNS1_11target_archE1030ELNS1_3gpuE2ELNS1_3repE0EEENS1_30default_config_static_selectorELNS0_4arch9wavefront6targetE0EEEvS10_.num_vgpr, 0
	.set _ZN7rocprim17ROCPRIM_400000_NS6detail17trampoline_kernelINS0_14default_configENS1_21merge_config_selectorINS0_5tupleIJiiEEENS0_10empty_typeEEEZNS1_10merge_implIS3_NS0_12zip_iteratorINS5_IJN6thrust23THRUST_200600_302600_NS6detail15normal_iteratorINSC_10device_ptrIKiEEEESI_EEEEESK_NSA_INS5_IJNSE_INSF_IiEEEESM_EEEEEPS7_SP_SP_NSC_11hip_rocprim7__merge17predicate_wrapperIiiNSC_7greaterIiEEEEEE10hipError_tPvRmT0_T1_T2_T3_T4_T5_mmT6_P12ihipStream_tbEUlT_E_NS1_11comp_targetILNS1_3genE8ELNS1_11target_archE1030ELNS1_3gpuE2ELNS1_3repE0EEENS1_30default_config_static_selectorELNS0_4arch9wavefront6targetE0EEEvS10_.num_agpr, 0
	.set _ZN7rocprim17ROCPRIM_400000_NS6detail17trampoline_kernelINS0_14default_configENS1_21merge_config_selectorINS0_5tupleIJiiEEENS0_10empty_typeEEEZNS1_10merge_implIS3_NS0_12zip_iteratorINS5_IJN6thrust23THRUST_200600_302600_NS6detail15normal_iteratorINSC_10device_ptrIKiEEEESI_EEEEESK_NSA_INS5_IJNSE_INSF_IiEEEESM_EEEEEPS7_SP_SP_NSC_11hip_rocprim7__merge17predicate_wrapperIiiNSC_7greaterIiEEEEEE10hipError_tPvRmT0_T1_T2_T3_T4_T5_mmT6_P12ihipStream_tbEUlT_E_NS1_11comp_targetILNS1_3genE8ELNS1_11target_archE1030ELNS1_3gpuE2ELNS1_3repE0EEENS1_30default_config_static_selectorELNS0_4arch9wavefront6targetE0EEEvS10_.numbered_sgpr, 0
	.set _ZN7rocprim17ROCPRIM_400000_NS6detail17trampoline_kernelINS0_14default_configENS1_21merge_config_selectorINS0_5tupleIJiiEEENS0_10empty_typeEEEZNS1_10merge_implIS3_NS0_12zip_iteratorINS5_IJN6thrust23THRUST_200600_302600_NS6detail15normal_iteratorINSC_10device_ptrIKiEEEESI_EEEEESK_NSA_INS5_IJNSE_INSF_IiEEEESM_EEEEEPS7_SP_SP_NSC_11hip_rocprim7__merge17predicate_wrapperIiiNSC_7greaterIiEEEEEE10hipError_tPvRmT0_T1_T2_T3_T4_T5_mmT6_P12ihipStream_tbEUlT_E_NS1_11comp_targetILNS1_3genE8ELNS1_11target_archE1030ELNS1_3gpuE2ELNS1_3repE0EEENS1_30default_config_static_selectorELNS0_4arch9wavefront6targetE0EEEvS10_.num_named_barrier, 0
	.set _ZN7rocprim17ROCPRIM_400000_NS6detail17trampoline_kernelINS0_14default_configENS1_21merge_config_selectorINS0_5tupleIJiiEEENS0_10empty_typeEEEZNS1_10merge_implIS3_NS0_12zip_iteratorINS5_IJN6thrust23THRUST_200600_302600_NS6detail15normal_iteratorINSC_10device_ptrIKiEEEESI_EEEEESK_NSA_INS5_IJNSE_INSF_IiEEEESM_EEEEEPS7_SP_SP_NSC_11hip_rocprim7__merge17predicate_wrapperIiiNSC_7greaterIiEEEEEE10hipError_tPvRmT0_T1_T2_T3_T4_T5_mmT6_P12ihipStream_tbEUlT_E_NS1_11comp_targetILNS1_3genE8ELNS1_11target_archE1030ELNS1_3gpuE2ELNS1_3repE0EEENS1_30default_config_static_selectorELNS0_4arch9wavefront6targetE0EEEvS10_.private_seg_size, 0
	.set _ZN7rocprim17ROCPRIM_400000_NS6detail17trampoline_kernelINS0_14default_configENS1_21merge_config_selectorINS0_5tupleIJiiEEENS0_10empty_typeEEEZNS1_10merge_implIS3_NS0_12zip_iteratorINS5_IJN6thrust23THRUST_200600_302600_NS6detail15normal_iteratorINSC_10device_ptrIKiEEEESI_EEEEESK_NSA_INS5_IJNSE_INSF_IiEEEESM_EEEEEPS7_SP_SP_NSC_11hip_rocprim7__merge17predicate_wrapperIiiNSC_7greaterIiEEEEEE10hipError_tPvRmT0_T1_T2_T3_T4_T5_mmT6_P12ihipStream_tbEUlT_E_NS1_11comp_targetILNS1_3genE8ELNS1_11target_archE1030ELNS1_3gpuE2ELNS1_3repE0EEENS1_30default_config_static_selectorELNS0_4arch9wavefront6targetE0EEEvS10_.uses_vcc, 0
	.set _ZN7rocprim17ROCPRIM_400000_NS6detail17trampoline_kernelINS0_14default_configENS1_21merge_config_selectorINS0_5tupleIJiiEEENS0_10empty_typeEEEZNS1_10merge_implIS3_NS0_12zip_iteratorINS5_IJN6thrust23THRUST_200600_302600_NS6detail15normal_iteratorINSC_10device_ptrIKiEEEESI_EEEEESK_NSA_INS5_IJNSE_INSF_IiEEEESM_EEEEEPS7_SP_SP_NSC_11hip_rocprim7__merge17predicate_wrapperIiiNSC_7greaterIiEEEEEE10hipError_tPvRmT0_T1_T2_T3_T4_T5_mmT6_P12ihipStream_tbEUlT_E_NS1_11comp_targetILNS1_3genE8ELNS1_11target_archE1030ELNS1_3gpuE2ELNS1_3repE0EEENS1_30default_config_static_selectorELNS0_4arch9wavefront6targetE0EEEvS10_.uses_flat_scratch, 0
	.set _ZN7rocprim17ROCPRIM_400000_NS6detail17trampoline_kernelINS0_14default_configENS1_21merge_config_selectorINS0_5tupleIJiiEEENS0_10empty_typeEEEZNS1_10merge_implIS3_NS0_12zip_iteratorINS5_IJN6thrust23THRUST_200600_302600_NS6detail15normal_iteratorINSC_10device_ptrIKiEEEESI_EEEEESK_NSA_INS5_IJNSE_INSF_IiEEEESM_EEEEEPS7_SP_SP_NSC_11hip_rocprim7__merge17predicate_wrapperIiiNSC_7greaterIiEEEEEE10hipError_tPvRmT0_T1_T2_T3_T4_T5_mmT6_P12ihipStream_tbEUlT_E_NS1_11comp_targetILNS1_3genE8ELNS1_11target_archE1030ELNS1_3gpuE2ELNS1_3repE0EEENS1_30default_config_static_selectorELNS0_4arch9wavefront6targetE0EEEvS10_.has_dyn_sized_stack, 0
	.set _ZN7rocprim17ROCPRIM_400000_NS6detail17trampoline_kernelINS0_14default_configENS1_21merge_config_selectorINS0_5tupleIJiiEEENS0_10empty_typeEEEZNS1_10merge_implIS3_NS0_12zip_iteratorINS5_IJN6thrust23THRUST_200600_302600_NS6detail15normal_iteratorINSC_10device_ptrIKiEEEESI_EEEEESK_NSA_INS5_IJNSE_INSF_IiEEEESM_EEEEEPS7_SP_SP_NSC_11hip_rocprim7__merge17predicate_wrapperIiiNSC_7greaterIiEEEEEE10hipError_tPvRmT0_T1_T2_T3_T4_T5_mmT6_P12ihipStream_tbEUlT_E_NS1_11comp_targetILNS1_3genE8ELNS1_11target_archE1030ELNS1_3gpuE2ELNS1_3repE0EEENS1_30default_config_static_selectorELNS0_4arch9wavefront6targetE0EEEvS10_.has_recursion, 0
	.set _ZN7rocprim17ROCPRIM_400000_NS6detail17trampoline_kernelINS0_14default_configENS1_21merge_config_selectorINS0_5tupleIJiiEEENS0_10empty_typeEEEZNS1_10merge_implIS3_NS0_12zip_iteratorINS5_IJN6thrust23THRUST_200600_302600_NS6detail15normal_iteratorINSC_10device_ptrIKiEEEESI_EEEEESK_NSA_INS5_IJNSE_INSF_IiEEEESM_EEEEEPS7_SP_SP_NSC_11hip_rocprim7__merge17predicate_wrapperIiiNSC_7greaterIiEEEEEE10hipError_tPvRmT0_T1_T2_T3_T4_T5_mmT6_P12ihipStream_tbEUlT_E_NS1_11comp_targetILNS1_3genE8ELNS1_11target_archE1030ELNS1_3gpuE2ELNS1_3repE0EEENS1_30default_config_static_selectorELNS0_4arch9wavefront6targetE0EEEvS10_.has_indirect_call, 0
	.section	.AMDGPU.csdata,"",@progbits
; Kernel info:
; codeLenInByte = 0
; TotalNumSgprs: 0
; NumVgprs: 0
; ScratchSize: 0
; MemoryBound: 0
; FloatMode: 240
; IeeeMode: 1
; LDSByteSize: 0 bytes/workgroup (compile time only)
; SGPRBlocks: 0
; VGPRBlocks: 0
; NumSGPRsForWavesPerEU: 1
; NumVGPRsForWavesPerEU: 1
; NamedBarCnt: 0
; Occupancy: 16
; WaveLimiterHint : 0
; COMPUTE_PGM_RSRC2:SCRATCH_EN: 0
; COMPUTE_PGM_RSRC2:USER_SGPR: 2
; COMPUTE_PGM_RSRC2:TRAP_HANDLER: 0
; COMPUTE_PGM_RSRC2:TGID_X_EN: 1
; COMPUTE_PGM_RSRC2:TGID_Y_EN: 0
; COMPUTE_PGM_RSRC2:TGID_Z_EN: 0
; COMPUTE_PGM_RSRC2:TIDIG_COMP_CNT: 0
	.section	.text._ZN7rocprim17ROCPRIM_400000_NS6detail17trampoline_kernelINS0_14default_configENS1_21merge_config_selectorINS0_5tupleIJiiEEENS0_10empty_typeEEEZNS1_10merge_implIS3_NS0_12zip_iteratorINS5_IJN6thrust23THRUST_200600_302600_NS6detail15normal_iteratorINSC_10device_ptrIKiEEEESI_EEEEESK_NSA_INS5_IJNSE_INSF_IiEEEESM_EEEEEPS7_SP_SP_NSC_11hip_rocprim7__merge17predicate_wrapperIiiNSC_7greaterIiEEEEEE10hipError_tPvRmT0_T1_T2_T3_T4_T5_mmT6_P12ihipStream_tbEUlT_E0_NS1_11comp_targetILNS1_3genE0ELNS1_11target_archE4294967295ELNS1_3gpuE0ELNS1_3repE0EEENS1_30default_config_static_selectorELNS0_4arch9wavefront6targetE0EEEvS10_,"axG",@progbits,_ZN7rocprim17ROCPRIM_400000_NS6detail17trampoline_kernelINS0_14default_configENS1_21merge_config_selectorINS0_5tupleIJiiEEENS0_10empty_typeEEEZNS1_10merge_implIS3_NS0_12zip_iteratorINS5_IJN6thrust23THRUST_200600_302600_NS6detail15normal_iteratorINSC_10device_ptrIKiEEEESI_EEEEESK_NSA_INS5_IJNSE_INSF_IiEEEESM_EEEEEPS7_SP_SP_NSC_11hip_rocprim7__merge17predicate_wrapperIiiNSC_7greaterIiEEEEEE10hipError_tPvRmT0_T1_T2_T3_T4_T5_mmT6_P12ihipStream_tbEUlT_E0_NS1_11comp_targetILNS1_3genE0ELNS1_11target_archE4294967295ELNS1_3gpuE0ELNS1_3repE0EEENS1_30default_config_static_selectorELNS0_4arch9wavefront6targetE0EEEvS10_,comdat
	.protected	_ZN7rocprim17ROCPRIM_400000_NS6detail17trampoline_kernelINS0_14default_configENS1_21merge_config_selectorINS0_5tupleIJiiEEENS0_10empty_typeEEEZNS1_10merge_implIS3_NS0_12zip_iteratorINS5_IJN6thrust23THRUST_200600_302600_NS6detail15normal_iteratorINSC_10device_ptrIKiEEEESI_EEEEESK_NSA_INS5_IJNSE_INSF_IiEEEESM_EEEEEPS7_SP_SP_NSC_11hip_rocprim7__merge17predicate_wrapperIiiNSC_7greaterIiEEEEEE10hipError_tPvRmT0_T1_T2_T3_T4_T5_mmT6_P12ihipStream_tbEUlT_E0_NS1_11comp_targetILNS1_3genE0ELNS1_11target_archE4294967295ELNS1_3gpuE0ELNS1_3repE0EEENS1_30default_config_static_selectorELNS0_4arch9wavefront6targetE0EEEvS10_ ; -- Begin function _ZN7rocprim17ROCPRIM_400000_NS6detail17trampoline_kernelINS0_14default_configENS1_21merge_config_selectorINS0_5tupleIJiiEEENS0_10empty_typeEEEZNS1_10merge_implIS3_NS0_12zip_iteratorINS5_IJN6thrust23THRUST_200600_302600_NS6detail15normal_iteratorINSC_10device_ptrIKiEEEESI_EEEEESK_NSA_INS5_IJNSE_INSF_IiEEEESM_EEEEEPS7_SP_SP_NSC_11hip_rocprim7__merge17predicate_wrapperIiiNSC_7greaterIiEEEEEE10hipError_tPvRmT0_T1_T2_T3_T4_T5_mmT6_P12ihipStream_tbEUlT_E0_NS1_11comp_targetILNS1_3genE0ELNS1_11target_archE4294967295ELNS1_3gpuE0ELNS1_3repE0EEENS1_30default_config_static_selectorELNS0_4arch9wavefront6targetE0EEEvS10_
	.globl	_ZN7rocprim17ROCPRIM_400000_NS6detail17trampoline_kernelINS0_14default_configENS1_21merge_config_selectorINS0_5tupleIJiiEEENS0_10empty_typeEEEZNS1_10merge_implIS3_NS0_12zip_iteratorINS5_IJN6thrust23THRUST_200600_302600_NS6detail15normal_iteratorINSC_10device_ptrIKiEEEESI_EEEEESK_NSA_INS5_IJNSE_INSF_IiEEEESM_EEEEEPS7_SP_SP_NSC_11hip_rocprim7__merge17predicate_wrapperIiiNSC_7greaterIiEEEEEE10hipError_tPvRmT0_T1_T2_T3_T4_T5_mmT6_P12ihipStream_tbEUlT_E0_NS1_11comp_targetILNS1_3genE0ELNS1_11target_archE4294967295ELNS1_3gpuE0ELNS1_3repE0EEENS1_30default_config_static_selectorELNS0_4arch9wavefront6targetE0EEEvS10_
	.p2align	8
	.type	_ZN7rocprim17ROCPRIM_400000_NS6detail17trampoline_kernelINS0_14default_configENS1_21merge_config_selectorINS0_5tupleIJiiEEENS0_10empty_typeEEEZNS1_10merge_implIS3_NS0_12zip_iteratorINS5_IJN6thrust23THRUST_200600_302600_NS6detail15normal_iteratorINSC_10device_ptrIKiEEEESI_EEEEESK_NSA_INS5_IJNSE_INSF_IiEEEESM_EEEEEPS7_SP_SP_NSC_11hip_rocprim7__merge17predicate_wrapperIiiNSC_7greaterIiEEEEEE10hipError_tPvRmT0_T1_T2_T3_T4_T5_mmT6_P12ihipStream_tbEUlT_E0_NS1_11comp_targetILNS1_3genE0ELNS1_11target_archE4294967295ELNS1_3gpuE0ELNS1_3repE0EEENS1_30default_config_static_selectorELNS0_4arch9wavefront6targetE0EEEvS10_,@function
_ZN7rocprim17ROCPRIM_400000_NS6detail17trampoline_kernelINS0_14default_configENS1_21merge_config_selectorINS0_5tupleIJiiEEENS0_10empty_typeEEEZNS1_10merge_implIS3_NS0_12zip_iteratorINS5_IJN6thrust23THRUST_200600_302600_NS6detail15normal_iteratorINSC_10device_ptrIKiEEEESI_EEEEESK_NSA_INS5_IJNSE_INSF_IiEEEESM_EEEEEPS7_SP_SP_NSC_11hip_rocprim7__merge17predicate_wrapperIiiNSC_7greaterIiEEEEEE10hipError_tPvRmT0_T1_T2_T3_T4_T5_mmT6_P12ihipStream_tbEUlT_E0_NS1_11comp_targetILNS1_3genE0ELNS1_11target_archE4294967295ELNS1_3gpuE0ELNS1_3repE0EEENS1_30default_config_static_selectorELNS0_4arch9wavefront6targetE0EEEvS10_: ; @_ZN7rocprim17ROCPRIM_400000_NS6detail17trampoline_kernelINS0_14default_configENS1_21merge_config_selectorINS0_5tupleIJiiEEENS0_10empty_typeEEEZNS1_10merge_implIS3_NS0_12zip_iteratorINS5_IJN6thrust23THRUST_200600_302600_NS6detail15normal_iteratorINSC_10device_ptrIKiEEEESI_EEEEESK_NSA_INS5_IJNSE_INSF_IiEEEESM_EEEEEPS7_SP_SP_NSC_11hip_rocprim7__merge17predicate_wrapperIiiNSC_7greaterIiEEEEEE10hipError_tPvRmT0_T1_T2_T3_T4_T5_mmT6_P12ihipStream_tbEUlT_E0_NS1_11comp_targetILNS1_3genE0ELNS1_11target_archE4294967295ELNS1_3gpuE0ELNS1_3repE0EEENS1_30default_config_static_selectorELNS0_4arch9wavefront6targetE0EEEvS10_
; %bb.0:
	s_clause 0x1
	s_load_b128 s[12:15], s[0:1], 0x58
	s_load_b256 s[4:11], s[0:1], 0x8
	s_bfe_u32 s2, ttmp6, 0x4000c
	s_and_b32 s3, ttmp6, 15
	s_add_co_i32 s2, s2, 1
	s_wait_kmcnt 0x0
	s_getreg_b32 s13, hwreg(HW_REG_IB_STS2, 6, 4)
	s_mul_i32 s2, ttmp9, s2
	s_mov_b32 s19, 0
	s_add_co_i32 s3, s3, s2
	s_cmp_eq_u32 s13, 0
	v_mov_b32_e32 v1, 0
	s_cselect_b32 s2, ttmp9, s3
	s_add_co_i32 s24, s14, s12
	s_add_co_i32 s12, s2, 1
	;; [unrolled: 1-line block ×3, first 2 shown]
	s_delay_alu instid0(SALU_CYCLE_1) | instskip(NEXT) | instid1(SALU_CYCLE_1)
	s_lshr_b32 s3, s3, 8
	s_mul_hi_u32 s3, s3, 0x24924925
	s_delay_alu instid0(SALU_CYCLE_1)
	s_min_u32 s16, s2, s3
	s_min_u32 s3, s12, s3
	s_clause 0x1
	s_load_b32 s18, s[4:5], s16 offset:0x0 scale_offset
	s_load_b32 s17, s[4:5], s3 offset:0x0 scale_offset
	s_load_b128 s[12:15], s[0:1], 0x28
	s_wait_xcnt 0x0
	s_mul_i32 s16, s2, 0x700
	s_mov_b32 s3, s19
	s_add_co_i32 s2, s16, 0x700
	s_delay_alu instid0(SALU_CYCLE_1)
	s_min_u32 s25, s24, s2
	s_wait_kmcnt 0x0
	s_sub_co_i32 s2, s16, s18
	s_lshl_b64 s[22:23], s[18:19], 2
	s_lshl_b64 s[20:21], s[2:3], 2
	s_add_co_i32 s2, s2, s17
	s_sub_co_i32 s18, s17, s18
	s_sub_co_i32 s2, s25, s2
	s_add_nc_u64 s[4:5], s[10:11], s[20:21]
	s_add_nc_u64 s[10:11], s[12:13], s[20:21]
	;; [unrolled: 1-line block ×3, first 2 shown]
	s_mov_b32 s3, exec_lo
	v_cmpx_le_u32_e64 s18, v0
	s_xor_b32 s3, exec_lo, s3
	s_cbranch_execz .LBB434_4
; %bb.1:
	s_mov_b32 s12, exec_lo
	v_cmpx_gt_u64_e64 s[20:21], v[0:1]
	s_cbranch_execz .LBB434_3
; %bb.2:
	v_subrev_nc_u32_e32 v4, s18, v0
	s_clause 0x1
	global_load_b32 v2, v4, s[4:5] scale_offset
	global_load_b32 v3, v4, s[10:11] scale_offset
	s_wait_xcnt 0x0
	v_lshlrev_b32_e32 v4, 3, v0
	s_wait_loadcnt 0x0
	ds_store_b64 v4, v[2:3]
.LBB434_3:
	s_or_b32 exec_lo, exec_lo, s12
.LBB434_4:
	s_or_saveexec_b32 s3, s3
	v_lshlrev_b32_e32 v2, 3, v0
	s_add_nc_u64 s[6:7], s[6:7], s[22:23]
	s_add_nc_u64 s[12:13], s[8:9], s[22:23]
	s_xor_b32 exec_lo, exec_lo, s3
	s_cbranch_execz .LBB434_6
; %bb.5:
	s_clause 0x1
	global_load_b32 v4, v0, s[6:7] scale_offset
	global_load_b32 v5, v0, s[12:13] scale_offset
	s_wait_loadcnt 0x0
	ds_store_b64 v2, v[4:5]
.LBB434_6:
	s_or_b32 exec_lo, exec_lo, s3
	v_or_b32_e32 v14, 0x100, v0
	v_mov_b32_e32 v15, 0
	s_mov_b32 s3, exec_lo
	s_delay_alu instid0(VALU_DEP_2)
	v_cmpx_le_u32_e64 s18, v14
	s_xor_b32 s3, exec_lo, s3
	s_cbranch_execz .LBB434_10
; %bb.7:
	s_mov_b32 s8, exec_lo
	v_cmpx_gt_u64_e64 s[20:21], v[14:15]
	s_cbranch_execz .LBB434_9
; %bb.8:
	v_sub_nc_u64_e64 v[4:5], v[0:1], s[18:19]
	s_delay_alu instid0(VALU_DEP_1) | instskip(NEXT) | instid1(VALU_DEP_1)
	v_lshlrev_b64_e32 v[4:5], 2, v[4:5]
	v_add_nc_u64_e32 v[6:7], s[4:5], v[4:5]
	v_add_nc_u64_e32 v[4:5], s[10:11], v[4:5]
	global_load_b32 v8, v[6:7], off offset:1024
	global_load_b32 v9, v[4:5], off offset:1024
	s_wait_loadcnt 0x0
	ds_store_b64 v2, v[8:9] offset:2048
.LBB434_9:
	s_or_b32 exec_lo, exec_lo, s8
.LBB434_10:
	s_and_not1_saveexec_b32 s3, s3
	s_cbranch_execz .LBB434_12
; %bb.11:
	s_clause 0x1
	global_load_b32 v4, v0, s[6:7] offset:1024 scale_offset
	global_load_b32 v5, v0, s[12:13] offset:1024 scale_offset
	s_wait_loadcnt 0x0
	ds_store_b64 v2, v[4:5] offset:2048
.LBB434_12:
	s_or_b32 exec_lo, exec_lo, s3
	v_or_b32_e32 v16, 0x200, v0
	v_mov_b32_e32 v17, 0
	s_mov_b32 s3, exec_lo
	s_delay_alu instid0(VALU_DEP_2)
	v_cmpx_le_u32_e64 s18, v16
	s_xor_b32 s3, exec_lo, s3
	s_cbranch_execz .LBB434_16
; %bb.13:
	s_mov_b32 s8, exec_lo
	v_cmpx_gt_u64_e64 s[20:21], v[16:17]
	s_cbranch_execz .LBB434_15
; %bb.14:
	v_sub_nc_u64_e64 v[4:5], v[0:1], s[18:19]
	s_delay_alu instid0(VALU_DEP_1) | instskip(NEXT) | instid1(VALU_DEP_1)
	v_lshlrev_b64_e32 v[4:5], 2, v[4:5]
	v_add_nc_u64_e32 v[6:7], s[4:5], v[4:5]
	v_add_nc_u64_e32 v[4:5], s[10:11], v[4:5]
	global_load_b32 v8, v[6:7], off offset:2048
	global_load_b32 v9, v[4:5], off offset:2048
	s_wait_loadcnt 0x0
	ds_store_b64 v2, v[8:9] offset:4096
.LBB434_15:
	s_or_b32 exec_lo, exec_lo, s8
.LBB434_16:
	s_and_not1_saveexec_b32 s3, s3
	s_cbranch_execz .LBB434_18
; %bb.17:
	s_clause 0x1
	global_load_b32 v4, v0, s[6:7] offset:2048 scale_offset
	global_load_b32 v5, v0, s[12:13] offset:2048 scale_offset
	s_wait_loadcnt 0x0
	ds_store_b64 v2, v[4:5] offset:4096
.LBB434_18:
	;; [unrolled: 34-line block ×5, first 2 shown]
	s_or_b32 exec_lo, exec_lo, s3
	v_or_b32_e32 v24, 0x600, v0
	v_mov_b32_e32 v25, 0
	s_mov_b32 s3, exec_lo
	s_delay_alu instid0(VALU_DEP_2)
	v_cmpx_le_u32_e64 s18, v24
	s_xor_b32 s3, exec_lo, s3
	s_cbranch_execz .LBB434_40
; %bb.37:
	s_mov_b32 s8, exec_lo
	v_cmpx_gt_u64_e64 s[20:21], v[24:25]
	s_cbranch_execz .LBB434_39
; %bb.38:
	v_sub_nc_u64_e64 v[4:5], v[0:1], s[18:19]
	s_delay_alu instid0(VALU_DEP_1) | instskip(NEXT) | instid1(VALU_DEP_1)
	v_lshlrev_b64_e32 v[4:5], 2, v[4:5]
	v_add_nc_u64_e32 v[6:7], s[4:5], v[4:5]
	v_add_nc_u64_e32 v[4:5], s[10:11], v[4:5]
	global_load_b32 v8, v[6:7], off offset:6144
	global_load_b32 v9, v[4:5], off offset:6144
	s_wait_loadcnt 0x0
	ds_store_b64 v2, v[8:9] offset:12288
.LBB434_39:
	s_or_b32 exec_lo, exec_lo, s8
                                        ; implicit-def: $vgpr2
.LBB434_40:
	s_or_saveexec_b32 s3, s3
	s_load_b64 s[8:9], s[0:1], 0x38
	s_xor_b32 exec_lo, exec_lo, s3
	s_cbranch_execz .LBB434_42
; %bb.41:
	s_clause 0x1
	global_load_b32 v4, v0, s[6:7] offset:6144 scale_offset
	global_load_b32 v5, v0, s[12:13] offset:6144 scale_offset
	s_wait_loadcnt 0x0
	ds_store_b64 v2, v[4:5] offset:12288
.LBB434_42:
	s_or_b32 exec_lo, exec_lo, s3
	v_mul_u32_u24_e32 v2, 7, v0
	s_wait_xcnt 0x0
	s_mov_b32 s0, exec_lo
	s_wait_dscnt 0x0
	s_barrier_signal -1
	s_barrier_wait -1
	v_sub_nc_u32_e64 v15, v2, s2 clamp
	v_min_u32_e32 v3, s18, v2
	v_lshlrev_b32_e32 v1, 3, v2
	s_delay_alu instid0(VALU_DEP_2)
	v_cmpx_lt_u32_e64 v15, v3
	s_cbranch_execz .LBB434_46
; %bb.43:
	s_delay_alu instid0(VALU_DEP_2)
	v_lshl_add_u32 v4, s18, 3, v1
	s_mov_b32 s1, 0
.LBB434_44:                             ; =>This Inner Loop Header: Depth=1
	v_add_nc_u32_e32 v5, v3, v15
	s_delay_alu instid0(VALU_DEP_1) | instskip(NEXT) | instid1(VALU_DEP_1)
	v_lshrrev_b32_e32 v5, 1, v5
	v_not_b32_e32 v6, v5
	v_dual_lshlrev_b32 v7, 3, v5 :: v_dual_add_nc_u32 v8, 1, v5
	s_delay_alu instid0(VALU_DEP_2)
	v_lshl_add_u32 v6, v6, 3, v4
	ds_load_b32 v7, v7
	ds_load_b32 v6, v6
	s_wait_dscnt 0x0
	v_cmp_gt_i32_e32 vcc_lo, v6, v7
	v_dual_cndmask_b32 v3, v3, v5, vcc_lo :: v_dual_cndmask_b32 v15, v8, v15, vcc_lo
	s_delay_alu instid0(VALU_DEP_1) | instskip(SKIP_1) | instid1(SALU_CYCLE_1)
	v_cmp_ge_u32_e32 vcc_lo, v15, v3
	s_or_b32 s1, vcc_lo, s1
	s_and_not1_b32 exec_lo, exec_lo, s1
	s_cbranch_execnz .LBB434_44
; %bb.45:
	s_or_b32 exec_lo, exec_lo, s1
.LBB434_46:
	s_delay_alu instid0(SALU_CYCLE_1)
	s_or_b32 exec_lo, exec_lo, s0
	v_add_nc_u32_e32 v6, s18, v2
	s_add_co_i32 s10, s2, s18
	v_cmp_ge_u32_e32 vcc_lo, s18, v15
	v_mov_b64_e32 v[2:3], 0
	v_mov_b64_e32 v[4:5], 0
	v_sub_nc_u32_e32 v17, v6, v15
	v_mov_b64_e32 v[6:7], 0
	v_mov_b64_e32 v[8:9], 0
	;; [unrolled: 1-line block ×4, first 2 shown]
	v_cmp_ge_u32_e64 s0, s10, v17
	v_mov_b64_e32 v[26:27], 0
	s_or_b32 s0, vcc_lo, s0
	s_delay_alu instid0(SALU_CYCLE_1)
	s_and_saveexec_b32 s7, s0
	s_cbranch_execz .LBB434_52
; %bb.47:
	v_cmp_gt_u32_e32 vcc_lo, s18, v15
	v_dual_mov_b32 v2, 0 :: v_dual_mov_b32 v4, 0
	v_mov_b32_e32 v5, 0
	s_and_saveexec_b32 s0, vcc_lo
; %bb.48:
	v_lshlrev_b32_e32 v3, 3, v15
	ds_load_b64 v[4:5], v3
; %bb.49:
	s_or_b32 exec_lo, exec_lo, s0
	v_cmp_le_u32_e64 s0, s10, v17
	v_mov_b32_e32 v3, 0
	s_mov_b32 s2, exec_lo
	v_cmpx_gt_u32_e64 s10, v17
; %bb.50:
	v_lshlrev_b32_e32 v2, 3, v17
	ds_load_b64 v[2:3], v2
; %bb.51:
	s_or_b32 exec_lo, exec_lo, s2
	s_wait_dscnt 0x0
	v_cmp_le_i32_e64 s1, v2, v4
	s_and_b32 s1, vcc_lo, s1
	s_delay_alu instid0(SALU_CYCLE_1) | instskip(SKIP_1) | instid1(VALU_DEP_1)
	s_or_b32 vcc_lo, s0, s1
	v_dual_mov_b32 v19, s18 :: v_dual_cndmask_b32 v6, v17, v15
	v_dual_cndmask_b32 v7, s10, v19 :: v_dual_add_nc_u32 v8, 1, v6
	s_delay_alu instid0(VALU_DEP_1) | instskip(SKIP_1) | instid1(VALU_DEP_2)
	v_add_min_u32_e64 v6, v7, -1, v8
	v_dual_cndmask_b32 v10, v15, v8 :: v_dual_cndmask_b32 v11, v8, v17
	v_lshlrev_b32_e32 v6, 3, v6
	s_delay_alu instid0(VALU_DEP_2) | instskip(NEXT) | instid1(VALU_DEP_3)
	v_cmp_gt_u32_e64 s0, s18, v10
	v_cmp_le_u32_e64 s2, s10, v11
	ds_load_b64 v[6:7], v6
	s_wait_dscnt 0x0
	v_cndmask_b32_e32 v15, v6, v2, vcc_lo
	v_dual_cndmask_b32 v6, v4, v6 :: v_dual_cndmask_b32 v33, v7, v3
	v_dual_cndmask_b32 v2, v2, v4 :: v_dual_cndmask_b32 v7, v5, v7
	v_cndmask_b32_e32 v3, v3, v5, vcc_lo
	s_delay_alu instid0(VALU_DEP_3) | instskip(SKIP_1) | instid1(SALU_CYCLE_1)
	v_cmp_le_i32_e64 s1, v15, v6
	s_and_b32 s0, s0, s1
	s_or_b32 s0, s2, s0
	s_delay_alu instid0(SALU_CYCLE_1) | instskip(NEXT) | instid1(VALU_DEP_1)
	v_cndmask_b32_e64 v8, v11, v10, s0
	v_dual_cndmask_b32 v9, s10, v19, s0 :: v_dual_add_nc_u32 v12, 1, v8
	v_dual_cndmask_b32 v5, v33, v7, s0 :: v_dual_cndmask_b32 v4, v15, v6, s0
	s_delay_alu instid0(VALU_DEP_2) | instskip(SKIP_1) | instid1(VALU_DEP_2)
	v_add_min_u32_e64 v8, v9, -1, v12
	v_dual_cndmask_b32 v13, v10, v12, s0 :: v_dual_cndmask_b32 v12, v12, v11, s0
	v_lshlrev_b32_e32 v8, 3, v8
	s_delay_alu instid0(VALU_DEP_2) | instskip(NEXT) | instid1(VALU_DEP_3)
	v_cmp_gt_u32_e64 s1, s18, v13
	v_cmp_le_u32_e64 s3, s10, v12
	ds_load_b64 v[8:9], v8
	s_wait_dscnt 0x0
	v_dual_cndmask_b32 v17, v8, v15, s0 :: v_dual_cndmask_b32 v8, v6, v8, s0
	s_delay_alu instid0(VALU_DEP_1) | instskip(SKIP_1) | instid1(SALU_CYCLE_1)
	v_cmp_le_i32_e64 s2, v17, v8
	s_and_b32 s1, s1, s2
	s_or_b32 s1, s3, s1
	s_delay_alu instid0(SALU_CYCLE_1) | instskip(NEXT) | instid1(VALU_DEP_1)
	v_cndmask_b32_e64 v10, v12, v13, s1
	v_dual_cndmask_b32 v11, s10, v19, s1 :: v_dual_add_nc_u32 v21, 1, v10
	s_delay_alu instid0(VALU_DEP_1) | instskip(NEXT) | instid1(VALU_DEP_1)
	v_add_min_u32_e64 v10, v11, -1, v21
	v_lshlrev_b32_e32 v10, 3, v10
	ds_load_b64 v[10:11], v10
	v_cndmask_b32_e64 v23, v13, v21, s1
	v_cndmask_b32_e64 v21, v21, v12, s1
	s_delay_alu instid0(VALU_DEP_1) | instskip(SKIP_3) | instid1(VALU_DEP_2)
	v_cmp_le_u32_e64 s4, s10, v21
	s_wait_dscnt 0x0
	v_dual_cndmask_b32 v25, v10, v17, s1 :: v_dual_cndmask_b32 v10, v8, v10, s1
	v_cmp_gt_u32_e64 s2, s18, v23
	v_cmp_le_i32_e64 s3, v25, v10
	s_and_b32 s2, s2, s3
	s_delay_alu instid0(SALU_CYCLE_1) | instskip(NEXT) | instid1(SALU_CYCLE_1)
	s_or_b32 s2, s4, s2
	v_cndmask_b32_e64 v12, v21, v23, s2
	s_delay_alu instid0(VALU_DEP_1) | instskip(NEXT) | instid1(VALU_DEP_1)
	v_dual_cndmask_b32 v13, s10, v19, s2 :: v_dual_add_nc_u32 v26, 1, v12
	v_add_min_u32_e64 v12, v13, -1, v26
	v_dual_cndmask_b32 v21, v26, v21, s2 :: v_dual_cndmask_b32 v23, v23, v26, s2
	s_delay_alu instid0(VALU_DEP_2) | instskip(NEXT) | instid1(VALU_DEP_2)
	v_lshlrev_b32_e32 v12, 3, v12
	v_cmp_le_u32_e64 s5, s10, v21
	s_delay_alu instid0(VALU_DEP_3) | instskip(SKIP_3) | instid1(VALU_DEP_1)
	v_cmp_gt_u32_e64 s3, s18, v23
	ds_load_b64 v[12:13], v12
	s_wait_dscnt 0x0
	v_dual_cndmask_b32 v30, v12, v25, s2 :: v_dual_cndmask_b32 v12, v10, v12, s2
	v_cmp_le_i32_e64 s4, v30, v12
	s_and_b32 s3, s3, s4
	s_delay_alu instid0(SALU_CYCLE_1) | instskip(NEXT) | instid1(SALU_CYCLE_1)
	s_or_b32 s3, s5, s3
	v_cndmask_b32_e64 v26, v21, v23, s3
	s_delay_alu instid0(VALU_DEP_1) | instskip(NEXT) | instid1(VALU_DEP_1)
	v_dual_cndmask_b32 v27, s10, v19, s3 :: v_dual_add_nc_u32 v28, 1, v26
	v_add_min_u32_e64 v26, v27, -1, v28
	v_dual_cndmask_b32 v23, v23, v28, s3 :: v_dual_cndmask_b32 v21, v28, v21, s3
	s_delay_alu instid0(VALU_DEP_2) | instskip(NEXT) | instid1(VALU_DEP_2)
	v_lshlrev_b32_e32 v26, 3, v26
	v_cmp_gt_u32_e64 s4, s18, v23
	s_delay_alu instid0(VALU_DEP_3) | instskip(SKIP_4) | instid1(VALU_DEP_1)
	v_cmp_le_u32_e64 s6, s10, v21
	ds_load_b64 v[26:27], v26
	s_wait_dscnt 0x0
	v_cndmask_b32_e64 v31, v26, v30, s3
	v_cndmask_b32_e64 v26, v12, v26, s3
	v_cmp_le_i32_e64 s5, v31, v26
	s_and_b32 s4, s4, s5
	s_delay_alu instid0(SALU_CYCLE_1) | instskip(NEXT) | instid1(SALU_CYCLE_1)
	s_or_b32 s4, s6, s4
	v_cndmask_b32_e64 v28, v21, v23, s4
	s_delay_alu instid0(VALU_DEP_1) | instskip(NEXT) | instid1(VALU_DEP_1)
	v_dual_cndmask_b32 v19, s10, v19, s4 :: v_dual_add_nc_u32 v32, 1, v28
	v_add_min_u32_e64 v19, v19, -1, v32
	s_delay_alu instid0(VALU_DEP_1) | instskip(SKIP_3) | instid1(VALU_DEP_2)
	v_dual_cndmask_b32 v21, v32, v21, s4 :: v_dual_lshlrev_b32 v19, 3, v19
	ds_load_b64 v[28:29], v19
	v_cndmask_b32_e64 v19, v9, v33, s0
	v_cndmask_b32_e64 v9, v7, v9, s0
	;; [unrolled: 1-line block ×3, first 2 shown]
	s_delay_alu instid0(VALU_DEP_2) | instskip(NEXT) | instid1(VALU_DEP_1)
	v_dual_cndmask_b32 v11, v9, v11, s1 :: v_dual_cndmask_b32 v7, v19, v9, s1
	v_dual_cndmask_b32 v15, v13, v34, s2 :: v_dual_cndmask_b32 v13, v11, v13, s2
	;; [unrolled: 1-line block ×4, first 2 shown]
	v_cndmask_b32_e64 v12, v23, v32, s4
	s_delay_alu instid0(VALU_DEP_4)
	v_cndmask_b32_e64 v11, v15, v13, s3
	s_wait_dscnt 0x0
	v_dual_cndmask_b32 v15, v27, v15, s3 :: v_dual_cndmask_b32 v19, v26, v28, s4
	v_cndmask_b32_e64 v17, v28, v31, s4
	v_cndmask_b32_e64 v13, v13, v27, s3
	v_cmp_gt_u32_e32 vcc_lo, s18, v12
	v_cmp_le_u32_e64 s1, s10, v21
	v_cndmask_b32_e64 v12, v31, v26, s4
	v_cmp_le_i32_e64 s0, v17, v19
	v_cndmask_b32_e64 v23, v29, v15, s4
	v_cndmask_b32_e64 v21, v13, v29, s4
	;; [unrolled: 1-line block ×3, first 2 shown]
	s_and_b32 s0, vcc_lo, s0
	s_delay_alu instid0(SALU_CYCLE_1) | instskip(NEXT) | instid1(VALU_DEP_2)
	s_or_b32 vcc_lo, s1, s0
	v_dual_cndmask_b32 v27, v23, v21 :: v_dual_cndmask_b32 v26, v17, v19
.LBB434_52:
	s_or_b32 exec_lo, exec_lo, s7
	v_mul_i32_i24_e32 v15, 0xffffffd0, v0
	s_mov_b32 s17, 0
	s_sub_co_i32 s4, s24, s16
	s_lshl_b64 s[2:3], s[16:17], 2
	s_cmp_gt_u32 s4, 0x6ff
	v_add_nc_u32_e32 v15, v1, v15
	s_add_nc_u64 s[0:1], s[14:15], s[2:3]
	s_wait_kmcnt 0x0
	s_add_nc_u64 s[2:3], s[8:9], s[2:3]
	s_barrier_signal -1
	s_barrier_wait -1
	ds_store_2addr_b64 v1, v[2:3], v[4:5] offset1:1
	ds_store_2addr_b64 v1, v[6:7], v[8:9] offset0:2 offset1:3
	ds_store_2addr_b64 v1, v[10:11], v[12:13] offset0:4 offset1:5
	ds_store_b64 v1, v[26:27] offset:48
	s_wait_dscnt 0x0
	s_cbranch_scc0 .LBB434_54
; %bb.53:
	s_barrier_signal -1
	s_barrier_wait -1
	ds_load_2addr_stride64_b64 v[6:9], v15 offset1:4
	ds_load_2addr_stride64_b64 v[10:13], v15 offset0:8 offset1:12
	ds_load_2addr_stride64_b64 v[26:29], v15 offset0:16 offset1:20
	ds_load_b64 v[4:5], v15 offset:12288
	s_mov_b32 s17, -1
	s_wait_dscnt 0x3
	s_clause 0x3
	global_store_b32 v0, v6, s[0:1] scale_offset
	global_store_b32 v0, v7, s[2:3] scale_offset
	global_store_b32 v0, v8, s[0:1] offset:1024 scale_offset
	global_store_b32 v0, v9, s[2:3] offset:1024 scale_offset
	s_wait_dscnt 0x2
	s_clause 0x3
	global_store_b32 v0, v10, s[0:1] offset:2048 scale_offset
	global_store_b32 v0, v11, s[2:3] offset:2048 scale_offset
	;; [unrolled: 1-line block ×4, first 2 shown]
	s_wait_dscnt 0x1
	s_clause 0x3
	global_store_b32 v0, v26, s[0:1] offset:4096 scale_offset
	global_store_b32 v0, v27, s[2:3] offset:4096 scale_offset
	;; [unrolled: 1-line block ×4, first 2 shown]
	s_cbranch_execz .LBB434_55
	s_branch .LBB434_63
.LBB434_54:
                                        ; implicit-def: $vgpr4_vgpr5
.LBB434_55:
	s_barrier_signal -1
	s_barrier_wait -1
	s_wait_storecnt_dscnt 0x0
	s_wait_xcnt 0x4
	ds_load_2addr_stride64_b64 v[10:13], v15 offset0:4 offset1:8
	ds_load_2addr_stride64_b64 v[6:9], v15 offset0:12 offset1:16
	ds_load_2addr_stride64_b64 v[2:5], v15 offset0:20 offset1:24
	s_wait_xcnt 0x0
	v_dual_mov_b32 v29, 0 :: v_dual_lshlrev_b32 v28, 2, v0
	s_mov_b32 s5, exec_lo
	s_delay_alu instid0(VALU_DEP_1)
	v_add_nc_u64_e32 v[26:27], s[0:1], v[28:29]
	v_add_nc_u64_e32 v[28:29], s[2:3], v[28:29]
	v_cmpx_gt_u32_e64 s4, v0
	s_cbranch_execnz .LBB434_66
; %bb.56:
	s_or_b32 exec_lo, exec_lo, s5
	s_delay_alu instid0(SALU_CYCLE_1)
	s_mov_b32 s5, exec_lo
	v_cmpx_gt_u32_e64 s4, v14
	s_cbranch_execnz .LBB434_67
.LBB434_57:
	s_or_b32 exec_lo, exec_lo, s5
	s_delay_alu instid0(SALU_CYCLE_1)
	s_mov_b32 s5, exec_lo
	v_cmpx_gt_u32_e64 s4, v16
	s_cbranch_execnz .LBB434_68
.LBB434_58:
	s_or_b32 exec_lo, exec_lo, s5
	s_delay_alu instid0(SALU_CYCLE_1)
	s_mov_b32 s5, exec_lo
	v_cmpx_gt_u32_e64 s4, v18
	s_cbranch_execnz .LBB434_69
.LBB434_59:
	s_or_b32 exec_lo, exec_lo, s5
	s_delay_alu instid0(SALU_CYCLE_1)
	s_mov_b32 s5, exec_lo
	v_cmpx_gt_u32_e64 s4, v20
	s_cbranch_execnz .LBB434_70
.LBB434_60:
	s_or_b32 exec_lo, exec_lo, s5
	s_delay_alu instid0(SALU_CYCLE_1)
	s_mov_b32 s5, exec_lo
	v_cmpx_gt_u32_e64 s4, v22
	s_cbranch_execz .LBB434_62
.LBB434_61:
	s_wait_dscnt 0x0
	global_store_b32 v[26:27], v2, off offset:5120
	global_store_b32 v[28:29], v3, off offset:5120
.LBB434_62:
	s_wait_xcnt 0x0
	s_or_b32 exec_lo, exec_lo, s5
	v_cmp_gt_u32_e64 s17, s4, v24
.LBB434_63:
	s_wait_xcnt 0x0
	s_delay_alu instid0(VALU_DEP_1)
	s_and_saveexec_b32 s4, s17
	s_cbranch_execnz .LBB434_65
; %bb.64:
	s_endpgm
.LBB434_65:
	s_wait_dscnt 0x0
	s_clause 0x1
	global_store_b32 v0, v4, s[0:1] offset:6144 scale_offset
	global_store_b32 v0, v5, s[2:3] offset:6144 scale_offset
	s_endpgm
.LBB434_66:
	ds_load_b64 v[30:31], v15
	s_wait_dscnt 0x0
	global_store_b32 v[26:27], v30, off
	global_store_b32 v[28:29], v31, off
	s_wait_xcnt 0x0
	s_or_b32 exec_lo, exec_lo, s5
	s_delay_alu instid0(SALU_CYCLE_1)
	s_mov_b32 s5, exec_lo
	v_cmpx_gt_u32_e64 s4, v14
	s_cbranch_execz .LBB434_57
.LBB434_67:
	s_wait_dscnt 0x2
	global_store_b32 v[26:27], v10, off offset:1024
	global_store_b32 v[28:29], v11, off offset:1024
	s_wait_xcnt 0x0
	s_or_b32 exec_lo, exec_lo, s5
	s_delay_alu instid0(SALU_CYCLE_1)
	s_mov_b32 s5, exec_lo
	v_cmpx_gt_u32_e64 s4, v16
	s_cbranch_execz .LBB434_58
.LBB434_68:
	s_wait_dscnt 0x2
	global_store_b32 v[26:27], v12, off offset:2048
	global_store_b32 v[28:29], v13, off offset:2048
	s_wait_xcnt 0x0
	s_or_b32 exec_lo, exec_lo, s5
	s_delay_alu instid0(SALU_CYCLE_1)
	s_mov_b32 s5, exec_lo
	v_cmpx_gt_u32_e64 s4, v18
	s_cbranch_execz .LBB434_59
.LBB434_69:
	s_wait_dscnt 0x1
	global_store_b32 v[26:27], v6, off offset:3072
	global_store_b32 v[28:29], v7, off offset:3072
	s_wait_xcnt 0x0
	s_or_b32 exec_lo, exec_lo, s5
	s_delay_alu instid0(SALU_CYCLE_1)
	s_mov_b32 s5, exec_lo
	v_cmpx_gt_u32_e64 s4, v20
	s_cbranch_execz .LBB434_60
.LBB434_70:
	s_wait_dscnt 0x1
	global_store_b32 v[26:27], v8, off offset:4096
	global_store_b32 v[28:29], v9, off offset:4096
	s_wait_xcnt 0x0
	s_or_b32 exec_lo, exec_lo, s5
	s_delay_alu instid0(SALU_CYCLE_1)
	s_mov_b32 s5, exec_lo
	v_cmpx_gt_u32_e64 s4, v22
	s_cbranch_execnz .LBB434_61
	s_branch .LBB434_62
	.section	.rodata,"a",@progbits
	.p2align	6, 0x0
	.amdhsa_kernel _ZN7rocprim17ROCPRIM_400000_NS6detail17trampoline_kernelINS0_14default_configENS1_21merge_config_selectorINS0_5tupleIJiiEEENS0_10empty_typeEEEZNS1_10merge_implIS3_NS0_12zip_iteratorINS5_IJN6thrust23THRUST_200600_302600_NS6detail15normal_iteratorINSC_10device_ptrIKiEEEESI_EEEEESK_NSA_INS5_IJNSE_INSF_IiEEEESM_EEEEEPS7_SP_SP_NSC_11hip_rocprim7__merge17predicate_wrapperIiiNSC_7greaterIiEEEEEE10hipError_tPvRmT0_T1_T2_T3_T4_T5_mmT6_P12ihipStream_tbEUlT_E0_NS1_11comp_targetILNS1_3genE0ELNS1_11target_archE4294967295ELNS1_3gpuE0ELNS1_3repE0EEENS1_30default_config_static_selectorELNS0_4arch9wavefront6targetE0EEEvS10_
		.amdhsa_group_segment_fixed_size 14352
		.amdhsa_private_segment_fixed_size 0
		.amdhsa_kernarg_size 112
		.amdhsa_user_sgpr_count 2
		.amdhsa_user_sgpr_dispatch_ptr 0
		.amdhsa_user_sgpr_queue_ptr 0
		.amdhsa_user_sgpr_kernarg_segment_ptr 1
		.amdhsa_user_sgpr_dispatch_id 0
		.amdhsa_user_sgpr_kernarg_preload_length 0
		.amdhsa_user_sgpr_kernarg_preload_offset 0
		.amdhsa_user_sgpr_private_segment_size 0
		.amdhsa_wavefront_size32 1
		.amdhsa_uses_dynamic_stack 0
		.amdhsa_enable_private_segment 0
		.amdhsa_system_sgpr_workgroup_id_x 1
		.amdhsa_system_sgpr_workgroup_id_y 0
		.amdhsa_system_sgpr_workgroup_id_z 0
		.amdhsa_system_sgpr_workgroup_info 0
		.amdhsa_system_vgpr_workitem_id 0
		.amdhsa_next_free_vgpr 35
		.amdhsa_next_free_sgpr 26
		.amdhsa_named_barrier_count 0
		.amdhsa_reserve_vcc 1
		.amdhsa_float_round_mode_32 0
		.amdhsa_float_round_mode_16_64 0
		.amdhsa_float_denorm_mode_32 3
		.amdhsa_float_denorm_mode_16_64 3
		.amdhsa_fp16_overflow 0
		.amdhsa_memory_ordered 1
		.amdhsa_forward_progress 1
		.amdhsa_inst_pref_size 28
		.amdhsa_round_robin_scheduling 0
		.amdhsa_exception_fp_ieee_invalid_op 0
		.amdhsa_exception_fp_denorm_src 0
		.amdhsa_exception_fp_ieee_div_zero 0
		.amdhsa_exception_fp_ieee_overflow 0
		.amdhsa_exception_fp_ieee_underflow 0
		.amdhsa_exception_fp_ieee_inexact 0
		.amdhsa_exception_int_div_zero 0
	.end_amdhsa_kernel
	.section	.text._ZN7rocprim17ROCPRIM_400000_NS6detail17trampoline_kernelINS0_14default_configENS1_21merge_config_selectorINS0_5tupleIJiiEEENS0_10empty_typeEEEZNS1_10merge_implIS3_NS0_12zip_iteratorINS5_IJN6thrust23THRUST_200600_302600_NS6detail15normal_iteratorINSC_10device_ptrIKiEEEESI_EEEEESK_NSA_INS5_IJNSE_INSF_IiEEEESM_EEEEEPS7_SP_SP_NSC_11hip_rocprim7__merge17predicate_wrapperIiiNSC_7greaterIiEEEEEE10hipError_tPvRmT0_T1_T2_T3_T4_T5_mmT6_P12ihipStream_tbEUlT_E0_NS1_11comp_targetILNS1_3genE0ELNS1_11target_archE4294967295ELNS1_3gpuE0ELNS1_3repE0EEENS1_30default_config_static_selectorELNS0_4arch9wavefront6targetE0EEEvS10_,"axG",@progbits,_ZN7rocprim17ROCPRIM_400000_NS6detail17trampoline_kernelINS0_14default_configENS1_21merge_config_selectorINS0_5tupleIJiiEEENS0_10empty_typeEEEZNS1_10merge_implIS3_NS0_12zip_iteratorINS5_IJN6thrust23THRUST_200600_302600_NS6detail15normal_iteratorINSC_10device_ptrIKiEEEESI_EEEEESK_NSA_INS5_IJNSE_INSF_IiEEEESM_EEEEEPS7_SP_SP_NSC_11hip_rocprim7__merge17predicate_wrapperIiiNSC_7greaterIiEEEEEE10hipError_tPvRmT0_T1_T2_T3_T4_T5_mmT6_P12ihipStream_tbEUlT_E0_NS1_11comp_targetILNS1_3genE0ELNS1_11target_archE4294967295ELNS1_3gpuE0ELNS1_3repE0EEENS1_30default_config_static_selectorELNS0_4arch9wavefront6targetE0EEEvS10_,comdat
.Lfunc_end434:
	.size	_ZN7rocprim17ROCPRIM_400000_NS6detail17trampoline_kernelINS0_14default_configENS1_21merge_config_selectorINS0_5tupleIJiiEEENS0_10empty_typeEEEZNS1_10merge_implIS3_NS0_12zip_iteratorINS5_IJN6thrust23THRUST_200600_302600_NS6detail15normal_iteratorINSC_10device_ptrIKiEEEESI_EEEEESK_NSA_INS5_IJNSE_INSF_IiEEEESM_EEEEEPS7_SP_SP_NSC_11hip_rocprim7__merge17predicate_wrapperIiiNSC_7greaterIiEEEEEE10hipError_tPvRmT0_T1_T2_T3_T4_T5_mmT6_P12ihipStream_tbEUlT_E0_NS1_11comp_targetILNS1_3genE0ELNS1_11target_archE4294967295ELNS1_3gpuE0ELNS1_3repE0EEENS1_30default_config_static_selectorELNS0_4arch9wavefront6targetE0EEEvS10_, .Lfunc_end434-_ZN7rocprim17ROCPRIM_400000_NS6detail17trampoline_kernelINS0_14default_configENS1_21merge_config_selectorINS0_5tupleIJiiEEENS0_10empty_typeEEEZNS1_10merge_implIS3_NS0_12zip_iteratorINS5_IJN6thrust23THRUST_200600_302600_NS6detail15normal_iteratorINSC_10device_ptrIKiEEEESI_EEEEESK_NSA_INS5_IJNSE_INSF_IiEEEESM_EEEEEPS7_SP_SP_NSC_11hip_rocprim7__merge17predicate_wrapperIiiNSC_7greaterIiEEEEEE10hipError_tPvRmT0_T1_T2_T3_T4_T5_mmT6_P12ihipStream_tbEUlT_E0_NS1_11comp_targetILNS1_3genE0ELNS1_11target_archE4294967295ELNS1_3gpuE0ELNS1_3repE0EEENS1_30default_config_static_selectorELNS0_4arch9wavefront6targetE0EEEvS10_
                                        ; -- End function
	.set _ZN7rocprim17ROCPRIM_400000_NS6detail17trampoline_kernelINS0_14default_configENS1_21merge_config_selectorINS0_5tupleIJiiEEENS0_10empty_typeEEEZNS1_10merge_implIS3_NS0_12zip_iteratorINS5_IJN6thrust23THRUST_200600_302600_NS6detail15normal_iteratorINSC_10device_ptrIKiEEEESI_EEEEESK_NSA_INS5_IJNSE_INSF_IiEEEESM_EEEEEPS7_SP_SP_NSC_11hip_rocprim7__merge17predicate_wrapperIiiNSC_7greaterIiEEEEEE10hipError_tPvRmT0_T1_T2_T3_T4_T5_mmT6_P12ihipStream_tbEUlT_E0_NS1_11comp_targetILNS1_3genE0ELNS1_11target_archE4294967295ELNS1_3gpuE0ELNS1_3repE0EEENS1_30default_config_static_selectorELNS0_4arch9wavefront6targetE0EEEvS10_.num_vgpr, 35
	.set _ZN7rocprim17ROCPRIM_400000_NS6detail17trampoline_kernelINS0_14default_configENS1_21merge_config_selectorINS0_5tupleIJiiEEENS0_10empty_typeEEEZNS1_10merge_implIS3_NS0_12zip_iteratorINS5_IJN6thrust23THRUST_200600_302600_NS6detail15normal_iteratorINSC_10device_ptrIKiEEEESI_EEEEESK_NSA_INS5_IJNSE_INSF_IiEEEESM_EEEEEPS7_SP_SP_NSC_11hip_rocprim7__merge17predicate_wrapperIiiNSC_7greaterIiEEEEEE10hipError_tPvRmT0_T1_T2_T3_T4_T5_mmT6_P12ihipStream_tbEUlT_E0_NS1_11comp_targetILNS1_3genE0ELNS1_11target_archE4294967295ELNS1_3gpuE0ELNS1_3repE0EEENS1_30default_config_static_selectorELNS0_4arch9wavefront6targetE0EEEvS10_.num_agpr, 0
	.set _ZN7rocprim17ROCPRIM_400000_NS6detail17trampoline_kernelINS0_14default_configENS1_21merge_config_selectorINS0_5tupleIJiiEEENS0_10empty_typeEEEZNS1_10merge_implIS3_NS0_12zip_iteratorINS5_IJN6thrust23THRUST_200600_302600_NS6detail15normal_iteratorINSC_10device_ptrIKiEEEESI_EEEEESK_NSA_INS5_IJNSE_INSF_IiEEEESM_EEEEEPS7_SP_SP_NSC_11hip_rocprim7__merge17predicate_wrapperIiiNSC_7greaterIiEEEEEE10hipError_tPvRmT0_T1_T2_T3_T4_T5_mmT6_P12ihipStream_tbEUlT_E0_NS1_11comp_targetILNS1_3genE0ELNS1_11target_archE4294967295ELNS1_3gpuE0ELNS1_3repE0EEENS1_30default_config_static_selectorELNS0_4arch9wavefront6targetE0EEEvS10_.numbered_sgpr, 26
	.set _ZN7rocprim17ROCPRIM_400000_NS6detail17trampoline_kernelINS0_14default_configENS1_21merge_config_selectorINS0_5tupleIJiiEEENS0_10empty_typeEEEZNS1_10merge_implIS3_NS0_12zip_iteratorINS5_IJN6thrust23THRUST_200600_302600_NS6detail15normal_iteratorINSC_10device_ptrIKiEEEESI_EEEEESK_NSA_INS5_IJNSE_INSF_IiEEEESM_EEEEEPS7_SP_SP_NSC_11hip_rocprim7__merge17predicate_wrapperIiiNSC_7greaterIiEEEEEE10hipError_tPvRmT0_T1_T2_T3_T4_T5_mmT6_P12ihipStream_tbEUlT_E0_NS1_11comp_targetILNS1_3genE0ELNS1_11target_archE4294967295ELNS1_3gpuE0ELNS1_3repE0EEENS1_30default_config_static_selectorELNS0_4arch9wavefront6targetE0EEEvS10_.num_named_barrier, 0
	.set _ZN7rocprim17ROCPRIM_400000_NS6detail17trampoline_kernelINS0_14default_configENS1_21merge_config_selectorINS0_5tupleIJiiEEENS0_10empty_typeEEEZNS1_10merge_implIS3_NS0_12zip_iteratorINS5_IJN6thrust23THRUST_200600_302600_NS6detail15normal_iteratorINSC_10device_ptrIKiEEEESI_EEEEESK_NSA_INS5_IJNSE_INSF_IiEEEESM_EEEEEPS7_SP_SP_NSC_11hip_rocprim7__merge17predicate_wrapperIiiNSC_7greaterIiEEEEEE10hipError_tPvRmT0_T1_T2_T3_T4_T5_mmT6_P12ihipStream_tbEUlT_E0_NS1_11comp_targetILNS1_3genE0ELNS1_11target_archE4294967295ELNS1_3gpuE0ELNS1_3repE0EEENS1_30default_config_static_selectorELNS0_4arch9wavefront6targetE0EEEvS10_.private_seg_size, 0
	.set _ZN7rocprim17ROCPRIM_400000_NS6detail17trampoline_kernelINS0_14default_configENS1_21merge_config_selectorINS0_5tupleIJiiEEENS0_10empty_typeEEEZNS1_10merge_implIS3_NS0_12zip_iteratorINS5_IJN6thrust23THRUST_200600_302600_NS6detail15normal_iteratorINSC_10device_ptrIKiEEEESI_EEEEESK_NSA_INS5_IJNSE_INSF_IiEEEESM_EEEEEPS7_SP_SP_NSC_11hip_rocprim7__merge17predicate_wrapperIiiNSC_7greaterIiEEEEEE10hipError_tPvRmT0_T1_T2_T3_T4_T5_mmT6_P12ihipStream_tbEUlT_E0_NS1_11comp_targetILNS1_3genE0ELNS1_11target_archE4294967295ELNS1_3gpuE0ELNS1_3repE0EEENS1_30default_config_static_selectorELNS0_4arch9wavefront6targetE0EEEvS10_.uses_vcc, 1
	.set _ZN7rocprim17ROCPRIM_400000_NS6detail17trampoline_kernelINS0_14default_configENS1_21merge_config_selectorINS0_5tupleIJiiEEENS0_10empty_typeEEEZNS1_10merge_implIS3_NS0_12zip_iteratorINS5_IJN6thrust23THRUST_200600_302600_NS6detail15normal_iteratorINSC_10device_ptrIKiEEEESI_EEEEESK_NSA_INS5_IJNSE_INSF_IiEEEESM_EEEEEPS7_SP_SP_NSC_11hip_rocprim7__merge17predicate_wrapperIiiNSC_7greaterIiEEEEEE10hipError_tPvRmT0_T1_T2_T3_T4_T5_mmT6_P12ihipStream_tbEUlT_E0_NS1_11comp_targetILNS1_3genE0ELNS1_11target_archE4294967295ELNS1_3gpuE0ELNS1_3repE0EEENS1_30default_config_static_selectorELNS0_4arch9wavefront6targetE0EEEvS10_.uses_flat_scratch, 0
	.set _ZN7rocprim17ROCPRIM_400000_NS6detail17trampoline_kernelINS0_14default_configENS1_21merge_config_selectorINS0_5tupleIJiiEEENS0_10empty_typeEEEZNS1_10merge_implIS3_NS0_12zip_iteratorINS5_IJN6thrust23THRUST_200600_302600_NS6detail15normal_iteratorINSC_10device_ptrIKiEEEESI_EEEEESK_NSA_INS5_IJNSE_INSF_IiEEEESM_EEEEEPS7_SP_SP_NSC_11hip_rocprim7__merge17predicate_wrapperIiiNSC_7greaterIiEEEEEE10hipError_tPvRmT0_T1_T2_T3_T4_T5_mmT6_P12ihipStream_tbEUlT_E0_NS1_11comp_targetILNS1_3genE0ELNS1_11target_archE4294967295ELNS1_3gpuE0ELNS1_3repE0EEENS1_30default_config_static_selectorELNS0_4arch9wavefront6targetE0EEEvS10_.has_dyn_sized_stack, 0
	.set _ZN7rocprim17ROCPRIM_400000_NS6detail17trampoline_kernelINS0_14default_configENS1_21merge_config_selectorINS0_5tupleIJiiEEENS0_10empty_typeEEEZNS1_10merge_implIS3_NS0_12zip_iteratorINS5_IJN6thrust23THRUST_200600_302600_NS6detail15normal_iteratorINSC_10device_ptrIKiEEEESI_EEEEESK_NSA_INS5_IJNSE_INSF_IiEEEESM_EEEEEPS7_SP_SP_NSC_11hip_rocprim7__merge17predicate_wrapperIiiNSC_7greaterIiEEEEEE10hipError_tPvRmT0_T1_T2_T3_T4_T5_mmT6_P12ihipStream_tbEUlT_E0_NS1_11comp_targetILNS1_3genE0ELNS1_11target_archE4294967295ELNS1_3gpuE0ELNS1_3repE0EEENS1_30default_config_static_selectorELNS0_4arch9wavefront6targetE0EEEvS10_.has_recursion, 0
	.set _ZN7rocprim17ROCPRIM_400000_NS6detail17trampoline_kernelINS0_14default_configENS1_21merge_config_selectorINS0_5tupleIJiiEEENS0_10empty_typeEEEZNS1_10merge_implIS3_NS0_12zip_iteratorINS5_IJN6thrust23THRUST_200600_302600_NS6detail15normal_iteratorINSC_10device_ptrIKiEEEESI_EEEEESK_NSA_INS5_IJNSE_INSF_IiEEEESM_EEEEEPS7_SP_SP_NSC_11hip_rocprim7__merge17predicate_wrapperIiiNSC_7greaterIiEEEEEE10hipError_tPvRmT0_T1_T2_T3_T4_T5_mmT6_P12ihipStream_tbEUlT_E0_NS1_11comp_targetILNS1_3genE0ELNS1_11target_archE4294967295ELNS1_3gpuE0ELNS1_3repE0EEENS1_30default_config_static_selectorELNS0_4arch9wavefront6targetE0EEEvS10_.has_indirect_call, 0
	.section	.AMDGPU.csdata,"",@progbits
; Kernel info:
; codeLenInByte = 3508
; TotalNumSgprs: 28
; NumVgprs: 35
; ScratchSize: 0
; MemoryBound: 0
; FloatMode: 240
; IeeeMode: 1
; LDSByteSize: 14352 bytes/workgroup (compile time only)
; SGPRBlocks: 0
; VGPRBlocks: 2
; NumSGPRsForWavesPerEU: 28
; NumVGPRsForWavesPerEU: 35
; NamedBarCnt: 0
; Occupancy: 16
; WaveLimiterHint : 1
; COMPUTE_PGM_RSRC2:SCRATCH_EN: 0
; COMPUTE_PGM_RSRC2:USER_SGPR: 2
; COMPUTE_PGM_RSRC2:TRAP_HANDLER: 0
; COMPUTE_PGM_RSRC2:TGID_X_EN: 1
; COMPUTE_PGM_RSRC2:TGID_Y_EN: 0
; COMPUTE_PGM_RSRC2:TGID_Z_EN: 0
; COMPUTE_PGM_RSRC2:TIDIG_COMP_CNT: 0
	.section	.text._ZN7rocprim17ROCPRIM_400000_NS6detail17trampoline_kernelINS0_14default_configENS1_21merge_config_selectorINS0_5tupleIJiiEEENS0_10empty_typeEEEZNS1_10merge_implIS3_NS0_12zip_iteratorINS5_IJN6thrust23THRUST_200600_302600_NS6detail15normal_iteratorINSC_10device_ptrIKiEEEESI_EEEEESK_NSA_INS5_IJNSE_INSF_IiEEEESM_EEEEEPS7_SP_SP_NSC_11hip_rocprim7__merge17predicate_wrapperIiiNSC_7greaterIiEEEEEE10hipError_tPvRmT0_T1_T2_T3_T4_T5_mmT6_P12ihipStream_tbEUlT_E0_NS1_11comp_targetILNS1_3genE5ELNS1_11target_archE942ELNS1_3gpuE9ELNS1_3repE0EEENS1_30default_config_static_selectorELNS0_4arch9wavefront6targetE0EEEvS10_,"axG",@progbits,_ZN7rocprim17ROCPRIM_400000_NS6detail17trampoline_kernelINS0_14default_configENS1_21merge_config_selectorINS0_5tupleIJiiEEENS0_10empty_typeEEEZNS1_10merge_implIS3_NS0_12zip_iteratorINS5_IJN6thrust23THRUST_200600_302600_NS6detail15normal_iteratorINSC_10device_ptrIKiEEEESI_EEEEESK_NSA_INS5_IJNSE_INSF_IiEEEESM_EEEEEPS7_SP_SP_NSC_11hip_rocprim7__merge17predicate_wrapperIiiNSC_7greaterIiEEEEEE10hipError_tPvRmT0_T1_T2_T3_T4_T5_mmT6_P12ihipStream_tbEUlT_E0_NS1_11comp_targetILNS1_3genE5ELNS1_11target_archE942ELNS1_3gpuE9ELNS1_3repE0EEENS1_30default_config_static_selectorELNS0_4arch9wavefront6targetE0EEEvS10_,comdat
	.protected	_ZN7rocprim17ROCPRIM_400000_NS6detail17trampoline_kernelINS0_14default_configENS1_21merge_config_selectorINS0_5tupleIJiiEEENS0_10empty_typeEEEZNS1_10merge_implIS3_NS0_12zip_iteratorINS5_IJN6thrust23THRUST_200600_302600_NS6detail15normal_iteratorINSC_10device_ptrIKiEEEESI_EEEEESK_NSA_INS5_IJNSE_INSF_IiEEEESM_EEEEEPS7_SP_SP_NSC_11hip_rocprim7__merge17predicate_wrapperIiiNSC_7greaterIiEEEEEE10hipError_tPvRmT0_T1_T2_T3_T4_T5_mmT6_P12ihipStream_tbEUlT_E0_NS1_11comp_targetILNS1_3genE5ELNS1_11target_archE942ELNS1_3gpuE9ELNS1_3repE0EEENS1_30default_config_static_selectorELNS0_4arch9wavefront6targetE0EEEvS10_ ; -- Begin function _ZN7rocprim17ROCPRIM_400000_NS6detail17trampoline_kernelINS0_14default_configENS1_21merge_config_selectorINS0_5tupleIJiiEEENS0_10empty_typeEEEZNS1_10merge_implIS3_NS0_12zip_iteratorINS5_IJN6thrust23THRUST_200600_302600_NS6detail15normal_iteratorINSC_10device_ptrIKiEEEESI_EEEEESK_NSA_INS5_IJNSE_INSF_IiEEEESM_EEEEEPS7_SP_SP_NSC_11hip_rocprim7__merge17predicate_wrapperIiiNSC_7greaterIiEEEEEE10hipError_tPvRmT0_T1_T2_T3_T4_T5_mmT6_P12ihipStream_tbEUlT_E0_NS1_11comp_targetILNS1_3genE5ELNS1_11target_archE942ELNS1_3gpuE9ELNS1_3repE0EEENS1_30default_config_static_selectorELNS0_4arch9wavefront6targetE0EEEvS10_
	.globl	_ZN7rocprim17ROCPRIM_400000_NS6detail17trampoline_kernelINS0_14default_configENS1_21merge_config_selectorINS0_5tupleIJiiEEENS0_10empty_typeEEEZNS1_10merge_implIS3_NS0_12zip_iteratorINS5_IJN6thrust23THRUST_200600_302600_NS6detail15normal_iteratorINSC_10device_ptrIKiEEEESI_EEEEESK_NSA_INS5_IJNSE_INSF_IiEEEESM_EEEEEPS7_SP_SP_NSC_11hip_rocprim7__merge17predicate_wrapperIiiNSC_7greaterIiEEEEEE10hipError_tPvRmT0_T1_T2_T3_T4_T5_mmT6_P12ihipStream_tbEUlT_E0_NS1_11comp_targetILNS1_3genE5ELNS1_11target_archE942ELNS1_3gpuE9ELNS1_3repE0EEENS1_30default_config_static_selectorELNS0_4arch9wavefront6targetE0EEEvS10_
	.p2align	8
	.type	_ZN7rocprim17ROCPRIM_400000_NS6detail17trampoline_kernelINS0_14default_configENS1_21merge_config_selectorINS0_5tupleIJiiEEENS0_10empty_typeEEEZNS1_10merge_implIS3_NS0_12zip_iteratorINS5_IJN6thrust23THRUST_200600_302600_NS6detail15normal_iteratorINSC_10device_ptrIKiEEEESI_EEEEESK_NSA_INS5_IJNSE_INSF_IiEEEESM_EEEEEPS7_SP_SP_NSC_11hip_rocprim7__merge17predicate_wrapperIiiNSC_7greaterIiEEEEEE10hipError_tPvRmT0_T1_T2_T3_T4_T5_mmT6_P12ihipStream_tbEUlT_E0_NS1_11comp_targetILNS1_3genE5ELNS1_11target_archE942ELNS1_3gpuE9ELNS1_3repE0EEENS1_30default_config_static_selectorELNS0_4arch9wavefront6targetE0EEEvS10_,@function
_ZN7rocprim17ROCPRIM_400000_NS6detail17trampoline_kernelINS0_14default_configENS1_21merge_config_selectorINS0_5tupleIJiiEEENS0_10empty_typeEEEZNS1_10merge_implIS3_NS0_12zip_iteratorINS5_IJN6thrust23THRUST_200600_302600_NS6detail15normal_iteratorINSC_10device_ptrIKiEEEESI_EEEEESK_NSA_INS5_IJNSE_INSF_IiEEEESM_EEEEEPS7_SP_SP_NSC_11hip_rocprim7__merge17predicate_wrapperIiiNSC_7greaterIiEEEEEE10hipError_tPvRmT0_T1_T2_T3_T4_T5_mmT6_P12ihipStream_tbEUlT_E0_NS1_11comp_targetILNS1_3genE5ELNS1_11target_archE942ELNS1_3gpuE9ELNS1_3repE0EEENS1_30default_config_static_selectorELNS0_4arch9wavefront6targetE0EEEvS10_: ; @_ZN7rocprim17ROCPRIM_400000_NS6detail17trampoline_kernelINS0_14default_configENS1_21merge_config_selectorINS0_5tupleIJiiEEENS0_10empty_typeEEEZNS1_10merge_implIS3_NS0_12zip_iteratorINS5_IJN6thrust23THRUST_200600_302600_NS6detail15normal_iteratorINSC_10device_ptrIKiEEEESI_EEEEESK_NSA_INS5_IJNSE_INSF_IiEEEESM_EEEEEPS7_SP_SP_NSC_11hip_rocprim7__merge17predicate_wrapperIiiNSC_7greaterIiEEEEEE10hipError_tPvRmT0_T1_T2_T3_T4_T5_mmT6_P12ihipStream_tbEUlT_E0_NS1_11comp_targetILNS1_3genE5ELNS1_11target_archE942ELNS1_3gpuE9ELNS1_3repE0EEENS1_30default_config_static_selectorELNS0_4arch9wavefront6targetE0EEEvS10_
; %bb.0:
	.section	.rodata,"a",@progbits
	.p2align	6, 0x0
	.amdhsa_kernel _ZN7rocprim17ROCPRIM_400000_NS6detail17trampoline_kernelINS0_14default_configENS1_21merge_config_selectorINS0_5tupleIJiiEEENS0_10empty_typeEEEZNS1_10merge_implIS3_NS0_12zip_iteratorINS5_IJN6thrust23THRUST_200600_302600_NS6detail15normal_iteratorINSC_10device_ptrIKiEEEESI_EEEEESK_NSA_INS5_IJNSE_INSF_IiEEEESM_EEEEEPS7_SP_SP_NSC_11hip_rocprim7__merge17predicate_wrapperIiiNSC_7greaterIiEEEEEE10hipError_tPvRmT0_T1_T2_T3_T4_T5_mmT6_P12ihipStream_tbEUlT_E0_NS1_11comp_targetILNS1_3genE5ELNS1_11target_archE942ELNS1_3gpuE9ELNS1_3repE0EEENS1_30default_config_static_selectorELNS0_4arch9wavefront6targetE0EEEvS10_
		.amdhsa_group_segment_fixed_size 0
		.amdhsa_private_segment_fixed_size 0
		.amdhsa_kernarg_size 112
		.amdhsa_user_sgpr_count 2
		.amdhsa_user_sgpr_dispatch_ptr 0
		.amdhsa_user_sgpr_queue_ptr 0
		.amdhsa_user_sgpr_kernarg_segment_ptr 1
		.amdhsa_user_sgpr_dispatch_id 0
		.amdhsa_user_sgpr_kernarg_preload_length 0
		.amdhsa_user_sgpr_kernarg_preload_offset 0
		.amdhsa_user_sgpr_private_segment_size 0
		.amdhsa_wavefront_size32 1
		.amdhsa_uses_dynamic_stack 0
		.amdhsa_enable_private_segment 0
		.amdhsa_system_sgpr_workgroup_id_x 1
		.amdhsa_system_sgpr_workgroup_id_y 0
		.amdhsa_system_sgpr_workgroup_id_z 0
		.amdhsa_system_sgpr_workgroup_info 0
		.amdhsa_system_vgpr_workitem_id 0
		.amdhsa_next_free_vgpr 1
		.amdhsa_next_free_sgpr 1
		.amdhsa_named_barrier_count 0
		.amdhsa_reserve_vcc 0
		.amdhsa_float_round_mode_32 0
		.amdhsa_float_round_mode_16_64 0
		.amdhsa_float_denorm_mode_32 3
		.amdhsa_float_denorm_mode_16_64 3
		.amdhsa_fp16_overflow 0
		.amdhsa_memory_ordered 1
		.amdhsa_forward_progress 1
		.amdhsa_inst_pref_size 0
		.amdhsa_round_robin_scheduling 0
		.amdhsa_exception_fp_ieee_invalid_op 0
		.amdhsa_exception_fp_denorm_src 0
		.amdhsa_exception_fp_ieee_div_zero 0
		.amdhsa_exception_fp_ieee_overflow 0
		.amdhsa_exception_fp_ieee_underflow 0
		.amdhsa_exception_fp_ieee_inexact 0
		.amdhsa_exception_int_div_zero 0
	.end_amdhsa_kernel
	.section	.text._ZN7rocprim17ROCPRIM_400000_NS6detail17trampoline_kernelINS0_14default_configENS1_21merge_config_selectorINS0_5tupleIJiiEEENS0_10empty_typeEEEZNS1_10merge_implIS3_NS0_12zip_iteratorINS5_IJN6thrust23THRUST_200600_302600_NS6detail15normal_iteratorINSC_10device_ptrIKiEEEESI_EEEEESK_NSA_INS5_IJNSE_INSF_IiEEEESM_EEEEEPS7_SP_SP_NSC_11hip_rocprim7__merge17predicate_wrapperIiiNSC_7greaterIiEEEEEE10hipError_tPvRmT0_T1_T2_T3_T4_T5_mmT6_P12ihipStream_tbEUlT_E0_NS1_11comp_targetILNS1_3genE5ELNS1_11target_archE942ELNS1_3gpuE9ELNS1_3repE0EEENS1_30default_config_static_selectorELNS0_4arch9wavefront6targetE0EEEvS10_,"axG",@progbits,_ZN7rocprim17ROCPRIM_400000_NS6detail17trampoline_kernelINS0_14default_configENS1_21merge_config_selectorINS0_5tupleIJiiEEENS0_10empty_typeEEEZNS1_10merge_implIS3_NS0_12zip_iteratorINS5_IJN6thrust23THRUST_200600_302600_NS6detail15normal_iteratorINSC_10device_ptrIKiEEEESI_EEEEESK_NSA_INS5_IJNSE_INSF_IiEEEESM_EEEEEPS7_SP_SP_NSC_11hip_rocprim7__merge17predicate_wrapperIiiNSC_7greaterIiEEEEEE10hipError_tPvRmT0_T1_T2_T3_T4_T5_mmT6_P12ihipStream_tbEUlT_E0_NS1_11comp_targetILNS1_3genE5ELNS1_11target_archE942ELNS1_3gpuE9ELNS1_3repE0EEENS1_30default_config_static_selectorELNS0_4arch9wavefront6targetE0EEEvS10_,comdat
.Lfunc_end435:
	.size	_ZN7rocprim17ROCPRIM_400000_NS6detail17trampoline_kernelINS0_14default_configENS1_21merge_config_selectorINS0_5tupleIJiiEEENS0_10empty_typeEEEZNS1_10merge_implIS3_NS0_12zip_iteratorINS5_IJN6thrust23THRUST_200600_302600_NS6detail15normal_iteratorINSC_10device_ptrIKiEEEESI_EEEEESK_NSA_INS5_IJNSE_INSF_IiEEEESM_EEEEEPS7_SP_SP_NSC_11hip_rocprim7__merge17predicate_wrapperIiiNSC_7greaterIiEEEEEE10hipError_tPvRmT0_T1_T2_T3_T4_T5_mmT6_P12ihipStream_tbEUlT_E0_NS1_11comp_targetILNS1_3genE5ELNS1_11target_archE942ELNS1_3gpuE9ELNS1_3repE0EEENS1_30default_config_static_selectorELNS0_4arch9wavefront6targetE0EEEvS10_, .Lfunc_end435-_ZN7rocprim17ROCPRIM_400000_NS6detail17trampoline_kernelINS0_14default_configENS1_21merge_config_selectorINS0_5tupleIJiiEEENS0_10empty_typeEEEZNS1_10merge_implIS3_NS0_12zip_iteratorINS5_IJN6thrust23THRUST_200600_302600_NS6detail15normal_iteratorINSC_10device_ptrIKiEEEESI_EEEEESK_NSA_INS5_IJNSE_INSF_IiEEEESM_EEEEEPS7_SP_SP_NSC_11hip_rocprim7__merge17predicate_wrapperIiiNSC_7greaterIiEEEEEE10hipError_tPvRmT0_T1_T2_T3_T4_T5_mmT6_P12ihipStream_tbEUlT_E0_NS1_11comp_targetILNS1_3genE5ELNS1_11target_archE942ELNS1_3gpuE9ELNS1_3repE0EEENS1_30default_config_static_selectorELNS0_4arch9wavefront6targetE0EEEvS10_
                                        ; -- End function
	.set _ZN7rocprim17ROCPRIM_400000_NS6detail17trampoline_kernelINS0_14default_configENS1_21merge_config_selectorINS0_5tupleIJiiEEENS0_10empty_typeEEEZNS1_10merge_implIS3_NS0_12zip_iteratorINS5_IJN6thrust23THRUST_200600_302600_NS6detail15normal_iteratorINSC_10device_ptrIKiEEEESI_EEEEESK_NSA_INS5_IJNSE_INSF_IiEEEESM_EEEEEPS7_SP_SP_NSC_11hip_rocprim7__merge17predicate_wrapperIiiNSC_7greaterIiEEEEEE10hipError_tPvRmT0_T1_T2_T3_T4_T5_mmT6_P12ihipStream_tbEUlT_E0_NS1_11comp_targetILNS1_3genE5ELNS1_11target_archE942ELNS1_3gpuE9ELNS1_3repE0EEENS1_30default_config_static_selectorELNS0_4arch9wavefront6targetE0EEEvS10_.num_vgpr, 0
	.set _ZN7rocprim17ROCPRIM_400000_NS6detail17trampoline_kernelINS0_14default_configENS1_21merge_config_selectorINS0_5tupleIJiiEEENS0_10empty_typeEEEZNS1_10merge_implIS3_NS0_12zip_iteratorINS5_IJN6thrust23THRUST_200600_302600_NS6detail15normal_iteratorINSC_10device_ptrIKiEEEESI_EEEEESK_NSA_INS5_IJNSE_INSF_IiEEEESM_EEEEEPS7_SP_SP_NSC_11hip_rocprim7__merge17predicate_wrapperIiiNSC_7greaterIiEEEEEE10hipError_tPvRmT0_T1_T2_T3_T4_T5_mmT6_P12ihipStream_tbEUlT_E0_NS1_11comp_targetILNS1_3genE5ELNS1_11target_archE942ELNS1_3gpuE9ELNS1_3repE0EEENS1_30default_config_static_selectorELNS0_4arch9wavefront6targetE0EEEvS10_.num_agpr, 0
	.set _ZN7rocprim17ROCPRIM_400000_NS6detail17trampoline_kernelINS0_14default_configENS1_21merge_config_selectorINS0_5tupleIJiiEEENS0_10empty_typeEEEZNS1_10merge_implIS3_NS0_12zip_iteratorINS5_IJN6thrust23THRUST_200600_302600_NS6detail15normal_iteratorINSC_10device_ptrIKiEEEESI_EEEEESK_NSA_INS5_IJNSE_INSF_IiEEEESM_EEEEEPS7_SP_SP_NSC_11hip_rocprim7__merge17predicate_wrapperIiiNSC_7greaterIiEEEEEE10hipError_tPvRmT0_T1_T2_T3_T4_T5_mmT6_P12ihipStream_tbEUlT_E0_NS1_11comp_targetILNS1_3genE5ELNS1_11target_archE942ELNS1_3gpuE9ELNS1_3repE0EEENS1_30default_config_static_selectorELNS0_4arch9wavefront6targetE0EEEvS10_.numbered_sgpr, 0
	.set _ZN7rocprim17ROCPRIM_400000_NS6detail17trampoline_kernelINS0_14default_configENS1_21merge_config_selectorINS0_5tupleIJiiEEENS0_10empty_typeEEEZNS1_10merge_implIS3_NS0_12zip_iteratorINS5_IJN6thrust23THRUST_200600_302600_NS6detail15normal_iteratorINSC_10device_ptrIKiEEEESI_EEEEESK_NSA_INS5_IJNSE_INSF_IiEEEESM_EEEEEPS7_SP_SP_NSC_11hip_rocprim7__merge17predicate_wrapperIiiNSC_7greaterIiEEEEEE10hipError_tPvRmT0_T1_T2_T3_T4_T5_mmT6_P12ihipStream_tbEUlT_E0_NS1_11comp_targetILNS1_3genE5ELNS1_11target_archE942ELNS1_3gpuE9ELNS1_3repE0EEENS1_30default_config_static_selectorELNS0_4arch9wavefront6targetE0EEEvS10_.num_named_barrier, 0
	.set _ZN7rocprim17ROCPRIM_400000_NS6detail17trampoline_kernelINS0_14default_configENS1_21merge_config_selectorINS0_5tupleIJiiEEENS0_10empty_typeEEEZNS1_10merge_implIS3_NS0_12zip_iteratorINS5_IJN6thrust23THRUST_200600_302600_NS6detail15normal_iteratorINSC_10device_ptrIKiEEEESI_EEEEESK_NSA_INS5_IJNSE_INSF_IiEEEESM_EEEEEPS7_SP_SP_NSC_11hip_rocprim7__merge17predicate_wrapperIiiNSC_7greaterIiEEEEEE10hipError_tPvRmT0_T1_T2_T3_T4_T5_mmT6_P12ihipStream_tbEUlT_E0_NS1_11comp_targetILNS1_3genE5ELNS1_11target_archE942ELNS1_3gpuE9ELNS1_3repE0EEENS1_30default_config_static_selectorELNS0_4arch9wavefront6targetE0EEEvS10_.private_seg_size, 0
	.set _ZN7rocprim17ROCPRIM_400000_NS6detail17trampoline_kernelINS0_14default_configENS1_21merge_config_selectorINS0_5tupleIJiiEEENS0_10empty_typeEEEZNS1_10merge_implIS3_NS0_12zip_iteratorINS5_IJN6thrust23THRUST_200600_302600_NS6detail15normal_iteratorINSC_10device_ptrIKiEEEESI_EEEEESK_NSA_INS5_IJNSE_INSF_IiEEEESM_EEEEEPS7_SP_SP_NSC_11hip_rocprim7__merge17predicate_wrapperIiiNSC_7greaterIiEEEEEE10hipError_tPvRmT0_T1_T2_T3_T4_T5_mmT6_P12ihipStream_tbEUlT_E0_NS1_11comp_targetILNS1_3genE5ELNS1_11target_archE942ELNS1_3gpuE9ELNS1_3repE0EEENS1_30default_config_static_selectorELNS0_4arch9wavefront6targetE0EEEvS10_.uses_vcc, 0
	.set _ZN7rocprim17ROCPRIM_400000_NS6detail17trampoline_kernelINS0_14default_configENS1_21merge_config_selectorINS0_5tupleIJiiEEENS0_10empty_typeEEEZNS1_10merge_implIS3_NS0_12zip_iteratorINS5_IJN6thrust23THRUST_200600_302600_NS6detail15normal_iteratorINSC_10device_ptrIKiEEEESI_EEEEESK_NSA_INS5_IJNSE_INSF_IiEEEESM_EEEEEPS7_SP_SP_NSC_11hip_rocprim7__merge17predicate_wrapperIiiNSC_7greaterIiEEEEEE10hipError_tPvRmT0_T1_T2_T3_T4_T5_mmT6_P12ihipStream_tbEUlT_E0_NS1_11comp_targetILNS1_3genE5ELNS1_11target_archE942ELNS1_3gpuE9ELNS1_3repE0EEENS1_30default_config_static_selectorELNS0_4arch9wavefront6targetE0EEEvS10_.uses_flat_scratch, 0
	.set _ZN7rocprim17ROCPRIM_400000_NS6detail17trampoline_kernelINS0_14default_configENS1_21merge_config_selectorINS0_5tupleIJiiEEENS0_10empty_typeEEEZNS1_10merge_implIS3_NS0_12zip_iteratorINS5_IJN6thrust23THRUST_200600_302600_NS6detail15normal_iteratorINSC_10device_ptrIKiEEEESI_EEEEESK_NSA_INS5_IJNSE_INSF_IiEEEESM_EEEEEPS7_SP_SP_NSC_11hip_rocprim7__merge17predicate_wrapperIiiNSC_7greaterIiEEEEEE10hipError_tPvRmT0_T1_T2_T3_T4_T5_mmT6_P12ihipStream_tbEUlT_E0_NS1_11comp_targetILNS1_3genE5ELNS1_11target_archE942ELNS1_3gpuE9ELNS1_3repE0EEENS1_30default_config_static_selectorELNS0_4arch9wavefront6targetE0EEEvS10_.has_dyn_sized_stack, 0
	.set _ZN7rocprim17ROCPRIM_400000_NS6detail17trampoline_kernelINS0_14default_configENS1_21merge_config_selectorINS0_5tupleIJiiEEENS0_10empty_typeEEEZNS1_10merge_implIS3_NS0_12zip_iteratorINS5_IJN6thrust23THRUST_200600_302600_NS6detail15normal_iteratorINSC_10device_ptrIKiEEEESI_EEEEESK_NSA_INS5_IJNSE_INSF_IiEEEESM_EEEEEPS7_SP_SP_NSC_11hip_rocprim7__merge17predicate_wrapperIiiNSC_7greaterIiEEEEEE10hipError_tPvRmT0_T1_T2_T3_T4_T5_mmT6_P12ihipStream_tbEUlT_E0_NS1_11comp_targetILNS1_3genE5ELNS1_11target_archE942ELNS1_3gpuE9ELNS1_3repE0EEENS1_30default_config_static_selectorELNS0_4arch9wavefront6targetE0EEEvS10_.has_recursion, 0
	.set _ZN7rocprim17ROCPRIM_400000_NS6detail17trampoline_kernelINS0_14default_configENS1_21merge_config_selectorINS0_5tupleIJiiEEENS0_10empty_typeEEEZNS1_10merge_implIS3_NS0_12zip_iteratorINS5_IJN6thrust23THRUST_200600_302600_NS6detail15normal_iteratorINSC_10device_ptrIKiEEEESI_EEEEESK_NSA_INS5_IJNSE_INSF_IiEEEESM_EEEEEPS7_SP_SP_NSC_11hip_rocprim7__merge17predicate_wrapperIiiNSC_7greaterIiEEEEEE10hipError_tPvRmT0_T1_T2_T3_T4_T5_mmT6_P12ihipStream_tbEUlT_E0_NS1_11comp_targetILNS1_3genE5ELNS1_11target_archE942ELNS1_3gpuE9ELNS1_3repE0EEENS1_30default_config_static_selectorELNS0_4arch9wavefront6targetE0EEEvS10_.has_indirect_call, 0
	.section	.AMDGPU.csdata,"",@progbits
; Kernel info:
; codeLenInByte = 0
; TotalNumSgprs: 0
; NumVgprs: 0
; ScratchSize: 0
; MemoryBound: 0
; FloatMode: 240
; IeeeMode: 1
; LDSByteSize: 0 bytes/workgroup (compile time only)
; SGPRBlocks: 0
; VGPRBlocks: 0
; NumSGPRsForWavesPerEU: 1
; NumVGPRsForWavesPerEU: 1
; NamedBarCnt: 0
; Occupancy: 16
; WaveLimiterHint : 0
; COMPUTE_PGM_RSRC2:SCRATCH_EN: 0
; COMPUTE_PGM_RSRC2:USER_SGPR: 2
; COMPUTE_PGM_RSRC2:TRAP_HANDLER: 0
; COMPUTE_PGM_RSRC2:TGID_X_EN: 1
; COMPUTE_PGM_RSRC2:TGID_Y_EN: 0
; COMPUTE_PGM_RSRC2:TGID_Z_EN: 0
; COMPUTE_PGM_RSRC2:TIDIG_COMP_CNT: 0
	.section	.text._ZN7rocprim17ROCPRIM_400000_NS6detail17trampoline_kernelINS0_14default_configENS1_21merge_config_selectorINS0_5tupleIJiiEEENS0_10empty_typeEEEZNS1_10merge_implIS3_NS0_12zip_iteratorINS5_IJN6thrust23THRUST_200600_302600_NS6detail15normal_iteratorINSC_10device_ptrIKiEEEESI_EEEEESK_NSA_INS5_IJNSE_INSF_IiEEEESM_EEEEEPS7_SP_SP_NSC_11hip_rocprim7__merge17predicate_wrapperIiiNSC_7greaterIiEEEEEE10hipError_tPvRmT0_T1_T2_T3_T4_T5_mmT6_P12ihipStream_tbEUlT_E0_NS1_11comp_targetILNS1_3genE4ELNS1_11target_archE910ELNS1_3gpuE8ELNS1_3repE0EEENS1_30default_config_static_selectorELNS0_4arch9wavefront6targetE0EEEvS10_,"axG",@progbits,_ZN7rocprim17ROCPRIM_400000_NS6detail17trampoline_kernelINS0_14default_configENS1_21merge_config_selectorINS0_5tupleIJiiEEENS0_10empty_typeEEEZNS1_10merge_implIS3_NS0_12zip_iteratorINS5_IJN6thrust23THRUST_200600_302600_NS6detail15normal_iteratorINSC_10device_ptrIKiEEEESI_EEEEESK_NSA_INS5_IJNSE_INSF_IiEEEESM_EEEEEPS7_SP_SP_NSC_11hip_rocprim7__merge17predicate_wrapperIiiNSC_7greaterIiEEEEEE10hipError_tPvRmT0_T1_T2_T3_T4_T5_mmT6_P12ihipStream_tbEUlT_E0_NS1_11comp_targetILNS1_3genE4ELNS1_11target_archE910ELNS1_3gpuE8ELNS1_3repE0EEENS1_30default_config_static_selectorELNS0_4arch9wavefront6targetE0EEEvS10_,comdat
	.protected	_ZN7rocprim17ROCPRIM_400000_NS6detail17trampoline_kernelINS0_14default_configENS1_21merge_config_selectorINS0_5tupleIJiiEEENS0_10empty_typeEEEZNS1_10merge_implIS3_NS0_12zip_iteratorINS5_IJN6thrust23THRUST_200600_302600_NS6detail15normal_iteratorINSC_10device_ptrIKiEEEESI_EEEEESK_NSA_INS5_IJNSE_INSF_IiEEEESM_EEEEEPS7_SP_SP_NSC_11hip_rocprim7__merge17predicate_wrapperIiiNSC_7greaterIiEEEEEE10hipError_tPvRmT0_T1_T2_T3_T4_T5_mmT6_P12ihipStream_tbEUlT_E0_NS1_11comp_targetILNS1_3genE4ELNS1_11target_archE910ELNS1_3gpuE8ELNS1_3repE0EEENS1_30default_config_static_selectorELNS0_4arch9wavefront6targetE0EEEvS10_ ; -- Begin function _ZN7rocprim17ROCPRIM_400000_NS6detail17trampoline_kernelINS0_14default_configENS1_21merge_config_selectorINS0_5tupleIJiiEEENS0_10empty_typeEEEZNS1_10merge_implIS3_NS0_12zip_iteratorINS5_IJN6thrust23THRUST_200600_302600_NS6detail15normal_iteratorINSC_10device_ptrIKiEEEESI_EEEEESK_NSA_INS5_IJNSE_INSF_IiEEEESM_EEEEEPS7_SP_SP_NSC_11hip_rocprim7__merge17predicate_wrapperIiiNSC_7greaterIiEEEEEE10hipError_tPvRmT0_T1_T2_T3_T4_T5_mmT6_P12ihipStream_tbEUlT_E0_NS1_11comp_targetILNS1_3genE4ELNS1_11target_archE910ELNS1_3gpuE8ELNS1_3repE0EEENS1_30default_config_static_selectorELNS0_4arch9wavefront6targetE0EEEvS10_
	.globl	_ZN7rocprim17ROCPRIM_400000_NS6detail17trampoline_kernelINS0_14default_configENS1_21merge_config_selectorINS0_5tupleIJiiEEENS0_10empty_typeEEEZNS1_10merge_implIS3_NS0_12zip_iteratorINS5_IJN6thrust23THRUST_200600_302600_NS6detail15normal_iteratorINSC_10device_ptrIKiEEEESI_EEEEESK_NSA_INS5_IJNSE_INSF_IiEEEESM_EEEEEPS7_SP_SP_NSC_11hip_rocprim7__merge17predicate_wrapperIiiNSC_7greaterIiEEEEEE10hipError_tPvRmT0_T1_T2_T3_T4_T5_mmT6_P12ihipStream_tbEUlT_E0_NS1_11comp_targetILNS1_3genE4ELNS1_11target_archE910ELNS1_3gpuE8ELNS1_3repE0EEENS1_30default_config_static_selectorELNS0_4arch9wavefront6targetE0EEEvS10_
	.p2align	8
	.type	_ZN7rocprim17ROCPRIM_400000_NS6detail17trampoline_kernelINS0_14default_configENS1_21merge_config_selectorINS0_5tupleIJiiEEENS0_10empty_typeEEEZNS1_10merge_implIS3_NS0_12zip_iteratorINS5_IJN6thrust23THRUST_200600_302600_NS6detail15normal_iteratorINSC_10device_ptrIKiEEEESI_EEEEESK_NSA_INS5_IJNSE_INSF_IiEEEESM_EEEEEPS7_SP_SP_NSC_11hip_rocprim7__merge17predicate_wrapperIiiNSC_7greaterIiEEEEEE10hipError_tPvRmT0_T1_T2_T3_T4_T5_mmT6_P12ihipStream_tbEUlT_E0_NS1_11comp_targetILNS1_3genE4ELNS1_11target_archE910ELNS1_3gpuE8ELNS1_3repE0EEENS1_30default_config_static_selectorELNS0_4arch9wavefront6targetE0EEEvS10_,@function
_ZN7rocprim17ROCPRIM_400000_NS6detail17trampoline_kernelINS0_14default_configENS1_21merge_config_selectorINS0_5tupleIJiiEEENS0_10empty_typeEEEZNS1_10merge_implIS3_NS0_12zip_iteratorINS5_IJN6thrust23THRUST_200600_302600_NS6detail15normal_iteratorINSC_10device_ptrIKiEEEESI_EEEEESK_NSA_INS5_IJNSE_INSF_IiEEEESM_EEEEEPS7_SP_SP_NSC_11hip_rocprim7__merge17predicate_wrapperIiiNSC_7greaterIiEEEEEE10hipError_tPvRmT0_T1_T2_T3_T4_T5_mmT6_P12ihipStream_tbEUlT_E0_NS1_11comp_targetILNS1_3genE4ELNS1_11target_archE910ELNS1_3gpuE8ELNS1_3repE0EEENS1_30default_config_static_selectorELNS0_4arch9wavefront6targetE0EEEvS10_: ; @_ZN7rocprim17ROCPRIM_400000_NS6detail17trampoline_kernelINS0_14default_configENS1_21merge_config_selectorINS0_5tupleIJiiEEENS0_10empty_typeEEEZNS1_10merge_implIS3_NS0_12zip_iteratorINS5_IJN6thrust23THRUST_200600_302600_NS6detail15normal_iteratorINSC_10device_ptrIKiEEEESI_EEEEESK_NSA_INS5_IJNSE_INSF_IiEEEESM_EEEEEPS7_SP_SP_NSC_11hip_rocprim7__merge17predicate_wrapperIiiNSC_7greaterIiEEEEEE10hipError_tPvRmT0_T1_T2_T3_T4_T5_mmT6_P12ihipStream_tbEUlT_E0_NS1_11comp_targetILNS1_3genE4ELNS1_11target_archE910ELNS1_3gpuE8ELNS1_3repE0EEENS1_30default_config_static_selectorELNS0_4arch9wavefront6targetE0EEEvS10_
; %bb.0:
	.section	.rodata,"a",@progbits
	.p2align	6, 0x0
	.amdhsa_kernel _ZN7rocprim17ROCPRIM_400000_NS6detail17trampoline_kernelINS0_14default_configENS1_21merge_config_selectorINS0_5tupleIJiiEEENS0_10empty_typeEEEZNS1_10merge_implIS3_NS0_12zip_iteratorINS5_IJN6thrust23THRUST_200600_302600_NS6detail15normal_iteratorINSC_10device_ptrIKiEEEESI_EEEEESK_NSA_INS5_IJNSE_INSF_IiEEEESM_EEEEEPS7_SP_SP_NSC_11hip_rocprim7__merge17predicate_wrapperIiiNSC_7greaterIiEEEEEE10hipError_tPvRmT0_T1_T2_T3_T4_T5_mmT6_P12ihipStream_tbEUlT_E0_NS1_11comp_targetILNS1_3genE4ELNS1_11target_archE910ELNS1_3gpuE8ELNS1_3repE0EEENS1_30default_config_static_selectorELNS0_4arch9wavefront6targetE0EEEvS10_
		.amdhsa_group_segment_fixed_size 0
		.amdhsa_private_segment_fixed_size 0
		.amdhsa_kernarg_size 112
		.amdhsa_user_sgpr_count 2
		.amdhsa_user_sgpr_dispatch_ptr 0
		.amdhsa_user_sgpr_queue_ptr 0
		.amdhsa_user_sgpr_kernarg_segment_ptr 1
		.amdhsa_user_sgpr_dispatch_id 0
		.amdhsa_user_sgpr_kernarg_preload_length 0
		.amdhsa_user_sgpr_kernarg_preload_offset 0
		.amdhsa_user_sgpr_private_segment_size 0
		.amdhsa_wavefront_size32 1
		.amdhsa_uses_dynamic_stack 0
		.amdhsa_enable_private_segment 0
		.amdhsa_system_sgpr_workgroup_id_x 1
		.amdhsa_system_sgpr_workgroup_id_y 0
		.amdhsa_system_sgpr_workgroup_id_z 0
		.amdhsa_system_sgpr_workgroup_info 0
		.amdhsa_system_vgpr_workitem_id 0
		.amdhsa_next_free_vgpr 1
		.amdhsa_next_free_sgpr 1
		.amdhsa_named_barrier_count 0
		.amdhsa_reserve_vcc 0
		.amdhsa_float_round_mode_32 0
		.amdhsa_float_round_mode_16_64 0
		.amdhsa_float_denorm_mode_32 3
		.amdhsa_float_denorm_mode_16_64 3
		.amdhsa_fp16_overflow 0
		.amdhsa_memory_ordered 1
		.amdhsa_forward_progress 1
		.amdhsa_inst_pref_size 0
		.amdhsa_round_robin_scheduling 0
		.amdhsa_exception_fp_ieee_invalid_op 0
		.amdhsa_exception_fp_denorm_src 0
		.amdhsa_exception_fp_ieee_div_zero 0
		.amdhsa_exception_fp_ieee_overflow 0
		.amdhsa_exception_fp_ieee_underflow 0
		.amdhsa_exception_fp_ieee_inexact 0
		.amdhsa_exception_int_div_zero 0
	.end_amdhsa_kernel
	.section	.text._ZN7rocprim17ROCPRIM_400000_NS6detail17trampoline_kernelINS0_14default_configENS1_21merge_config_selectorINS0_5tupleIJiiEEENS0_10empty_typeEEEZNS1_10merge_implIS3_NS0_12zip_iteratorINS5_IJN6thrust23THRUST_200600_302600_NS6detail15normal_iteratorINSC_10device_ptrIKiEEEESI_EEEEESK_NSA_INS5_IJNSE_INSF_IiEEEESM_EEEEEPS7_SP_SP_NSC_11hip_rocprim7__merge17predicate_wrapperIiiNSC_7greaterIiEEEEEE10hipError_tPvRmT0_T1_T2_T3_T4_T5_mmT6_P12ihipStream_tbEUlT_E0_NS1_11comp_targetILNS1_3genE4ELNS1_11target_archE910ELNS1_3gpuE8ELNS1_3repE0EEENS1_30default_config_static_selectorELNS0_4arch9wavefront6targetE0EEEvS10_,"axG",@progbits,_ZN7rocprim17ROCPRIM_400000_NS6detail17trampoline_kernelINS0_14default_configENS1_21merge_config_selectorINS0_5tupleIJiiEEENS0_10empty_typeEEEZNS1_10merge_implIS3_NS0_12zip_iteratorINS5_IJN6thrust23THRUST_200600_302600_NS6detail15normal_iteratorINSC_10device_ptrIKiEEEESI_EEEEESK_NSA_INS5_IJNSE_INSF_IiEEEESM_EEEEEPS7_SP_SP_NSC_11hip_rocprim7__merge17predicate_wrapperIiiNSC_7greaterIiEEEEEE10hipError_tPvRmT0_T1_T2_T3_T4_T5_mmT6_P12ihipStream_tbEUlT_E0_NS1_11comp_targetILNS1_3genE4ELNS1_11target_archE910ELNS1_3gpuE8ELNS1_3repE0EEENS1_30default_config_static_selectorELNS0_4arch9wavefront6targetE0EEEvS10_,comdat
.Lfunc_end436:
	.size	_ZN7rocprim17ROCPRIM_400000_NS6detail17trampoline_kernelINS0_14default_configENS1_21merge_config_selectorINS0_5tupleIJiiEEENS0_10empty_typeEEEZNS1_10merge_implIS3_NS0_12zip_iteratorINS5_IJN6thrust23THRUST_200600_302600_NS6detail15normal_iteratorINSC_10device_ptrIKiEEEESI_EEEEESK_NSA_INS5_IJNSE_INSF_IiEEEESM_EEEEEPS7_SP_SP_NSC_11hip_rocprim7__merge17predicate_wrapperIiiNSC_7greaterIiEEEEEE10hipError_tPvRmT0_T1_T2_T3_T4_T5_mmT6_P12ihipStream_tbEUlT_E0_NS1_11comp_targetILNS1_3genE4ELNS1_11target_archE910ELNS1_3gpuE8ELNS1_3repE0EEENS1_30default_config_static_selectorELNS0_4arch9wavefront6targetE0EEEvS10_, .Lfunc_end436-_ZN7rocprim17ROCPRIM_400000_NS6detail17trampoline_kernelINS0_14default_configENS1_21merge_config_selectorINS0_5tupleIJiiEEENS0_10empty_typeEEEZNS1_10merge_implIS3_NS0_12zip_iteratorINS5_IJN6thrust23THRUST_200600_302600_NS6detail15normal_iteratorINSC_10device_ptrIKiEEEESI_EEEEESK_NSA_INS5_IJNSE_INSF_IiEEEESM_EEEEEPS7_SP_SP_NSC_11hip_rocprim7__merge17predicate_wrapperIiiNSC_7greaterIiEEEEEE10hipError_tPvRmT0_T1_T2_T3_T4_T5_mmT6_P12ihipStream_tbEUlT_E0_NS1_11comp_targetILNS1_3genE4ELNS1_11target_archE910ELNS1_3gpuE8ELNS1_3repE0EEENS1_30default_config_static_selectorELNS0_4arch9wavefront6targetE0EEEvS10_
                                        ; -- End function
	.set _ZN7rocprim17ROCPRIM_400000_NS6detail17trampoline_kernelINS0_14default_configENS1_21merge_config_selectorINS0_5tupleIJiiEEENS0_10empty_typeEEEZNS1_10merge_implIS3_NS0_12zip_iteratorINS5_IJN6thrust23THRUST_200600_302600_NS6detail15normal_iteratorINSC_10device_ptrIKiEEEESI_EEEEESK_NSA_INS5_IJNSE_INSF_IiEEEESM_EEEEEPS7_SP_SP_NSC_11hip_rocprim7__merge17predicate_wrapperIiiNSC_7greaterIiEEEEEE10hipError_tPvRmT0_T1_T2_T3_T4_T5_mmT6_P12ihipStream_tbEUlT_E0_NS1_11comp_targetILNS1_3genE4ELNS1_11target_archE910ELNS1_3gpuE8ELNS1_3repE0EEENS1_30default_config_static_selectorELNS0_4arch9wavefront6targetE0EEEvS10_.num_vgpr, 0
	.set _ZN7rocprim17ROCPRIM_400000_NS6detail17trampoline_kernelINS0_14default_configENS1_21merge_config_selectorINS0_5tupleIJiiEEENS0_10empty_typeEEEZNS1_10merge_implIS3_NS0_12zip_iteratorINS5_IJN6thrust23THRUST_200600_302600_NS6detail15normal_iteratorINSC_10device_ptrIKiEEEESI_EEEEESK_NSA_INS5_IJNSE_INSF_IiEEEESM_EEEEEPS7_SP_SP_NSC_11hip_rocprim7__merge17predicate_wrapperIiiNSC_7greaterIiEEEEEE10hipError_tPvRmT0_T1_T2_T3_T4_T5_mmT6_P12ihipStream_tbEUlT_E0_NS1_11comp_targetILNS1_3genE4ELNS1_11target_archE910ELNS1_3gpuE8ELNS1_3repE0EEENS1_30default_config_static_selectorELNS0_4arch9wavefront6targetE0EEEvS10_.num_agpr, 0
	.set _ZN7rocprim17ROCPRIM_400000_NS6detail17trampoline_kernelINS0_14default_configENS1_21merge_config_selectorINS0_5tupleIJiiEEENS0_10empty_typeEEEZNS1_10merge_implIS3_NS0_12zip_iteratorINS5_IJN6thrust23THRUST_200600_302600_NS6detail15normal_iteratorINSC_10device_ptrIKiEEEESI_EEEEESK_NSA_INS5_IJNSE_INSF_IiEEEESM_EEEEEPS7_SP_SP_NSC_11hip_rocprim7__merge17predicate_wrapperIiiNSC_7greaterIiEEEEEE10hipError_tPvRmT0_T1_T2_T3_T4_T5_mmT6_P12ihipStream_tbEUlT_E0_NS1_11comp_targetILNS1_3genE4ELNS1_11target_archE910ELNS1_3gpuE8ELNS1_3repE0EEENS1_30default_config_static_selectorELNS0_4arch9wavefront6targetE0EEEvS10_.numbered_sgpr, 0
	.set _ZN7rocprim17ROCPRIM_400000_NS6detail17trampoline_kernelINS0_14default_configENS1_21merge_config_selectorINS0_5tupleIJiiEEENS0_10empty_typeEEEZNS1_10merge_implIS3_NS0_12zip_iteratorINS5_IJN6thrust23THRUST_200600_302600_NS6detail15normal_iteratorINSC_10device_ptrIKiEEEESI_EEEEESK_NSA_INS5_IJNSE_INSF_IiEEEESM_EEEEEPS7_SP_SP_NSC_11hip_rocprim7__merge17predicate_wrapperIiiNSC_7greaterIiEEEEEE10hipError_tPvRmT0_T1_T2_T3_T4_T5_mmT6_P12ihipStream_tbEUlT_E0_NS1_11comp_targetILNS1_3genE4ELNS1_11target_archE910ELNS1_3gpuE8ELNS1_3repE0EEENS1_30default_config_static_selectorELNS0_4arch9wavefront6targetE0EEEvS10_.num_named_barrier, 0
	.set _ZN7rocprim17ROCPRIM_400000_NS6detail17trampoline_kernelINS0_14default_configENS1_21merge_config_selectorINS0_5tupleIJiiEEENS0_10empty_typeEEEZNS1_10merge_implIS3_NS0_12zip_iteratorINS5_IJN6thrust23THRUST_200600_302600_NS6detail15normal_iteratorINSC_10device_ptrIKiEEEESI_EEEEESK_NSA_INS5_IJNSE_INSF_IiEEEESM_EEEEEPS7_SP_SP_NSC_11hip_rocprim7__merge17predicate_wrapperIiiNSC_7greaterIiEEEEEE10hipError_tPvRmT0_T1_T2_T3_T4_T5_mmT6_P12ihipStream_tbEUlT_E0_NS1_11comp_targetILNS1_3genE4ELNS1_11target_archE910ELNS1_3gpuE8ELNS1_3repE0EEENS1_30default_config_static_selectorELNS0_4arch9wavefront6targetE0EEEvS10_.private_seg_size, 0
	.set _ZN7rocprim17ROCPRIM_400000_NS6detail17trampoline_kernelINS0_14default_configENS1_21merge_config_selectorINS0_5tupleIJiiEEENS0_10empty_typeEEEZNS1_10merge_implIS3_NS0_12zip_iteratorINS5_IJN6thrust23THRUST_200600_302600_NS6detail15normal_iteratorINSC_10device_ptrIKiEEEESI_EEEEESK_NSA_INS5_IJNSE_INSF_IiEEEESM_EEEEEPS7_SP_SP_NSC_11hip_rocprim7__merge17predicate_wrapperIiiNSC_7greaterIiEEEEEE10hipError_tPvRmT0_T1_T2_T3_T4_T5_mmT6_P12ihipStream_tbEUlT_E0_NS1_11comp_targetILNS1_3genE4ELNS1_11target_archE910ELNS1_3gpuE8ELNS1_3repE0EEENS1_30default_config_static_selectorELNS0_4arch9wavefront6targetE0EEEvS10_.uses_vcc, 0
	.set _ZN7rocprim17ROCPRIM_400000_NS6detail17trampoline_kernelINS0_14default_configENS1_21merge_config_selectorINS0_5tupleIJiiEEENS0_10empty_typeEEEZNS1_10merge_implIS3_NS0_12zip_iteratorINS5_IJN6thrust23THRUST_200600_302600_NS6detail15normal_iteratorINSC_10device_ptrIKiEEEESI_EEEEESK_NSA_INS5_IJNSE_INSF_IiEEEESM_EEEEEPS7_SP_SP_NSC_11hip_rocprim7__merge17predicate_wrapperIiiNSC_7greaterIiEEEEEE10hipError_tPvRmT0_T1_T2_T3_T4_T5_mmT6_P12ihipStream_tbEUlT_E0_NS1_11comp_targetILNS1_3genE4ELNS1_11target_archE910ELNS1_3gpuE8ELNS1_3repE0EEENS1_30default_config_static_selectorELNS0_4arch9wavefront6targetE0EEEvS10_.uses_flat_scratch, 0
	.set _ZN7rocprim17ROCPRIM_400000_NS6detail17trampoline_kernelINS0_14default_configENS1_21merge_config_selectorINS0_5tupleIJiiEEENS0_10empty_typeEEEZNS1_10merge_implIS3_NS0_12zip_iteratorINS5_IJN6thrust23THRUST_200600_302600_NS6detail15normal_iteratorINSC_10device_ptrIKiEEEESI_EEEEESK_NSA_INS5_IJNSE_INSF_IiEEEESM_EEEEEPS7_SP_SP_NSC_11hip_rocprim7__merge17predicate_wrapperIiiNSC_7greaterIiEEEEEE10hipError_tPvRmT0_T1_T2_T3_T4_T5_mmT6_P12ihipStream_tbEUlT_E0_NS1_11comp_targetILNS1_3genE4ELNS1_11target_archE910ELNS1_3gpuE8ELNS1_3repE0EEENS1_30default_config_static_selectorELNS0_4arch9wavefront6targetE0EEEvS10_.has_dyn_sized_stack, 0
	.set _ZN7rocprim17ROCPRIM_400000_NS6detail17trampoline_kernelINS0_14default_configENS1_21merge_config_selectorINS0_5tupleIJiiEEENS0_10empty_typeEEEZNS1_10merge_implIS3_NS0_12zip_iteratorINS5_IJN6thrust23THRUST_200600_302600_NS6detail15normal_iteratorINSC_10device_ptrIKiEEEESI_EEEEESK_NSA_INS5_IJNSE_INSF_IiEEEESM_EEEEEPS7_SP_SP_NSC_11hip_rocprim7__merge17predicate_wrapperIiiNSC_7greaterIiEEEEEE10hipError_tPvRmT0_T1_T2_T3_T4_T5_mmT6_P12ihipStream_tbEUlT_E0_NS1_11comp_targetILNS1_3genE4ELNS1_11target_archE910ELNS1_3gpuE8ELNS1_3repE0EEENS1_30default_config_static_selectorELNS0_4arch9wavefront6targetE0EEEvS10_.has_recursion, 0
	.set _ZN7rocprim17ROCPRIM_400000_NS6detail17trampoline_kernelINS0_14default_configENS1_21merge_config_selectorINS0_5tupleIJiiEEENS0_10empty_typeEEEZNS1_10merge_implIS3_NS0_12zip_iteratorINS5_IJN6thrust23THRUST_200600_302600_NS6detail15normal_iteratorINSC_10device_ptrIKiEEEESI_EEEEESK_NSA_INS5_IJNSE_INSF_IiEEEESM_EEEEEPS7_SP_SP_NSC_11hip_rocprim7__merge17predicate_wrapperIiiNSC_7greaterIiEEEEEE10hipError_tPvRmT0_T1_T2_T3_T4_T5_mmT6_P12ihipStream_tbEUlT_E0_NS1_11comp_targetILNS1_3genE4ELNS1_11target_archE910ELNS1_3gpuE8ELNS1_3repE0EEENS1_30default_config_static_selectorELNS0_4arch9wavefront6targetE0EEEvS10_.has_indirect_call, 0
	.section	.AMDGPU.csdata,"",@progbits
; Kernel info:
; codeLenInByte = 0
; TotalNumSgprs: 0
; NumVgprs: 0
; ScratchSize: 0
; MemoryBound: 0
; FloatMode: 240
; IeeeMode: 1
; LDSByteSize: 0 bytes/workgroup (compile time only)
; SGPRBlocks: 0
; VGPRBlocks: 0
; NumSGPRsForWavesPerEU: 1
; NumVGPRsForWavesPerEU: 1
; NamedBarCnt: 0
; Occupancy: 16
; WaveLimiterHint : 0
; COMPUTE_PGM_RSRC2:SCRATCH_EN: 0
; COMPUTE_PGM_RSRC2:USER_SGPR: 2
; COMPUTE_PGM_RSRC2:TRAP_HANDLER: 0
; COMPUTE_PGM_RSRC2:TGID_X_EN: 1
; COMPUTE_PGM_RSRC2:TGID_Y_EN: 0
; COMPUTE_PGM_RSRC2:TGID_Z_EN: 0
; COMPUTE_PGM_RSRC2:TIDIG_COMP_CNT: 0
	.section	.text._ZN7rocprim17ROCPRIM_400000_NS6detail17trampoline_kernelINS0_14default_configENS1_21merge_config_selectorINS0_5tupleIJiiEEENS0_10empty_typeEEEZNS1_10merge_implIS3_NS0_12zip_iteratorINS5_IJN6thrust23THRUST_200600_302600_NS6detail15normal_iteratorINSC_10device_ptrIKiEEEESI_EEEEESK_NSA_INS5_IJNSE_INSF_IiEEEESM_EEEEEPS7_SP_SP_NSC_11hip_rocprim7__merge17predicate_wrapperIiiNSC_7greaterIiEEEEEE10hipError_tPvRmT0_T1_T2_T3_T4_T5_mmT6_P12ihipStream_tbEUlT_E0_NS1_11comp_targetILNS1_3genE3ELNS1_11target_archE908ELNS1_3gpuE7ELNS1_3repE0EEENS1_30default_config_static_selectorELNS0_4arch9wavefront6targetE0EEEvS10_,"axG",@progbits,_ZN7rocprim17ROCPRIM_400000_NS6detail17trampoline_kernelINS0_14default_configENS1_21merge_config_selectorINS0_5tupleIJiiEEENS0_10empty_typeEEEZNS1_10merge_implIS3_NS0_12zip_iteratorINS5_IJN6thrust23THRUST_200600_302600_NS6detail15normal_iteratorINSC_10device_ptrIKiEEEESI_EEEEESK_NSA_INS5_IJNSE_INSF_IiEEEESM_EEEEEPS7_SP_SP_NSC_11hip_rocprim7__merge17predicate_wrapperIiiNSC_7greaterIiEEEEEE10hipError_tPvRmT0_T1_T2_T3_T4_T5_mmT6_P12ihipStream_tbEUlT_E0_NS1_11comp_targetILNS1_3genE3ELNS1_11target_archE908ELNS1_3gpuE7ELNS1_3repE0EEENS1_30default_config_static_selectorELNS0_4arch9wavefront6targetE0EEEvS10_,comdat
	.protected	_ZN7rocprim17ROCPRIM_400000_NS6detail17trampoline_kernelINS0_14default_configENS1_21merge_config_selectorINS0_5tupleIJiiEEENS0_10empty_typeEEEZNS1_10merge_implIS3_NS0_12zip_iteratorINS5_IJN6thrust23THRUST_200600_302600_NS6detail15normal_iteratorINSC_10device_ptrIKiEEEESI_EEEEESK_NSA_INS5_IJNSE_INSF_IiEEEESM_EEEEEPS7_SP_SP_NSC_11hip_rocprim7__merge17predicate_wrapperIiiNSC_7greaterIiEEEEEE10hipError_tPvRmT0_T1_T2_T3_T4_T5_mmT6_P12ihipStream_tbEUlT_E0_NS1_11comp_targetILNS1_3genE3ELNS1_11target_archE908ELNS1_3gpuE7ELNS1_3repE0EEENS1_30default_config_static_selectorELNS0_4arch9wavefront6targetE0EEEvS10_ ; -- Begin function _ZN7rocprim17ROCPRIM_400000_NS6detail17trampoline_kernelINS0_14default_configENS1_21merge_config_selectorINS0_5tupleIJiiEEENS0_10empty_typeEEEZNS1_10merge_implIS3_NS0_12zip_iteratorINS5_IJN6thrust23THRUST_200600_302600_NS6detail15normal_iteratorINSC_10device_ptrIKiEEEESI_EEEEESK_NSA_INS5_IJNSE_INSF_IiEEEESM_EEEEEPS7_SP_SP_NSC_11hip_rocprim7__merge17predicate_wrapperIiiNSC_7greaterIiEEEEEE10hipError_tPvRmT0_T1_T2_T3_T4_T5_mmT6_P12ihipStream_tbEUlT_E0_NS1_11comp_targetILNS1_3genE3ELNS1_11target_archE908ELNS1_3gpuE7ELNS1_3repE0EEENS1_30default_config_static_selectorELNS0_4arch9wavefront6targetE0EEEvS10_
	.globl	_ZN7rocprim17ROCPRIM_400000_NS6detail17trampoline_kernelINS0_14default_configENS1_21merge_config_selectorINS0_5tupleIJiiEEENS0_10empty_typeEEEZNS1_10merge_implIS3_NS0_12zip_iteratorINS5_IJN6thrust23THRUST_200600_302600_NS6detail15normal_iteratorINSC_10device_ptrIKiEEEESI_EEEEESK_NSA_INS5_IJNSE_INSF_IiEEEESM_EEEEEPS7_SP_SP_NSC_11hip_rocprim7__merge17predicate_wrapperIiiNSC_7greaterIiEEEEEE10hipError_tPvRmT0_T1_T2_T3_T4_T5_mmT6_P12ihipStream_tbEUlT_E0_NS1_11comp_targetILNS1_3genE3ELNS1_11target_archE908ELNS1_3gpuE7ELNS1_3repE0EEENS1_30default_config_static_selectorELNS0_4arch9wavefront6targetE0EEEvS10_
	.p2align	8
	.type	_ZN7rocprim17ROCPRIM_400000_NS6detail17trampoline_kernelINS0_14default_configENS1_21merge_config_selectorINS0_5tupleIJiiEEENS0_10empty_typeEEEZNS1_10merge_implIS3_NS0_12zip_iteratorINS5_IJN6thrust23THRUST_200600_302600_NS6detail15normal_iteratorINSC_10device_ptrIKiEEEESI_EEEEESK_NSA_INS5_IJNSE_INSF_IiEEEESM_EEEEEPS7_SP_SP_NSC_11hip_rocprim7__merge17predicate_wrapperIiiNSC_7greaterIiEEEEEE10hipError_tPvRmT0_T1_T2_T3_T4_T5_mmT6_P12ihipStream_tbEUlT_E0_NS1_11comp_targetILNS1_3genE3ELNS1_11target_archE908ELNS1_3gpuE7ELNS1_3repE0EEENS1_30default_config_static_selectorELNS0_4arch9wavefront6targetE0EEEvS10_,@function
_ZN7rocprim17ROCPRIM_400000_NS6detail17trampoline_kernelINS0_14default_configENS1_21merge_config_selectorINS0_5tupleIJiiEEENS0_10empty_typeEEEZNS1_10merge_implIS3_NS0_12zip_iteratorINS5_IJN6thrust23THRUST_200600_302600_NS6detail15normal_iteratorINSC_10device_ptrIKiEEEESI_EEEEESK_NSA_INS5_IJNSE_INSF_IiEEEESM_EEEEEPS7_SP_SP_NSC_11hip_rocprim7__merge17predicate_wrapperIiiNSC_7greaterIiEEEEEE10hipError_tPvRmT0_T1_T2_T3_T4_T5_mmT6_P12ihipStream_tbEUlT_E0_NS1_11comp_targetILNS1_3genE3ELNS1_11target_archE908ELNS1_3gpuE7ELNS1_3repE0EEENS1_30default_config_static_selectorELNS0_4arch9wavefront6targetE0EEEvS10_: ; @_ZN7rocprim17ROCPRIM_400000_NS6detail17trampoline_kernelINS0_14default_configENS1_21merge_config_selectorINS0_5tupleIJiiEEENS0_10empty_typeEEEZNS1_10merge_implIS3_NS0_12zip_iteratorINS5_IJN6thrust23THRUST_200600_302600_NS6detail15normal_iteratorINSC_10device_ptrIKiEEEESI_EEEEESK_NSA_INS5_IJNSE_INSF_IiEEEESM_EEEEEPS7_SP_SP_NSC_11hip_rocprim7__merge17predicate_wrapperIiiNSC_7greaterIiEEEEEE10hipError_tPvRmT0_T1_T2_T3_T4_T5_mmT6_P12ihipStream_tbEUlT_E0_NS1_11comp_targetILNS1_3genE3ELNS1_11target_archE908ELNS1_3gpuE7ELNS1_3repE0EEENS1_30default_config_static_selectorELNS0_4arch9wavefront6targetE0EEEvS10_
; %bb.0:
	.section	.rodata,"a",@progbits
	.p2align	6, 0x0
	.amdhsa_kernel _ZN7rocprim17ROCPRIM_400000_NS6detail17trampoline_kernelINS0_14default_configENS1_21merge_config_selectorINS0_5tupleIJiiEEENS0_10empty_typeEEEZNS1_10merge_implIS3_NS0_12zip_iteratorINS5_IJN6thrust23THRUST_200600_302600_NS6detail15normal_iteratorINSC_10device_ptrIKiEEEESI_EEEEESK_NSA_INS5_IJNSE_INSF_IiEEEESM_EEEEEPS7_SP_SP_NSC_11hip_rocprim7__merge17predicate_wrapperIiiNSC_7greaterIiEEEEEE10hipError_tPvRmT0_T1_T2_T3_T4_T5_mmT6_P12ihipStream_tbEUlT_E0_NS1_11comp_targetILNS1_3genE3ELNS1_11target_archE908ELNS1_3gpuE7ELNS1_3repE0EEENS1_30default_config_static_selectorELNS0_4arch9wavefront6targetE0EEEvS10_
		.amdhsa_group_segment_fixed_size 0
		.amdhsa_private_segment_fixed_size 0
		.amdhsa_kernarg_size 112
		.amdhsa_user_sgpr_count 2
		.amdhsa_user_sgpr_dispatch_ptr 0
		.amdhsa_user_sgpr_queue_ptr 0
		.amdhsa_user_sgpr_kernarg_segment_ptr 1
		.amdhsa_user_sgpr_dispatch_id 0
		.amdhsa_user_sgpr_kernarg_preload_length 0
		.amdhsa_user_sgpr_kernarg_preload_offset 0
		.amdhsa_user_sgpr_private_segment_size 0
		.amdhsa_wavefront_size32 1
		.amdhsa_uses_dynamic_stack 0
		.amdhsa_enable_private_segment 0
		.amdhsa_system_sgpr_workgroup_id_x 1
		.amdhsa_system_sgpr_workgroup_id_y 0
		.amdhsa_system_sgpr_workgroup_id_z 0
		.amdhsa_system_sgpr_workgroup_info 0
		.amdhsa_system_vgpr_workitem_id 0
		.amdhsa_next_free_vgpr 1
		.amdhsa_next_free_sgpr 1
		.amdhsa_named_barrier_count 0
		.amdhsa_reserve_vcc 0
		.amdhsa_float_round_mode_32 0
		.amdhsa_float_round_mode_16_64 0
		.amdhsa_float_denorm_mode_32 3
		.amdhsa_float_denorm_mode_16_64 3
		.amdhsa_fp16_overflow 0
		.amdhsa_memory_ordered 1
		.amdhsa_forward_progress 1
		.amdhsa_inst_pref_size 0
		.amdhsa_round_robin_scheduling 0
		.amdhsa_exception_fp_ieee_invalid_op 0
		.amdhsa_exception_fp_denorm_src 0
		.amdhsa_exception_fp_ieee_div_zero 0
		.amdhsa_exception_fp_ieee_overflow 0
		.amdhsa_exception_fp_ieee_underflow 0
		.amdhsa_exception_fp_ieee_inexact 0
		.amdhsa_exception_int_div_zero 0
	.end_amdhsa_kernel
	.section	.text._ZN7rocprim17ROCPRIM_400000_NS6detail17trampoline_kernelINS0_14default_configENS1_21merge_config_selectorINS0_5tupleIJiiEEENS0_10empty_typeEEEZNS1_10merge_implIS3_NS0_12zip_iteratorINS5_IJN6thrust23THRUST_200600_302600_NS6detail15normal_iteratorINSC_10device_ptrIKiEEEESI_EEEEESK_NSA_INS5_IJNSE_INSF_IiEEEESM_EEEEEPS7_SP_SP_NSC_11hip_rocprim7__merge17predicate_wrapperIiiNSC_7greaterIiEEEEEE10hipError_tPvRmT0_T1_T2_T3_T4_T5_mmT6_P12ihipStream_tbEUlT_E0_NS1_11comp_targetILNS1_3genE3ELNS1_11target_archE908ELNS1_3gpuE7ELNS1_3repE0EEENS1_30default_config_static_selectorELNS0_4arch9wavefront6targetE0EEEvS10_,"axG",@progbits,_ZN7rocprim17ROCPRIM_400000_NS6detail17trampoline_kernelINS0_14default_configENS1_21merge_config_selectorINS0_5tupleIJiiEEENS0_10empty_typeEEEZNS1_10merge_implIS3_NS0_12zip_iteratorINS5_IJN6thrust23THRUST_200600_302600_NS6detail15normal_iteratorINSC_10device_ptrIKiEEEESI_EEEEESK_NSA_INS5_IJNSE_INSF_IiEEEESM_EEEEEPS7_SP_SP_NSC_11hip_rocprim7__merge17predicate_wrapperIiiNSC_7greaterIiEEEEEE10hipError_tPvRmT0_T1_T2_T3_T4_T5_mmT6_P12ihipStream_tbEUlT_E0_NS1_11comp_targetILNS1_3genE3ELNS1_11target_archE908ELNS1_3gpuE7ELNS1_3repE0EEENS1_30default_config_static_selectorELNS0_4arch9wavefront6targetE0EEEvS10_,comdat
.Lfunc_end437:
	.size	_ZN7rocprim17ROCPRIM_400000_NS6detail17trampoline_kernelINS0_14default_configENS1_21merge_config_selectorINS0_5tupleIJiiEEENS0_10empty_typeEEEZNS1_10merge_implIS3_NS0_12zip_iteratorINS5_IJN6thrust23THRUST_200600_302600_NS6detail15normal_iteratorINSC_10device_ptrIKiEEEESI_EEEEESK_NSA_INS5_IJNSE_INSF_IiEEEESM_EEEEEPS7_SP_SP_NSC_11hip_rocprim7__merge17predicate_wrapperIiiNSC_7greaterIiEEEEEE10hipError_tPvRmT0_T1_T2_T3_T4_T5_mmT6_P12ihipStream_tbEUlT_E0_NS1_11comp_targetILNS1_3genE3ELNS1_11target_archE908ELNS1_3gpuE7ELNS1_3repE0EEENS1_30default_config_static_selectorELNS0_4arch9wavefront6targetE0EEEvS10_, .Lfunc_end437-_ZN7rocprim17ROCPRIM_400000_NS6detail17trampoline_kernelINS0_14default_configENS1_21merge_config_selectorINS0_5tupleIJiiEEENS0_10empty_typeEEEZNS1_10merge_implIS3_NS0_12zip_iteratorINS5_IJN6thrust23THRUST_200600_302600_NS6detail15normal_iteratorINSC_10device_ptrIKiEEEESI_EEEEESK_NSA_INS5_IJNSE_INSF_IiEEEESM_EEEEEPS7_SP_SP_NSC_11hip_rocprim7__merge17predicate_wrapperIiiNSC_7greaterIiEEEEEE10hipError_tPvRmT0_T1_T2_T3_T4_T5_mmT6_P12ihipStream_tbEUlT_E0_NS1_11comp_targetILNS1_3genE3ELNS1_11target_archE908ELNS1_3gpuE7ELNS1_3repE0EEENS1_30default_config_static_selectorELNS0_4arch9wavefront6targetE0EEEvS10_
                                        ; -- End function
	.set _ZN7rocprim17ROCPRIM_400000_NS6detail17trampoline_kernelINS0_14default_configENS1_21merge_config_selectorINS0_5tupleIJiiEEENS0_10empty_typeEEEZNS1_10merge_implIS3_NS0_12zip_iteratorINS5_IJN6thrust23THRUST_200600_302600_NS6detail15normal_iteratorINSC_10device_ptrIKiEEEESI_EEEEESK_NSA_INS5_IJNSE_INSF_IiEEEESM_EEEEEPS7_SP_SP_NSC_11hip_rocprim7__merge17predicate_wrapperIiiNSC_7greaterIiEEEEEE10hipError_tPvRmT0_T1_T2_T3_T4_T5_mmT6_P12ihipStream_tbEUlT_E0_NS1_11comp_targetILNS1_3genE3ELNS1_11target_archE908ELNS1_3gpuE7ELNS1_3repE0EEENS1_30default_config_static_selectorELNS0_4arch9wavefront6targetE0EEEvS10_.num_vgpr, 0
	.set _ZN7rocprim17ROCPRIM_400000_NS6detail17trampoline_kernelINS0_14default_configENS1_21merge_config_selectorINS0_5tupleIJiiEEENS0_10empty_typeEEEZNS1_10merge_implIS3_NS0_12zip_iteratorINS5_IJN6thrust23THRUST_200600_302600_NS6detail15normal_iteratorINSC_10device_ptrIKiEEEESI_EEEEESK_NSA_INS5_IJNSE_INSF_IiEEEESM_EEEEEPS7_SP_SP_NSC_11hip_rocprim7__merge17predicate_wrapperIiiNSC_7greaterIiEEEEEE10hipError_tPvRmT0_T1_T2_T3_T4_T5_mmT6_P12ihipStream_tbEUlT_E0_NS1_11comp_targetILNS1_3genE3ELNS1_11target_archE908ELNS1_3gpuE7ELNS1_3repE0EEENS1_30default_config_static_selectorELNS0_4arch9wavefront6targetE0EEEvS10_.num_agpr, 0
	.set _ZN7rocprim17ROCPRIM_400000_NS6detail17trampoline_kernelINS0_14default_configENS1_21merge_config_selectorINS0_5tupleIJiiEEENS0_10empty_typeEEEZNS1_10merge_implIS3_NS0_12zip_iteratorINS5_IJN6thrust23THRUST_200600_302600_NS6detail15normal_iteratorINSC_10device_ptrIKiEEEESI_EEEEESK_NSA_INS5_IJNSE_INSF_IiEEEESM_EEEEEPS7_SP_SP_NSC_11hip_rocprim7__merge17predicate_wrapperIiiNSC_7greaterIiEEEEEE10hipError_tPvRmT0_T1_T2_T3_T4_T5_mmT6_P12ihipStream_tbEUlT_E0_NS1_11comp_targetILNS1_3genE3ELNS1_11target_archE908ELNS1_3gpuE7ELNS1_3repE0EEENS1_30default_config_static_selectorELNS0_4arch9wavefront6targetE0EEEvS10_.numbered_sgpr, 0
	.set _ZN7rocprim17ROCPRIM_400000_NS6detail17trampoline_kernelINS0_14default_configENS1_21merge_config_selectorINS0_5tupleIJiiEEENS0_10empty_typeEEEZNS1_10merge_implIS3_NS0_12zip_iteratorINS5_IJN6thrust23THRUST_200600_302600_NS6detail15normal_iteratorINSC_10device_ptrIKiEEEESI_EEEEESK_NSA_INS5_IJNSE_INSF_IiEEEESM_EEEEEPS7_SP_SP_NSC_11hip_rocprim7__merge17predicate_wrapperIiiNSC_7greaterIiEEEEEE10hipError_tPvRmT0_T1_T2_T3_T4_T5_mmT6_P12ihipStream_tbEUlT_E0_NS1_11comp_targetILNS1_3genE3ELNS1_11target_archE908ELNS1_3gpuE7ELNS1_3repE0EEENS1_30default_config_static_selectorELNS0_4arch9wavefront6targetE0EEEvS10_.num_named_barrier, 0
	.set _ZN7rocprim17ROCPRIM_400000_NS6detail17trampoline_kernelINS0_14default_configENS1_21merge_config_selectorINS0_5tupleIJiiEEENS0_10empty_typeEEEZNS1_10merge_implIS3_NS0_12zip_iteratorINS5_IJN6thrust23THRUST_200600_302600_NS6detail15normal_iteratorINSC_10device_ptrIKiEEEESI_EEEEESK_NSA_INS5_IJNSE_INSF_IiEEEESM_EEEEEPS7_SP_SP_NSC_11hip_rocprim7__merge17predicate_wrapperIiiNSC_7greaterIiEEEEEE10hipError_tPvRmT0_T1_T2_T3_T4_T5_mmT6_P12ihipStream_tbEUlT_E0_NS1_11comp_targetILNS1_3genE3ELNS1_11target_archE908ELNS1_3gpuE7ELNS1_3repE0EEENS1_30default_config_static_selectorELNS0_4arch9wavefront6targetE0EEEvS10_.private_seg_size, 0
	.set _ZN7rocprim17ROCPRIM_400000_NS6detail17trampoline_kernelINS0_14default_configENS1_21merge_config_selectorINS0_5tupleIJiiEEENS0_10empty_typeEEEZNS1_10merge_implIS3_NS0_12zip_iteratorINS5_IJN6thrust23THRUST_200600_302600_NS6detail15normal_iteratorINSC_10device_ptrIKiEEEESI_EEEEESK_NSA_INS5_IJNSE_INSF_IiEEEESM_EEEEEPS7_SP_SP_NSC_11hip_rocprim7__merge17predicate_wrapperIiiNSC_7greaterIiEEEEEE10hipError_tPvRmT0_T1_T2_T3_T4_T5_mmT6_P12ihipStream_tbEUlT_E0_NS1_11comp_targetILNS1_3genE3ELNS1_11target_archE908ELNS1_3gpuE7ELNS1_3repE0EEENS1_30default_config_static_selectorELNS0_4arch9wavefront6targetE0EEEvS10_.uses_vcc, 0
	.set _ZN7rocprim17ROCPRIM_400000_NS6detail17trampoline_kernelINS0_14default_configENS1_21merge_config_selectorINS0_5tupleIJiiEEENS0_10empty_typeEEEZNS1_10merge_implIS3_NS0_12zip_iteratorINS5_IJN6thrust23THRUST_200600_302600_NS6detail15normal_iteratorINSC_10device_ptrIKiEEEESI_EEEEESK_NSA_INS5_IJNSE_INSF_IiEEEESM_EEEEEPS7_SP_SP_NSC_11hip_rocprim7__merge17predicate_wrapperIiiNSC_7greaterIiEEEEEE10hipError_tPvRmT0_T1_T2_T3_T4_T5_mmT6_P12ihipStream_tbEUlT_E0_NS1_11comp_targetILNS1_3genE3ELNS1_11target_archE908ELNS1_3gpuE7ELNS1_3repE0EEENS1_30default_config_static_selectorELNS0_4arch9wavefront6targetE0EEEvS10_.uses_flat_scratch, 0
	.set _ZN7rocprim17ROCPRIM_400000_NS6detail17trampoline_kernelINS0_14default_configENS1_21merge_config_selectorINS0_5tupleIJiiEEENS0_10empty_typeEEEZNS1_10merge_implIS3_NS0_12zip_iteratorINS5_IJN6thrust23THRUST_200600_302600_NS6detail15normal_iteratorINSC_10device_ptrIKiEEEESI_EEEEESK_NSA_INS5_IJNSE_INSF_IiEEEESM_EEEEEPS7_SP_SP_NSC_11hip_rocprim7__merge17predicate_wrapperIiiNSC_7greaterIiEEEEEE10hipError_tPvRmT0_T1_T2_T3_T4_T5_mmT6_P12ihipStream_tbEUlT_E0_NS1_11comp_targetILNS1_3genE3ELNS1_11target_archE908ELNS1_3gpuE7ELNS1_3repE0EEENS1_30default_config_static_selectorELNS0_4arch9wavefront6targetE0EEEvS10_.has_dyn_sized_stack, 0
	.set _ZN7rocprim17ROCPRIM_400000_NS6detail17trampoline_kernelINS0_14default_configENS1_21merge_config_selectorINS0_5tupleIJiiEEENS0_10empty_typeEEEZNS1_10merge_implIS3_NS0_12zip_iteratorINS5_IJN6thrust23THRUST_200600_302600_NS6detail15normal_iteratorINSC_10device_ptrIKiEEEESI_EEEEESK_NSA_INS5_IJNSE_INSF_IiEEEESM_EEEEEPS7_SP_SP_NSC_11hip_rocprim7__merge17predicate_wrapperIiiNSC_7greaterIiEEEEEE10hipError_tPvRmT0_T1_T2_T3_T4_T5_mmT6_P12ihipStream_tbEUlT_E0_NS1_11comp_targetILNS1_3genE3ELNS1_11target_archE908ELNS1_3gpuE7ELNS1_3repE0EEENS1_30default_config_static_selectorELNS0_4arch9wavefront6targetE0EEEvS10_.has_recursion, 0
	.set _ZN7rocprim17ROCPRIM_400000_NS6detail17trampoline_kernelINS0_14default_configENS1_21merge_config_selectorINS0_5tupleIJiiEEENS0_10empty_typeEEEZNS1_10merge_implIS3_NS0_12zip_iteratorINS5_IJN6thrust23THRUST_200600_302600_NS6detail15normal_iteratorINSC_10device_ptrIKiEEEESI_EEEEESK_NSA_INS5_IJNSE_INSF_IiEEEESM_EEEEEPS7_SP_SP_NSC_11hip_rocprim7__merge17predicate_wrapperIiiNSC_7greaterIiEEEEEE10hipError_tPvRmT0_T1_T2_T3_T4_T5_mmT6_P12ihipStream_tbEUlT_E0_NS1_11comp_targetILNS1_3genE3ELNS1_11target_archE908ELNS1_3gpuE7ELNS1_3repE0EEENS1_30default_config_static_selectorELNS0_4arch9wavefront6targetE0EEEvS10_.has_indirect_call, 0
	.section	.AMDGPU.csdata,"",@progbits
; Kernel info:
; codeLenInByte = 0
; TotalNumSgprs: 0
; NumVgprs: 0
; ScratchSize: 0
; MemoryBound: 0
; FloatMode: 240
; IeeeMode: 1
; LDSByteSize: 0 bytes/workgroup (compile time only)
; SGPRBlocks: 0
; VGPRBlocks: 0
; NumSGPRsForWavesPerEU: 1
; NumVGPRsForWavesPerEU: 1
; NamedBarCnt: 0
; Occupancy: 16
; WaveLimiterHint : 0
; COMPUTE_PGM_RSRC2:SCRATCH_EN: 0
; COMPUTE_PGM_RSRC2:USER_SGPR: 2
; COMPUTE_PGM_RSRC2:TRAP_HANDLER: 0
; COMPUTE_PGM_RSRC2:TGID_X_EN: 1
; COMPUTE_PGM_RSRC2:TGID_Y_EN: 0
; COMPUTE_PGM_RSRC2:TGID_Z_EN: 0
; COMPUTE_PGM_RSRC2:TIDIG_COMP_CNT: 0
	.section	.text._ZN7rocprim17ROCPRIM_400000_NS6detail17trampoline_kernelINS0_14default_configENS1_21merge_config_selectorINS0_5tupleIJiiEEENS0_10empty_typeEEEZNS1_10merge_implIS3_NS0_12zip_iteratorINS5_IJN6thrust23THRUST_200600_302600_NS6detail15normal_iteratorINSC_10device_ptrIKiEEEESI_EEEEESK_NSA_INS5_IJNSE_INSF_IiEEEESM_EEEEEPS7_SP_SP_NSC_11hip_rocprim7__merge17predicate_wrapperIiiNSC_7greaterIiEEEEEE10hipError_tPvRmT0_T1_T2_T3_T4_T5_mmT6_P12ihipStream_tbEUlT_E0_NS1_11comp_targetILNS1_3genE2ELNS1_11target_archE906ELNS1_3gpuE6ELNS1_3repE0EEENS1_30default_config_static_selectorELNS0_4arch9wavefront6targetE0EEEvS10_,"axG",@progbits,_ZN7rocprim17ROCPRIM_400000_NS6detail17trampoline_kernelINS0_14default_configENS1_21merge_config_selectorINS0_5tupleIJiiEEENS0_10empty_typeEEEZNS1_10merge_implIS3_NS0_12zip_iteratorINS5_IJN6thrust23THRUST_200600_302600_NS6detail15normal_iteratorINSC_10device_ptrIKiEEEESI_EEEEESK_NSA_INS5_IJNSE_INSF_IiEEEESM_EEEEEPS7_SP_SP_NSC_11hip_rocprim7__merge17predicate_wrapperIiiNSC_7greaterIiEEEEEE10hipError_tPvRmT0_T1_T2_T3_T4_T5_mmT6_P12ihipStream_tbEUlT_E0_NS1_11comp_targetILNS1_3genE2ELNS1_11target_archE906ELNS1_3gpuE6ELNS1_3repE0EEENS1_30default_config_static_selectorELNS0_4arch9wavefront6targetE0EEEvS10_,comdat
	.protected	_ZN7rocprim17ROCPRIM_400000_NS6detail17trampoline_kernelINS0_14default_configENS1_21merge_config_selectorINS0_5tupleIJiiEEENS0_10empty_typeEEEZNS1_10merge_implIS3_NS0_12zip_iteratorINS5_IJN6thrust23THRUST_200600_302600_NS6detail15normal_iteratorINSC_10device_ptrIKiEEEESI_EEEEESK_NSA_INS5_IJNSE_INSF_IiEEEESM_EEEEEPS7_SP_SP_NSC_11hip_rocprim7__merge17predicate_wrapperIiiNSC_7greaterIiEEEEEE10hipError_tPvRmT0_T1_T2_T3_T4_T5_mmT6_P12ihipStream_tbEUlT_E0_NS1_11comp_targetILNS1_3genE2ELNS1_11target_archE906ELNS1_3gpuE6ELNS1_3repE0EEENS1_30default_config_static_selectorELNS0_4arch9wavefront6targetE0EEEvS10_ ; -- Begin function _ZN7rocprim17ROCPRIM_400000_NS6detail17trampoline_kernelINS0_14default_configENS1_21merge_config_selectorINS0_5tupleIJiiEEENS0_10empty_typeEEEZNS1_10merge_implIS3_NS0_12zip_iteratorINS5_IJN6thrust23THRUST_200600_302600_NS6detail15normal_iteratorINSC_10device_ptrIKiEEEESI_EEEEESK_NSA_INS5_IJNSE_INSF_IiEEEESM_EEEEEPS7_SP_SP_NSC_11hip_rocprim7__merge17predicate_wrapperIiiNSC_7greaterIiEEEEEE10hipError_tPvRmT0_T1_T2_T3_T4_T5_mmT6_P12ihipStream_tbEUlT_E0_NS1_11comp_targetILNS1_3genE2ELNS1_11target_archE906ELNS1_3gpuE6ELNS1_3repE0EEENS1_30default_config_static_selectorELNS0_4arch9wavefront6targetE0EEEvS10_
	.globl	_ZN7rocprim17ROCPRIM_400000_NS6detail17trampoline_kernelINS0_14default_configENS1_21merge_config_selectorINS0_5tupleIJiiEEENS0_10empty_typeEEEZNS1_10merge_implIS3_NS0_12zip_iteratorINS5_IJN6thrust23THRUST_200600_302600_NS6detail15normal_iteratorINSC_10device_ptrIKiEEEESI_EEEEESK_NSA_INS5_IJNSE_INSF_IiEEEESM_EEEEEPS7_SP_SP_NSC_11hip_rocprim7__merge17predicate_wrapperIiiNSC_7greaterIiEEEEEE10hipError_tPvRmT0_T1_T2_T3_T4_T5_mmT6_P12ihipStream_tbEUlT_E0_NS1_11comp_targetILNS1_3genE2ELNS1_11target_archE906ELNS1_3gpuE6ELNS1_3repE0EEENS1_30default_config_static_selectorELNS0_4arch9wavefront6targetE0EEEvS10_
	.p2align	8
	.type	_ZN7rocprim17ROCPRIM_400000_NS6detail17trampoline_kernelINS0_14default_configENS1_21merge_config_selectorINS0_5tupleIJiiEEENS0_10empty_typeEEEZNS1_10merge_implIS3_NS0_12zip_iteratorINS5_IJN6thrust23THRUST_200600_302600_NS6detail15normal_iteratorINSC_10device_ptrIKiEEEESI_EEEEESK_NSA_INS5_IJNSE_INSF_IiEEEESM_EEEEEPS7_SP_SP_NSC_11hip_rocprim7__merge17predicate_wrapperIiiNSC_7greaterIiEEEEEE10hipError_tPvRmT0_T1_T2_T3_T4_T5_mmT6_P12ihipStream_tbEUlT_E0_NS1_11comp_targetILNS1_3genE2ELNS1_11target_archE906ELNS1_3gpuE6ELNS1_3repE0EEENS1_30default_config_static_selectorELNS0_4arch9wavefront6targetE0EEEvS10_,@function
_ZN7rocprim17ROCPRIM_400000_NS6detail17trampoline_kernelINS0_14default_configENS1_21merge_config_selectorINS0_5tupleIJiiEEENS0_10empty_typeEEEZNS1_10merge_implIS3_NS0_12zip_iteratorINS5_IJN6thrust23THRUST_200600_302600_NS6detail15normal_iteratorINSC_10device_ptrIKiEEEESI_EEEEESK_NSA_INS5_IJNSE_INSF_IiEEEESM_EEEEEPS7_SP_SP_NSC_11hip_rocprim7__merge17predicate_wrapperIiiNSC_7greaterIiEEEEEE10hipError_tPvRmT0_T1_T2_T3_T4_T5_mmT6_P12ihipStream_tbEUlT_E0_NS1_11comp_targetILNS1_3genE2ELNS1_11target_archE906ELNS1_3gpuE6ELNS1_3repE0EEENS1_30default_config_static_selectorELNS0_4arch9wavefront6targetE0EEEvS10_: ; @_ZN7rocprim17ROCPRIM_400000_NS6detail17trampoline_kernelINS0_14default_configENS1_21merge_config_selectorINS0_5tupleIJiiEEENS0_10empty_typeEEEZNS1_10merge_implIS3_NS0_12zip_iteratorINS5_IJN6thrust23THRUST_200600_302600_NS6detail15normal_iteratorINSC_10device_ptrIKiEEEESI_EEEEESK_NSA_INS5_IJNSE_INSF_IiEEEESM_EEEEEPS7_SP_SP_NSC_11hip_rocprim7__merge17predicate_wrapperIiiNSC_7greaterIiEEEEEE10hipError_tPvRmT0_T1_T2_T3_T4_T5_mmT6_P12ihipStream_tbEUlT_E0_NS1_11comp_targetILNS1_3genE2ELNS1_11target_archE906ELNS1_3gpuE6ELNS1_3repE0EEENS1_30default_config_static_selectorELNS0_4arch9wavefront6targetE0EEEvS10_
; %bb.0:
	.section	.rodata,"a",@progbits
	.p2align	6, 0x0
	.amdhsa_kernel _ZN7rocprim17ROCPRIM_400000_NS6detail17trampoline_kernelINS0_14default_configENS1_21merge_config_selectorINS0_5tupleIJiiEEENS0_10empty_typeEEEZNS1_10merge_implIS3_NS0_12zip_iteratorINS5_IJN6thrust23THRUST_200600_302600_NS6detail15normal_iteratorINSC_10device_ptrIKiEEEESI_EEEEESK_NSA_INS5_IJNSE_INSF_IiEEEESM_EEEEEPS7_SP_SP_NSC_11hip_rocprim7__merge17predicate_wrapperIiiNSC_7greaterIiEEEEEE10hipError_tPvRmT0_T1_T2_T3_T4_T5_mmT6_P12ihipStream_tbEUlT_E0_NS1_11comp_targetILNS1_3genE2ELNS1_11target_archE906ELNS1_3gpuE6ELNS1_3repE0EEENS1_30default_config_static_selectorELNS0_4arch9wavefront6targetE0EEEvS10_
		.amdhsa_group_segment_fixed_size 0
		.amdhsa_private_segment_fixed_size 0
		.amdhsa_kernarg_size 112
		.amdhsa_user_sgpr_count 2
		.amdhsa_user_sgpr_dispatch_ptr 0
		.amdhsa_user_sgpr_queue_ptr 0
		.amdhsa_user_sgpr_kernarg_segment_ptr 1
		.amdhsa_user_sgpr_dispatch_id 0
		.amdhsa_user_sgpr_kernarg_preload_length 0
		.amdhsa_user_sgpr_kernarg_preload_offset 0
		.amdhsa_user_sgpr_private_segment_size 0
		.amdhsa_wavefront_size32 1
		.amdhsa_uses_dynamic_stack 0
		.amdhsa_enable_private_segment 0
		.amdhsa_system_sgpr_workgroup_id_x 1
		.amdhsa_system_sgpr_workgroup_id_y 0
		.amdhsa_system_sgpr_workgroup_id_z 0
		.amdhsa_system_sgpr_workgroup_info 0
		.amdhsa_system_vgpr_workitem_id 0
		.amdhsa_next_free_vgpr 1
		.amdhsa_next_free_sgpr 1
		.amdhsa_named_barrier_count 0
		.amdhsa_reserve_vcc 0
		.amdhsa_float_round_mode_32 0
		.amdhsa_float_round_mode_16_64 0
		.amdhsa_float_denorm_mode_32 3
		.amdhsa_float_denorm_mode_16_64 3
		.amdhsa_fp16_overflow 0
		.amdhsa_memory_ordered 1
		.amdhsa_forward_progress 1
		.amdhsa_inst_pref_size 0
		.amdhsa_round_robin_scheduling 0
		.amdhsa_exception_fp_ieee_invalid_op 0
		.amdhsa_exception_fp_denorm_src 0
		.amdhsa_exception_fp_ieee_div_zero 0
		.amdhsa_exception_fp_ieee_overflow 0
		.amdhsa_exception_fp_ieee_underflow 0
		.amdhsa_exception_fp_ieee_inexact 0
		.amdhsa_exception_int_div_zero 0
	.end_amdhsa_kernel
	.section	.text._ZN7rocprim17ROCPRIM_400000_NS6detail17trampoline_kernelINS0_14default_configENS1_21merge_config_selectorINS0_5tupleIJiiEEENS0_10empty_typeEEEZNS1_10merge_implIS3_NS0_12zip_iteratorINS5_IJN6thrust23THRUST_200600_302600_NS6detail15normal_iteratorINSC_10device_ptrIKiEEEESI_EEEEESK_NSA_INS5_IJNSE_INSF_IiEEEESM_EEEEEPS7_SP_SP_NSC_11hip_rocprim7__merge17predicate_wrapperIiiNSC_7greaterIiEEEEEE10hipError_tPvRmT0_T1_T2_T3_T4_T5_mmT6_P12ihipStream_tbEUlT_E0_NS1_11comp_targetILNS1_3genE2ELNS1_11target_archE906ELNS1_3gpuE6ELNS1_3repE0EEENS1_30default_config_static_selectorELNS0_4arch9wavefront6targetE0EEEvS10_,"axG",@progbits,_ZN7rocprim17ROCPRIM_400000_NS6detail17trampoline_kernelINS0_14default_configENS1_21merge_config_selectorINS0_5tupleIJiiEEENS0_10empty_typeEEEZNS1_10merge_implIS3_NS0_12zip_iteratorINS5_IJN6thrust23THRUST_200600_302600_NS6detail15normal_iteratorINSC_10device_ptrIKiEEEESI_EEEEESK_NSA_INS5_IJNSE_INSF_IiEEEESM_EEEEEPS7_SP_SP_NSC_11hip_rocprim7__merge17predicate_wrapperIiiNSC_7greaterIiEEEEEE10hipError_tPvRmT0_T1_T2_T3_T4_T5_mmT6_P12ihipStream_tbEUlT_E0_NS1_11comp_targetILNS1_3genE2ELNS1_11target_archE906ELNS1_3gpuE6ELNS1_3repE0EEENS1_30default_config_static_selectorELNS0_4arch9wavefront6targetE0EEEvS10_,comdat
.Lfunc_end438:
	.size	_ZN7rocprim17ROCPRIM_400000_NS6detail17trampoline_kernelINS0_14default_configENS1_21merge_config_selectorINS0_5tupleIJiiEEENS0_10empty_typeEEEZNS1_10merge_implIS3_NS0_12zip_iteratorINS5_IJN6thrust23THRUST_200600_302600_NS6detail15normal_iteratorINSC_10device_ptrIKiEEEESI_EEEEESK_NSA_INS5_IJNSE_INSF_IiEEEESM_EEEEEPS7_SP_SP_NSC_11hip_rocprim7__merge17predicate_wrapperIiiNSC_7greaterIiEEEEEE10hipError_tPvRmT0_T1_T2_T3_T4_T5_mmT6_P12ihipStream_tbEUlT_E0_NS1_11comp_targetILNS1_3genE2ELNS1_11target_archE906ELNS1_3gpuE6ELNS1_3repE0EEENS1_30default_config_static_selectorELNS0_4arch9wavefront6targetE0EEEvS10_, .Lfunc_end438-_ZN7rocprim17ROCPRIM_400000_NS6detail17trampoline_kernelINS0_14default_configENS1_21merge_config_selectorINS0_5tupleIJiiEEENS0_10empty_typeEEEZNS1_10merge_implIS3_NS0_12zip_iteratorINS5_IJN6thrust23THRUST_200600_302600_NS6detail15normal_iteratorINSC_10device_ptrIKiEEEESI_EEEEESK_NSA_INS5_IJNSE_INSF_IiEEEESM_EEEEEPS7_SP_SP_NSC_11hip_rocprim7__merge17predicate_wrapperIiiNSC_7greaterIiEEEEEE10hipError_tPvRmT0_T1_T2_T3_T4_T5_mmT6_P12ihipStream_tbEUlT_E0_NS1_11comp_targetILNS1_3genE2ELNS1_11target_archE906ELNS1_3gpuE6ELNS1_3repE0EEENS1_30default_config_static_selectorELNS0_4arch9wavefront6targetE0EEEvS10_
                                        ; -- End function
	.set _ZN7rocprim17ROCPRIM_400000_NS6detail17trampoline_kernelINS0_14default_configENS1_21merge_config_selectorINS0_5tupleIJiiEEENS0_10empty_typeEEEZNS1_10merge_implIS3_NS0_12zip_iteratorINS5_IJN6thrust23THRUST_200600_302600_NS6detail15normal_iteratorINSC_10device_ptrIKiEEEESI_EEEEESK_NSA_INS5_IJNSE_INSF_IiEEEESM_EEEEEPS7_SP_SP_NSC_11hip_rocprim7__merge17predicate_wrapperIiiNSC_7greaterIiEEEEEE10hipError_tPvRmT0_T1_T2_T3_T4_T5_mmT6_P12ihipStream_tbEUlT_E0_NS1_11comp_targetILNS1_3genE2ELNS1_11target_archE906ELNS1_3gpuE6ELNS1_3repE0EEENS1_30default_config_static_selectorELNS0_4arch9wavefront6targetE0EEEvS10_.num_vgpr, 0
	.set _ZN7rocprim17ROCPRIM_400000_NS6detail17trampoline_kernelINS0_14default_configENS1_21merge_config_selectorINS0_5tupleIJiiEEENS0_10empty_typeEEEZNS1_10merge_implIS3_NS0_12zip_iteratorINS5_IJN6thrust23THRUST_200600_302600_NS6detail15normal_iteratorINSC_10device_ptrIKiEEEESI_EEEEESK_NSA_INS5_IJNSE_INSF_IiEEEESM_EEEEEPS7_SP_SP_NSC_11hip_rocprim7__merge17predicate_wrapperIiiNSC_7greaterIiEEEEEE10hipError_tPvRmT0_T1_T2_T3_T4_T5_mmT6_P12ihipStream_tbEUlT_E0_NS1_11comp_targetILNS1_3genE2ELNS1_11target_archE906ELNS1_3gpuE6ELNS1_3repE0EEENS1_30default_config_static_selectorELNS0_4arch9wavefront6targetE0EEEvS10_.num_agpr, 0
	.set _ZN7rocprim17ROCPRIM_400000_NS6detail17trampoline_kernelINS0_14default_configENS1_21merge_config_selectorINS0_5tupleIJiiEEENS0_10empty_typeEEEZNS1_10merge_implIS3_NS0_12zip_iteratorINS5_IJN6thrust23THRUST_200600_302600_NS6detail15normal_iteratorINSC_10device_ptrIKiEEEESI_EEEEESK_NSA_INS5_IJNSE_INSF_IiEEEESM_EEEEEPS7_SP_SP_NSC_11hip_rocprim7__merge17predicate_wrapperIiiNSC_7greaterIiEEEEEE10hipError_tPvRmT0_T1_T2_T3_T4_T5_mmT6_P12ihipStream_tbEUlT_E0_NS1_11comp_targetILNS1_3genE2ELNS1_11target_archE906ELNS1_3gpuE6ELNS1_3repE0EEENS1_30default_config_static_selectorELNS0_4arch9wavefront6targetE0EEEvS10_.numbered_sgpr, 0
	.set _ZN7rocprim17ROCPRIM_400000_NS6detail17trampoline_kernelINS0_14default_configENS1_21merge_config_selectorINS0_5tupleIJiiEEENS0_10empty_typeEEEZNS1_10merge_implIS3_NS0_12zip_iteratorINS5_IJN6thrust23THRUST_200600_302600_NS6detail15normal_iteratorINSC_10device_ptrIKiEEEESI_EEEEESK_NSA_INS5_IJNSE_INSF_IiEEEESM_EEEEEPS7_SP_SP_NSC_11hip_rocprim7__merge17predicate_wrapperIiiNSC_7greaterIiEEEEEE10hipError_tPvRmT0_T1_T2_T3_T4_T5_mmT6_P12ihipStream_tbEUlT_E0_NS1_11comp_targetILNS1_3genE2ELNS1_11target_archE906ELNS1_3gpuE6ELNS1_3repE0EEENS1_30default_config_static_selectorELNS0_4arch9wavefront6targetE0EEEvS10_.num_named_barrier, 0
	.set _ZN7rocprim17ROCPRIM_400000_NS6detail17trampoline_kernelINS0_14default_configENS1_21merge_config_selectorINS0_5tupleIJiiEEENS0_10empty_typeEEEZNS1_10merge_implIS3_NS0_12zip_iteratorINS5_IJN6thrust23THRUST_200600_302600_NS6detail15normal_iteratorINSC_10device_ptrIKiEEEESI_EEEEESK_NSA_INS5_IJNSE_INSF_IiEEEESM_EEEEEPS7_SP_SP_NSC_11hip_rocprim7__merge17predicate_wrapperIiiNSC_7greaterIiEEEEEE10hipError_tPvRmT0_T1_T2_T3_T4_T5_mmT6_P12ihipStream_tbEUlT_E0_NS1_11comp_targetILNS1_3genE2ELNS1_11target_archE906ELNS1_3gpuE6ELNS1_3repE0EEENS1_30default_config_static_selectorELNS0_4arch9wavefront6targetE0EEEvS10_.private_seg_size, 0
	.set _ZN7rocprim17ROCPRIM_400000_NS6detail17trampoline_kernelINS0_14default_configENS1_21merge_config_selectorINS0_5tupleIJiiEEENS0_10empty_typeEEEZNS1_10merge_implIS3_NS0_12zip_iteratorINS5_IJN6thrust23THRUST_200600_302600_NS6detail15normal_iteratorINSC_10device_ptrIKiEEEESI_EEEEESK_NSA_INS5_IJNSE_INSF_IiEEEESM_EEEEEPS7_SP_SP_NSC_11hip_rocprim7__merge17predicate_wrapperIiiNSC_7greaterIiEEEEEE10hipError_tPvRmT0_T1_T2_T3_T4_T5_mmT6_P12ihipStream_tbEUlT_E0_NS1_11comp_targetILNS1_3genE2ELNS1_11target_archE906ELNS1_3gpuE6ELNS1_3repE0EEENS1_30default_config_static_selectorELNS0_4arch9wavefront6targetE0EEEvS10_.uses_vcc, 0
	.set _ZN7rocprim17ROCPRIM_400000_NS6detail17trampoline_kernelINS0_14default_configENS1_21merge_config_selectorINS0_5tupleIJiiEEENS0_10empty_typeEEEZNS1_10merge_implIS3_NS0_12zip_iteratorINS5_IJN6thrust23THRUST_200600_302600_NS6detail15normal_iteratorINSC_10device_ptrIKiEEEESI_EEEEESK_NSA_INS5_IJNSE_INSF_IiEEEESM_EEEEEPS7_SP_SP_NSC_11hip_rocprim7__merge17predicate_wrapperIiiNSC_7greaterIiEEEEEE10hipError_tPvRmT0_T1_T2_T3_T4_T5_mmT6_P12ihipStream_tbEUlT_E0_NS1_11comp_targetILNS1_3genE2ELNS1_11target_archE906ELNS1_3gpuE6ELNS1_3repE0EEENS1_30default_config_static_selectorELNS0_4arch9wavefront6targetE0EEEvS10_.uses_flat_scratch, 0
	.set _ZN7rocprim17ROCPRIM_400000_NS6detail17trampoline_kernelINS0_14default_configENS1_21merge_config_selectorINS0_5tupleIJiiEEENS0_10empty_typeEEEZNS1_10merge_implIS3_NS0_12zip_iteratorINS5_IJN6thrust23THRUST_200600_302600_NS6detail15normal_iteratorINSC_10device_ptrIKiEEEESI_EEEEESK_NSA_INS5_IJNSE_INSF_IiEEEESM_EEEEEPS7_SP_SP_NSC_11hip_rocprim7__merge17predicate_wrapperIiiNSC_7greaterIiEEEEEE10hipError_tPvRmT0_T1_T2_T3_T4_T5_mmT6_P12ihipStream_tbEUlT_E0_NS1_11comp_targetILNS1_3genE2ELNS1_11target_archE906ELNS1_3gpuE6ELNS1_3repE0EEENS1_30default_config_static_selectorELNS0_4arch9wavefront6targetE0EEEvS10_.has_dyn_sized_stack, 0
	.set _ZN7rocprim17ROCPRIM_400000_NS6detail17trampoline_kernelINS0_14default_configENS1_21merge_config_selectorINS0_5tupleIJiiEEENS0_10empty_typeEEEZNS1_10merge_implIS3_NS0_12zip_iteratorINS5_IJN6thrust23THRUST_200600_302600_NS6detail15normal_iteratorINSC_10device_ptrIKiEEEESI_EEEEESK_NSA_INS5_IJNSE_INSF_IiEEEESM_EEEEEPS7_SP_SP_NSC_11hip_rocprim7__merge17predicate_wrapperIiiNSC_7greaterIiEEEEEE10hipError_tPvRmT0_T1_T2_T3_T4_T5_mmT6_P12ihipStream_tbEUlT_E0_NS1_11comp_targetILNS1_3genE2ELNS1_11target_archE906ELNS1_3gpuE6ELNS1_3repE0EEENS1_30default_config_static_selectorELNS0_4arch9wavefront6targetE0EEEvS10_.has_recursion, 0
	.set _ZN7rocprim17ROCPRIM_400000_NS6detail17trampoline_kernelINS0_14default_configENS1_21merge_config_selectorINS0_5tupleIJiiEEENS0_10empty_typeEEEZNS1_10merge_implIS3_NS0_12zip_iteratorINS5_IJN6thrust23THRUST_200600_302600_NS6detail15normal_iteratorINSC_10device_ptrIKiEEEESI_EEEEESK_NSA_INS5_IJNSE_INSF_IiEEEESM_EEEEEPS7_SP_SP_NSC_11hip_rocprim7__merge17predicate_wrapperIiiNSC_7greaterIiEEEEEE10hipError_tPvRmT0_T1_T2_T3_T4_T5_mmT6_P12ihipStream_tbEUlT_E0_NS1_11comp_targetILNS1_3genE2ELNS1_11target_archE906ELNS1_3gpuE6ELNS1_3repE0EEENS1_30default_config_static_selectorELNS0_4arch9wavefront6targetE0EEEvS10_.has_indirect_call, 0
	.section	.AMDGPU.csdata,"",@progbits
; Kernel info:
; codeLenInByte = 0
; TotalNumSgprs: 0
; NumVgprs: 0
; ScratchSize: 0
; MemoryBound: 0
; FloatMode: 240
; IeeeMode: 1
; LDSByteSize: 0 bytes/workgroup (compile time only)
; SGPRBlocks: 0
; VGPRBlocks: 0
; NumSGPRsForWavesPerEU: 1
; NumVGPRsForWavesPerEU: 1
; NamedBarCnt: 0
; Occupancy: 16
; WaveLimiterHint : 0
; COMPUTE_PGM_RSRC2:SCRATCH_EN: 0
; COMPUTE_PGM_RSRC2:USER_SGPR: 2
; COMPUTE_PGM_RSRC2:TRAP_HANDLER: 0
; COMPUTE_PGM_RSRC2:TGID_X_EN: 1
; COMPUTE_PGM_RSRC2:TGID_Y_EN: 0
; COMPUTE_PGM_RSRC2:TGID_Z_EN: 0
; COMPUTE_PGM_RSRC2:TIDIG_COMP_CNT: 0
	.section	.text._ZN7rocprim17ROCPRIM_400000_NS6detail17trampoline_kernelINS0_14default_configENS1_21merge_config_selectorINS0_5tupleIJiiEEENS0_10empty_typeEEEZNS1_10merge_implIS3_NS0_12zip_iteratorINS5_IJN6thrust23THRUST_200600_302600_NS6detail15normal_iteratorINSC_10device_ptrIKiEEEESI_EEEEESK_NSA_INS5_IJNSE_INSF_IiEEEESM_EEEEEPS7_SP_SP_NSC_11hip_rocprim7__merge17predicate_wrapperIiiNSC_7greaterIiEEEEEE10hipError_tPvRmT0_T1_T2_T3_T4_T5_mmT6_P12ihipStream_tbEUlT_E0_NS1_11comp_targetILNS1_3genE10ELNS1_11target_archE1201ELNS1_3gpuE5ELNS1_3repE0EEENS1_30default_config_static_selectorELNS0_4arch9wavefront6targetE0EEEvS10_,"axG",@progbits,_ZN7rocprim17ROCPRIM_400000_NS6detail17trampoline_kernelINS0_14default_configENS1_21merge_config_selectorINS0_5tupleIJiiEEENS0_10empty_typeEEEZNS1_10merge_implIS3_NS0_12zip_iteratorINS5_IJN6thrust23THRUST_200600_302600_NS6detail15normal_iteratorINSC_10device_ptrIKiEEEESI_EEEEESK_NSA_INS5_IJNSE_INSF_IiEEEESM_EEEEEPS7_SP_SP_NSC_11hip_rocprim7__merge17predicate_wrapperIiiNSC_7greaterIiEEEEEE10hipError_tPvRmT0_T1_T2_T3_T4_T5_mmT6_P12ihipStream_tbEUlT_E0_NS1_11comp_targetILNS1_3genE10ELNS1_11target_archE1201ELNS1_3gpuE5ELNS1_3repE0EEENS1_30default_config_static_selectorELNS0_4arch9wavefront6targetE0EEEvS10_,comdat
	.protected	_ZN7rocprim17ROCPRIM_400000_NS6detail17trampoline_kernelINS0_14default_configENS1_21merge_config_selectorINS0_5tupleIJiiEEENS0_10empty_typeEEEZNS1_10merge_implIS3_NS0_12zip_iteratorINS5_IJN6thrust23THRUST_200600_302600_NS6detail15normal_iteratorINSC_10device_ptrIKiEEEESI_EEEEESK_NSA_INS5_IJNSE_INSF_IiEEEESM_EEEEEPS7_SP_SP_NSC_11hip_rocprim7__merge17predicate_wrapperIiiNSC_7greaterIiEEEEEE10hipError_tPvRmT0_T1_T2_T3_T4_T5_mmT6_P12ihipStream_tbEUlT_E0_NS1_11comp_targetILNS1_3genE10ELNS1_11target_archE1201ELNS1_3gpuE5ELNS1_3repE0EEENS1_30default_config_static_selectorELNS0_4arch9wavefront6targetE0EEEvS10_ ; -- Begin function _ZN7rocprim17ROCPRIM_400000_NS6detail17trampoline_kernelINS0_14default_configENS1_21merge_config_selectorINS0_5tupleIJiiEEENS0_10empty_typeEEEZNS1_10merge_implIS3_NS0_12zip_iteratorINS5_IJN6thrust23THRUST_200600_302600_NS6detail15normal_iteratorINSC_10device_ptrIKiEEEESI_EEEEESK_NSA_INS5_IJNSE_INSF_IiEEEESM_EEEEEPS7_SP_SP_NSC_11hip_rocprim7__merge17predicate_wrapperIiiNSC_7greaterIiEEEEEE10hipError_tPvRmT0_T1_T2_T3_T4_T5_mmT6_P12ihipStream_tbEUlT_E0_NS1_11comp_targetILNS1_3genE10ELNS1_11target_archE1201ELNS1_3gpuE5ELNS1_3repE0EEENS1_30default_config_static_selectorELNS0_4arch9wavefront6targetE0EEEvS10_
	.globl	_ZN7rocprim17ROCPRIM_400000_NS6detail17trampoline_kernelINS0_14default_configENS1_21merge_config_selectorINS0_5tupleIJiiEEENS0_10empty_typeEEEZNS1_10merge_implIS3_NS0_12zip_iteratorINS5_IJN6thrust23THRUST_200600_302600_NS6detail15normal_iteratorINSC_10device_ptrIKiEEEESI_EEEEESK_NSA_INS5_IJNSE_INSF_IiEEEESM_EEEEEPS7_SP_SP_NSC_11hip_rocprim7__merge17predicate_wrapperIiiNSC_7greaterIiEEEEEE10hipError_tPvRmT0_T1_T2_T3_T4_T5_mmT6_P12ihipStream_tbEUlT_E0_NS1_11comp_targetILNS1_3genE10ELNS1_11target_archE1201ELNS1_3gpuE5ELNS1_3repE0EEENS1_30default_config_static_selectorELNS0_4arch9wavefront6targetE0EEEvS10_
	.p2align	8
	.type	_ZN7rocprim17ROCPRIM_400000_NS6detail17trampoline_kernelINS0_14default_configENS1_21merge_config_selectorINS0_5tupleIJiiEEENS0_10empty_typeEEEZNS1_10merge_implIS3_NS0_12zip_iteratorINS5_IJN6thrust23THRUST_200600_302600_NS6detail15normal_iteratorINSC_10device_ptrIKiEEEESI_EEEEESK_NSA_INS5_IJNSE_INSF_IiEEEESM_EEEEEPS7_SP_SP_NSC_11hip_rocprim7__merge17predicate_wrapperIiiNSC_7greaterIiEEEEEE10hipError_tPvRmT0_T1_T2_T3_T4_T5_mmT6_P12ihipStream_tbEUlT_E0_NS1_11comp_targetILNS1_3genE10ELNS1_11target_archE1201ELNS1_3gpuE5ELNS1_3repE0EEENS1_30default_config_static_selectorELNS0_4arch9wavefront6targetE0EEEvS10_,@function
_ZN7rocprim17ROCPRIM_400000_NS6detail17trampoline_kernelINS0_14default_configENS1_21merge_config_selectorINS0_5tupleIJiiEEENS0_10empty_typeEEEZNS1_10merge_implIS3_NS0_12zip_iteratorINS5_IJN6thrust23THRUST_200600_302600_NS6detail15normal_iteratorINSC_10device_ptrIKiEEEESI_EEEEESK_NSA_INS5_IJNSE_INSF_IiEEEESM_EEEEEPS7_SP_SP_NSC_11hip_rocprim7__merge17predicate_wrapperIiiNSC_7greaterIiEEEEEE10hipError_tPvRmT0_T1_T2_T3_T4_T5_mmT6_P12ihipStream_tbEUlT_E0_NS1_11comp_targetILNS1_3genE10ELNS1_11target_archE1201ELNS1_3gpuE5ELNS1_3repE0EEENS1_30default_config_static_selectorELNS0_4arch9wavefront6targetE0EEEvS10_: ; @_ZN7rocprim17ROCPRIM_400000_NS6detail17trampoline_kernelINS0_14default_configENS1_21merge_config_selectorINS0_5tupleIJiiEEENS0_10empty_typeEEEZNS1_10merge_implIS3_NS0_12zip_iteratorINS5_IJN6thrust23THRUST_200600_302600_NS6detail15normal_iteratorINSC_10device_ptrIKiEEEESI_EEEEESK_NSA_INS5_IJNSE_INSF_IiEEEESM_EEEEEPS7_SP_SP_NSC_11hip_rocprim7__merge17predicate_wrapperIiiNSC_7greaterIiEEEEEE10hipError_tPvRmT0_T1_T2_T3_T4_T5_mmT6_P12ihipStream_tbEUlT_E0_NS1_11comp_targetILNS1_3genE10ELNS1_11target_archE1201ELNS1_3gpuE5ELNS1_3repE0EEENS1_30default_config_static_selectorELNS0_4arch9wavefront6targetE0EEEvS10_
; %bb.0:
	.section	.rodata,"a",@progbits
	.p2align	6, 0x0
	.amdhsa_kernel _ZN7rocprim17ROCPRIM_400000_NS6detail17trampoline_kernelINS0_14default_configENS1_21merge_config_selectorINS0_5tupleIJiiEEENS0_10empty_typeEEEZNS1_10merge_implIS3_NS0_12zip_iteratorINS5_IJN6thrust23THRUST_200600_302600_NS6detail15normal_iteratorINSC_10device_ptrIKiEEEESI_EEEEESK_NSA_INS5_IJNSE_INSF_IiEEEESM_EEEEEPS7_SP_SP_NSC_11hip_rocprim7__merge17predicate_wrapperIiiNSC_7greaterIiEEEEEE10hipError_tPvRmT0_T1_T2_T3_T4_T5_mmT6_P12ihipStream_tbEUlT_E0_NS1_11comp_targetILNS1_3genE10ELNS1_11target_archE1201ELNS1_3gpuE5ELNS1_3repE0EEENS1_30default_config_static_selectorELNS0_4arch9wavefront6targetE0EEEvS10_
		.amdhsa_group_segment_fixed_size 0
		.amdhsa_private_segment_fixed_size 0
		.amdhsa_kernarg_size 112
		.amdhsa_user_sgpr_count 2
		.amdhsa_user_sgpr_dispatch_ptr 0
		.amdhsa_user_sgpr_queue_ptr 0
		.amdhsa_user_sgpr_kernarg_segment_ptr 1
		.amdhsa_user_sgpr_dispatch_id 0
		.amdhsa_user_sgpr_kernarg_preload_length 0
		.amdhsa_user_sgpr_kernarg_preload_offset 0
		.amdhsa_user_sgpr_private_segment_size 0
		.amdhsa_wavefront_size32 1
		.amdhsa_uses_dynamic_stack 0
		.amdhsa_enable_private_segment 0
		.amdhsa_system_sgpr_workgroup_id_x 1
		.amdhsa_system_sgpr_workgroup_id_y 0
		.amdhsa_system_sgpr_workgroup_id_z 0
		.amdhsa_system_sgpr_workgroup_info 0
		.amdhsa_system_vgpr_workitem_id 0
		.amdhsa_next_free_vgpr 1
		.amdhsa_next_free_sgpr 1
		.amdhsa_named_barrier_count 0
		.amdhsa_reserve_vcc 0
		.amdhsa_float_round_mode_32 0
		.amdhsa_float_round_mode_16_64 0
		.amdhsa_float_denorm_mode_32 3
		.amdhsa_float_denorm_mode_16_64 3
		.amdhsa_fp16_overflow 0
		.amdhsa_memory_ordered 1
		.amdhsa_forward_progress 1
		.amdhsa_inst_pref_size 0
		.amdhsa_round_robin_scheduling 0
		.amdhsa_exception_fp_ieee_invalid_op 0
		.amdhsa_exception_fp_denorm_src 0
		.amdhsa_exception_fp_ieee_div_zero 0
		.amdhsa_exception_fp_ieee_overflow 0
		.amdhsa_exception_fp_ieee_underflow 0
		.amdhsa_exception_fp_ieee_inexact 0
		.amdhsa_exception_int_div_zero 0
	.end_amdhsa_kernel
	.section	.text._ZN7rocprim17ROCPRIM_400000_NS6detail17trampoline_kernelINS0_14default_configENS1_21merge_config_selectorINS0_5tupleIJiiEEENS0_10empty_typeEEEZNS1_10merge_implIS3_NS0_12zip_iteratorINS5_IJN6thrust23THRUST_200600_302600_NS6detail15normal_iteratorINSC_10device_ptrIKiEEEESI_EEEEESK_NSA_INS5_IJNSE_INSF_IiEEEESM_EEEEEPS7_SP_SP_NSC_11hip_rocprim7__merge17predicate_wrapperIiiNSC_7greaterIiEEEEEE10hipError_tPvRmT0_T1_T2_T3_T4_T5_mmT6_P12ihipStream_tbEUlT_E0_NS1_11comp_targetILNS1_3genE10ELNS1_11target_archE1201ELNS1_3gpuE5ELNS1_3repE0EEENS1_30default_config_static_selectorELNS0_4arch9wavefront6targetE0EEEvS10_,"axG",@progbits,_ZN7rocprim17ROCPRIM_400000_NS6detail17trampoline_kernelINS0_14default_configENS1_21merge_config_selectorINS0_5tupleIJiiEEENS0_10empty_typeEEEZNS1_10merge_implIS3_NS0_12zip_iteratorINS5_IJN6thrust23THRUST_200600_302600_NS6detail15normal_iteratorINSC_10device_ptrIKiEEEESI_EEEEESK_NSA_INS5_IJNSE_INSF_IiEEEESM_EEEEEPS7_SP_SP_NSC_11hip_rocprim7__merge17predicate_wrapperIiiNSC_7greaterIiEEEEEE10hipError_tPvRmT0_T1_T2_T3_T4_T5_mmT6_P12ihipStream_tbEUlT_E0_NS1_11comp_targetILNS1_3genE10ELNS1_11target_archE1201ELNS1_3gpuE5ELNS1_3repE0EEENS1_30default_config_static_selectorELNS0_4arch9wavefront6targetE0EEEvS10_,comdat
.Lfunc_end439:
	.size	_ZN7rocprim17ROCPRIM_400000_NS6detail17trampoline_kernelINS0_14default_configENS1_21merge_config_selectorINS0_5tupleIJiiEEENS0_10empty_typeEEEZNS1_10merge_implIS3_NS0_12zip_iteratorINS5_IJN6thrust23THRUST_200600_302600_NS6detail15normal_iteratorINSC_10device_ptrIKiEEEESI_EEEEESK_NSA_INS5_IJNSE_INSF_IiEEEESM_EEEEEPS7_SP_SP_NSC_11hip_rocprim7__merge17predicate_wrapperIiiNSC_7greaterIiEEEEEE10hipError_tPvRmT0_T1_T2_T3_T4_T5_mmT6_P12ihipStream_tbEUlT_E0_NS1_11comp_targetILNS1_3genE10ELNS1_11target_archE1201ELNS1_3gpuE5ELNS1_3repE0EEENS1_30default_config_static_selectorELNS0_4arch9wavefront6targetE0EEEvS10_, .Lfunc_end439-_ZN7rocprim17ROCPRIM_400000_NS6detail17trampoline_kernelINS0_14default_configENS1_21merge_config_selectorINS0_5tupleIJiiEEENS0_10empty_typeEEEZNS1_10merge_implIS3_NS0_12zip_iteratorINS5_IJN6thrust23THRUST_200600_302600_NS6detail15normal_iteratorINSC_10device_ptrIKiEEEESI_EEEEESK_NSA_INS5_IJNSE_INSF_IiEEEESM_EEEEEPS7_SP_SP_NSC_11hip_rocprim7__merge17predicate_wrapperIiiNSC_7greaterIiEEEEEE10hipError_tPvRmT0_T1_T2_T3_T4_T5_mmT6_P12ihipStream_tbEUlT_E0_NS1_11comp_targetILNS1_3genE10ELNS1_11target_archE1201ELNS1_3gpuE5ELNS1_3repE0EEENS1_30default_config_static_selectorELNS0_4arch9wavefront6targetE0EEEvS10_
                                        ; -- End function
	.set _ZN7rocprim17ROCPRIM_400000_NS6detail17trampoline_kernelINS0_14default_configENS1_21merge_config_selectorINS0_5tupleIJiiEEENS0_10empty_typeEEEZNS1_10merge_implIS3_NS0_12zip_iteratorINS5_IJN6thrust23THRUST_200600_302600_NS6detail15normal_iteratorINSC_10device_ptrIKiEEEESI_EEEEESK_NSA_INS5_IJNSE_INSF_IiEEEESM_EEEEEPS7_SP_SP_NSC_11hip_rocprim7__merge17predicate_wrapperIiiNSC_7greaterIiEEEEEE10hipError_tPvRmT0_T1_T2_T3_T4_T5_mmT6_P12ihipStream_tbEUlT_E0_NS1_11comp_targetILNS1_3genE10ELNS1_11target_archE1201ELNS1_3gpuE5ELNS1_3repE0EEENS1_30default_config_static_selectorELNS0_4arch9wavefront6targetE0EEEvS10_.num_vgpr, 0
	.set _ZN7rocprim17ROCPRIM_400000_NS6detail17trampoline_kernelINS0_14default_configENS1_21merge_config_selectorINS0_5tupleIJiiEEENS0_10empty_typeEEEZNS1_10merge_implIS3_NS0_12zip_iteratorINS5_IJN6thrust23THRUST_200600_302600_NS6detail15normal_iteratorINSC_10device_ptrIKiEEEESI_EEEEESK_NSA_INS5_IJNSE_INSF_IiEEEESM_EEEEEPS7_SP_SP_NSC_11hip_rocprim7__merge17predicate_wrapperIiiNSC_7greaterIiEEEEEE10hipError_tPvRmT0_T1_T2_T3_T4_T5_mmT6_P12ihipStream_tbEUlT_E0_NS1_11comp_targetILNS1_3genE10ELNS1_11target_archE1201ELNS1_3gpuE5ELNS1_3repE0EEENS1_30default_config_static_selectorELNS0_4arch9wavefront6targetE0EEEvS10_.num_agpr, 0
	.set _ZN7rocprim17ROCPRIM_400000_NS6detail17trampoline_kernelINS0_14default_configENS1_21merge_config_selectorINS0_5tupleIJiiEEENS0_10empty_typeEEEZNS1_10merge_implIS3_NS0_12zip_iteratorINS5_IJN6thrust23THRUST_200600_302600_NS6detail15normal_iteratorINSC_10device_ptrIKiEEEESI_EEEEESK_NSA_INS5_IJNSE_INSF_IiEEEESM_EEEEEPS7_SP_SP_NSC_11hip_rocprim7__merge17predicate_wrapperIiiNSC_7greaterIiEEEEEE10hipError_tPvRmT0_T1_T2_T3_T4_T5_mmT6_P12ihipStream_tbEUlT_E0_NS1_11comp_targetILNS1_3genE10ELNS1_11target_archE1201ELNS1_3gpuE5ELNS1_3repE0EEENS1_30default_config_static_selectorELNS0_4arch9wavefront6targetE0EEEvS10_.numbered_sgpr, 0
	.set _ZN7rocprim17ROCPRIM_400000_NS6detail17trampoline_kernelINS0_14default_configENS1_21merge_config_selectorINS0_5tupleIJiiEEENS0_10empty_typeEEEZNS1_10merge_implIS3_NS0_12zip_iteratorINS5_IJN6thrust23THRUST_200600_302600_NS6detail15normal_iteratorINSC_10device_ptrIKiEEEESI_EEEEESK_NSA_INS5_IJNSE_INSF_IiEEEESM_EEEEEPS7_SP_SP_NSC_11hip_rocprim7__merge17predicate_wrapperIiiNSC_7greaterIiEEEEEE10hipError_tPvRmT0_T1_T2_T3_T4_T5_mmT6_P12ihipStream_tbEUlT_E0_NS1_11comp_targetILNS1_3genE10ELNS1_11target_archE1201ELNS1_3gpuE5ELNS1_3repE0EEENS1_30default_config_static_selectorELNS0_4arch9wavefront6targetE0EEEvS10_.num_named_barrier, 0
	.set _ZN7rocprim17ROCPRIM_400000_NS6detail17trampoline_kernelINS0_14default_configENS1_21merge_config_selectorINS0_5tupleIJiiEEENS0_10empty_typeEEEZNS1_10merge_implIS3_NS0_12zip_iteratorINS5_IJN6thrust23THRUST_200600_302600_NS6detail15normal_iteratorINSC_10device_ptrIKiEEEESI_EEEEESK_NSA_INS5_IJNSE_INSF_IiEEEESM_EEEEEPS7_SP_SP_NSC_11hip_rocprim7__merge17predicate_wrapperIiiNSC_7greaterIiEEEEEE10hipError_tPvRmT0_T1_T2_T3_T4_T5_mmT6_P12ihipStream_tbEUlT_E0_NS1_11comp_targetILNS1_3genE10ELNS1_11target_archE1201ELNS1_3gpuE5ELNS1_3repE0EEENS1_30default_config_static_selectorELNS0_4arch9wavefront6targetE0EEEvS10_.private_seg_size, 0
	.set _ZN7rocprim17ROCPRIM_400000_NS6detail17trampoline_kernelINS0_14default_configENS1_21merge_config_selectorINS0_5tupleIJiiEEENS0_10empty_typeEEEZNS1_10merge_implIS3_NS0_12zip_iteratorINS5_IJN6thrust23THRUST_200600_302600_NS6detail15normal_iteratorINSC_10device_ptrIKiEEEESI_EEEEESK_NSA_INS5_IJNSE_INSF_IiEEEESM_EEEEEPS7_SP_SP_NSC_11hip_rocprim7__merge17predicate_wrapperIiiNSC_7greaterIiEEEEEE10hipError_tPvRmT0_T1_T2_T3_T4_T5_mmT6_P12ihipStream_tbEUlT_E0_NS1_11comp_targetILNS1_3genE10ELNS1_11target_archE1201ELNS1_3gpuE5ELNS1_3repE0EEENS1_30default_config_static_selectorELNS0_4arch9wavefront6targetE0EEEvS10_.uses_vcc, 0
	.set _ZN7rocprim17ROCPRIM_400000_NS6detail17trampoline_kernelINS0_14default_configENS1_21merge_config_selectorINS0_5tupleIJiiEEENS0_10empty_typeEEEZNS1_10merge_implIS3_NS0_12zip_iteratorINS5_IJN6thrust23THRUST_200600_302600_NS6detail15normal_iteratorINSC_10device_ptrIKiEEEESI_EEEEESK_NSA_INS5_IJNSE_INSF_IiEEEESM_EEEEEPS7_SP_SP_NSC_11hip_rocprim7__merge17predicate_wrapperIiiNSC_7greaterIiEEEEEE10hipError_tPvRmT0_T1_T2_T3_T4_T5_mmT6_P12ihipStream_tbEUlT_E0_NS1_11comp_targetILNS1_3genE10ELNS1_11target_archE1201ELNS1_3gpuE5ELNS1_3repE0EEENS1_30default_config_static_selectorELNS0_4arch9wavefront6targetE0EEEvS10_.uses_flat_scratch, 0
	.set _ZN7rocprim17ROCPRIM_400000_NS6detail17trampoline_kernelINS0_14default_configENS1_21merge_config_selectorINS0_5tupleIJiiEEENS0_10empty_typeEEEZNS1_10merge_implIS3_NS0_12zip_iteratorINS5_IJN6thrust23THRUST_200600_302600_NS6detail15normal_iteratorINSC_10device_ptrIKiEEEESI_EEEEESK_NSA_INS5_IJNSE_INSF_IiEEEESM_EEEEEPS7_SP_SP_NSC_11hip_rocprim7__merge17predicate_wrapperIiiNSC_7greaterIiEEEEEE10hipError_tPvRmT0_T1_T2_T3_T4_T5_mmT6_P12ihipStream_tbEUlT_E0_NS1_11comp_targetILNS1_3genE10ELNS1_11target_archE1201ELNS1_3gpuE5ELNS1_3repE0EEENS1_30default_config_static_selectorELNS0_4arch9wavefront6targetE0EEEvS10_.has_dyn_sized_stack, 0
	.set _ZN7rocprim17ROCPRIM_400000_NS6detail17trampoline_kernelINS0_14default_configENS1_21merge_config_selectorINS0_5tupleIJiiEEENS0_10empty_typeEEEZNS1_10merge_implIS3_NS0_12zip_iteratorINS5_IJN6thrust23THRUST_200600_302600_NS6detail15normal_iteratorINSC_10device_ptrIKiEEEESI_EEEEESK_NSA_INS5_IJNSE_INSF_IiEEEESM_EEEEEPS7_SP_SP_NSC_11hip_rocprim7__merge17predicate_wrapperIiiNSC_7greaterIiEEEEEE10hipError_tPvRmT0_T1_T2_T3_T4_T5_mmT6_P12ihipStream_tbEUlT_E0_NS1_11comp_targetILNS1_3genE10ELNS1_11target_archE1201ELNS1_3gpuE5ELNS1_3repE0EEENS1_30default_config_static_selectorELNS0_4arch9wavefront6targetE0EEEvS10_.has_recursion, 0
	.set _ZN7rocprim17ROCPRIM_400000_NS6detail17trampoline_kernelINS0_14default_configENS1_21merge_config_selectorINS0_5tupleIJiiEEENS0_10empty_typeEEEZNS1_10merge_implIS3_NS0_12zip_iteratorINS5_IJN6thrust23THRUST_200600_302600_NS6detail15normal_iteratorINSC_10device_ptrIKiEEEESI_EEEEESK_NSA_INS5_IJNSE_INSF_IiEEEESM_EEEEEPS7_SP_SP_NSC_11hip_rocprim7__merge17predicate_wrapperIiiNSC_7greaterIiEEEEEE10hipError_tPvRmT0_T1_T2_T3_T4_T5_mmT6_P12ihipStream_tbEUlT_E0_NS1_11comp_targetILNS1_3genE10ELNS1_11target_archE1201ELNS1_3gpuE5ELNS1_3repE0EEENS1_30default_config_static_selectorELNS0_4arch9wavefront6targetE0EEEvS10_.has_indirect_call, 0
	.section	.AMDGPU.csdata,"",@progbits
; Kernel info:
; codeLenInByte = 0
; TotalNumSgprs: 0
; NumVgprs: 0
; ScratchSize: 0
; MemoryBound: 0
; FloatMode: 240
; IeeeMode: 1
; LDSByteSize: 0 bytes/workgroup (compile time only)
; SGPRBlocks: 0
; VGPRBlocks: 0
; NumSGPRsForWavesPerEU: 1
; NumVGPRsForWavesPerEU: 1
; NamedBarCnt: 0
; Occupancy: 16
; WaveLimiterHint : 0
; COMPUTE_PGM_RSRC2:SCRATCH_EN: 0
; COMPUTE_PGM_RSRC2:USER_SGPR: 2
; COMPUTE_PGM_RSRC2:TRAP_HANDLER: 0
; COMPUTE_PGM_RSRC2:TGID_X_EN: 1
; COMPUTE_PGM_RSRC2:TGID_Y_EN: 0
; COMPUTE_PGM_RSRC2:TGID_Z_EN: 0
; COMPUTE_PGM_RSRC2:TIDIG_COMP_CNT: 0
	.section	.text._ZN7rocprim17ROCPRIM_400000_NS6detail17trampoline_kernelINS0_14default_configENS1_21merge_config_selectorINS0_5tupleIJiiEEENS0_10empty_typeEEEZNS1_10merge_implIS3_NS0_12zip_iteratorINS5_IJN6thrust23THRUST_200600_302600_NS6detail15normal_iteratorINSC_10device_ptrIKiEEEESI_EEEEESK_NSA_INS5_IJNSE_INSF_IiEEEESM_EEEEEPS7_SP_SP_NSC_11hip_rocprim7__merge17predicate_wrapperIiiNSC_7greaterIiEEEEEE10hipError_tPvRmT0_T1_T2_T3_T4_T5_mmT6_P12ihipStream_tbEUlT_E0_NS1_11comp_targetILNS1_3genE10ELNS1_11target_archE1200ELNS1_3gpuE4ELNS1_3repE0EEENS1_30default_config_static_selectorELNS0_4arch9wavefront6targetE0EEEvS10_,"axG",@progbits,_ZN7rocprim17ROCPRIM_400000_NS6detail17trampoline_kernelINS0_14default_configENS1_21merge_config_selectorINS0_5tupleIJiiEEENS0_10empty_typeEEEZNS1_10merge_implIS3_NS0_12zip_iteratorINS5_IJN6thrust23THRUST_200600_302600_NS6detail15normal_iteratorINSC_10device_ptrIKiEEEESI_EEEEESK_NSA_INS5_IJNSE_INSF_IiEEEESM_EEEEEPS7_SP_SP_NSC_11hip_rocprim7__merge17predicate_wrapperIiiNSC_7greaterIiEEEEEE10hipError_tPvRmT0_T1_T2_T3_T4_T5_mmT6_P12ihipStream_tbEUlT_E0_NS1_11comp_targetILNS1_3genE10ELNS1_11target_archE1200ELNS1_3gpuE4ELNS1_3repE0EEENS1_30default_config_static_selectorELNS0_4arch9wavefront6targetE0EEEvS10_,comdat
	.protected	_ZN7rocprim17ROCPRIM_400000_NS6detail17trampoline_kernelINS0_14default_configENS1_21merge_config_selectorINS0_5tupleIJiiEEENS0_10empty_typeEEEZNS1_10merge_implIS3_NS0_12zip_iteratorINS5_IJN6thrust23THRUST_200600_302600_NS6detail15normal_iteratorINSC_10device_ptrIKiEEEESI_EEEEESK_NSA_INS5_IJNSE_INSF_IiEEEESM_EEEEEPS7_SP_SP_NSC_11hip_rocprim7__merge17predicate_wrapperIiiNSC_7greaterIiEEEEEE10hipError_tPvRmT0_T1_T2_T3_T4_T5_mmT6_P12ihipStream_tbEUlT_E0_NS1_11comp_targetILNS1_3genE10ELNS1_11target_archE1200ELNS1_3gpuE4ELNS1_3repE0EEENS1_30default_config_static_selectorELNS0_4arch9wavefront6targetE0EEEvS10_ ; -- Begin function _ZN7rocprim17ROCPRIM_400000_NS6detail17trampoline_kernelINS0_14default_configENS1_21merge_config_selectorINS0_5tupleIJiiEEENS0_10empty_typeEEEZNS1_10merge_implIS3_NS0_12zip_iteratorINS5_IJN6thrust23THRUST_200600_302600_NS6detail15normal_iteratorINSC_10device_ptrIKiEEEESI_EEEEESK_NSA_INS5_IJNSE_INSF_IiEEEESM_EEEEEPS7_SP_SP_NSC_11hip_rocprim7__merge17predicate_wrapperIiiNSC_7greaterIiEEEEEE10hipError_tPvRmT0_T1_T2_T3_T4_T5_mmT6_P12ihipStream_tbEUlT_E0_NS1_11comp_targetILNS1_3genE10ELNS1_11target_archE1200ELNS1_3gpuE4ELNS1_3repE0EEENS1_30default_config_static_selectorELNS0_4arch9wavefront6targetE0EEEvS10_
	.globl	_ZN7rocprim17ROCPRIM_400000_NS6detail17trampoline_kernelINS0_14default_configENS1_21merge_config_selectorINS0_5tupleIJiiEEENS0_10empty_typeEEEZNS1_10merge_implIS3_NS0_12zip_iteratorINS5_IJN6thrust23THRUST_200600_302600_NS6detail15normal_iteratorINSC_10device_ptrIKiEEEESI_EEEEESK_NSA_INS5_IJNSE_INSF_IiEEEESM_EEEEEPS7_SP_SP_NSC_11hip_rocprim7__merge17predicate_wrapperIiiNSC_7greaterIiEEEEEE10hipError_tPvRmT0_T1_T2_T3_T4_T5_mmT6_P12ihipStream_tbEUlT_E0_NS1_11comp_targetILNS1_3genE10ELNS1_11target_archE1200ELNS1_3gpuE4ELNS1_3repE0EEENS1_30default_config_static_selectorELNS0_4arch9wavefront6targetE0EEEvS10_
	.p2align	8
	.type	_ZN7rocprim17ROCPRIM_400000_NS6detail17trampoline_kernelINS0_14default_configENS1_21merge_config_selectorINS0_5tupleIJiiEEENS0_10empty_typeEEEZNS1_10merge_implIS3_NS0_12zip_iteratorINS5_IJN6thrust23THRUST_200600_302600_NS6detail15normal_iteratorINSC_10device_ptrIKiEEEESI_EEEEESK_NSA_INS5_IJNSE_INSF_IiEEEESM_EEEEEPS7_SP_SP_NSC_11hip_rocprim7__merge17predicate_wrapperIiiNSC_7greaterIiEEEEEE10hipError_tPvRmT0_T1_T2_T3_T4_T5_mmT6_P12ihipStream_tbEUlT_E0_NS1_11comp_targetILNS1_3genE10ELNS1_11target_archE1200ELNS1_3gpuE4ELNS1_3repE0EEENS1_30default_config_static_selectorELNS0_4arch9wavefront6targetE0EEEvS10_,@function
_ZN7rocprim17ROCPRIM_400000_NS6detail17trampoline_kernelINS0_14default_configENS1_21merge_config_selectorINS0_5tupleIJiiEEENS0_10empty_typeEEEZNS1_10merge_implIS3_NS0_12zip_iteratorINS5_IJN6thrust23THRUST_200600_302600_NS6detail15normal_iteratorINSC_10device_ptrIKiEEEESI_EEEEESK_NSA_INS5_IJNSE_INSF_IiEEEESM_EEEEEPS7_SP_SP_NSC_11hip_rocprim7__merge17predicate_wrapperIiiNSC_7greaterIiEEEEEE10hipError_tPvRmT0_T1_T2_T3_T4_T5_mmT6_P12ihipStream_tbEUlT_E0_NS1_11comp_targetILNS1_3genE10ELNS1_11target_archE1200ELNS1_3gpuE4ELNS1_3repE0EEENS1_30default_config_static_selectorELNS0_4arch9wavefront6targetE0EEEvS10_: ; @_ZN7rocprim17ROCPRIM_400000_NS6detail17trampoline_kernelINS0_14default_configENS1_21merge_config_selectorINS0_5tupleIJiiEEENS0_10empty_typeEEEZNS1_10merge_implIS3_NS0_12zip_iteratorINS5_IJN6thrust23THRUST_200600_302600_NS6detail15normal_iteratorINSC_10device_ptrIKiEEEESI_EEEEESK_NSA_INS5_IJNSE_INSF_IiEEEESM_EEEEEPS7_SP_SP_NSC_11hip_rocprim7__merge17predicate_wrapperIiiNSC_7greaterIiEEEEEE10hipError_tPvRmT0_T1_T2_T3_T4_T5_mmT6_P12ihipStream_tbEUlT_E0_NS1_11comp_targetILNS1_3genE10ELNS1_11target_archE1200ELNS1_3gpuE4ELNS1_3repE0EEENS1_30default_config_static_selectorELNS0_4arch9wavefront6targetE0EEEvS10_
; %bb.0:
	.section	.rodata,"a",@progbits
	.p2align	6, 0x0
	.amdhsa_kernel _ZN7rocprim17ROCPRIM_400000_NS6detail17trampoline_kernelINS0_14default_configENS1_21merge_config_selectorINS0_5tupleIJiiEEENS0_10empty_typeEEEZNS1_10merge_implIS3_NS0_12zip_iteratorINS5_IJN6thrust23THRUST_200600_302600_NS6detail15normal_iteratorINSC_10device_ptrIKiEEEESI_EEEEESK_NSA_INS5_IJNSE_INSF_IiEEEESM_EEEEEPS7_SP_SP_NSC_11hip_rocprim7__merge17predicate_wrapperIiiNSC_7greaterIiEEEEEE10hipError_tPvRmT0_T1_T2_T3_T4_T5_mmT6_P12ihipStream_tbEUlT_E0_NS1_11comp_targetILNS1_3genE10ELNS1_11target_archE1200ELNS1_3gpuE4ELNS1_3repE0EEENS1_30default_config_static_selectorELNS0_4arch9wavefront6targetE0EEEvS10_
		.amdhsa_group_segment_fixed_size 0
		.amdhsa_private_segment_fixed_size 0
		.amdhsa_kernarg_size 112
		.amdhsa_user_sgpr_count 2
		.amdhsa_user_sgpr_dispatch_ptr 0
		.amdhsa_user_sgpr_queue_ptr 0
		.amdhsa_user_sgpr_kernarg_segment_ptr 1
		.amdhsa_user_sgpr_dispatch_id 0
		.amdhsa_user_sgpr_kernarg_preload_length 0
		.amdhsa_user_sgpr_kernarg_preload_offset 0
		.amdhsa_user_sgpr_private_segment_size 0
		.amdhsa_wavefront_size32 1
		.amdhsa_uses_dynamic_stack 0
		.amdhsa_enable_private_segment 0
		.amdhsa_system_sgpr_workgroup_id_x 1
		.amdhsa_system_sgpr_workgroup_id_y 0
		.amdhsa_system_sgpr_workgroup_id_z 0
		.amdhsa_system_sgpr_workgroup_info 0
		.amdhsa_system_vgpr_workitem_id 0
		.amdhsa_next_free_vgpr 1
		.amdhsa_next_free_sgpr 1
		.amdhsa_named_barrier_count 0
		.amdhsa_reserve_vcc 0
		.amdhsa_float_round_mode_32 0
		.amdhsa_float_round_mode_16_64 0
		.amdhsa_float_denorm_mode_32 3
		.amdhsa_float_denorm_mode_16_64 3
		.amdhsa_fp16_overflow 0
		.amdhsa_memory_ordered 1
		.amdhsa_forward_progress 1
		.amdhsa_inst_pref_size 0
		.amdhsa_round_robin_scheduling 0
		.amdhsa_exception_fp_ieee_invalid_op 0
		.amdhsa_exception_fp_denorm_src 0
		.amdhsa_exception_fp_ieee_div_zero 0
		.amdhsa_exception_fp_ieee_overflow 0
		.amdhsa_exception_fp_ieee_underflow 0
		.amdhsa_exception_fp_ieee_inexact 0
		.amdhsa_exception_int_div_zero 0
	.end_amdhsa_kernel
	.section	.text._ZN7rocprim17ROCPRIM_400000_NS6detail17trampoline_kernelINS0_14default_configENS1_21merge_config_selectorINS0_5tupleIJiiEEENS0_10empty_typeEEEZNS1_10merge_implIS3_NS0_12zip_iteratorINS5_IJN6thrust23THRUST_200600_302600_NS6detail15normal_iteratorINSC_10device_ptrIKiEEEESI_EEEEESK_NSA_INS5_IJNSE_INSF_IiEEEESM_EEEEEPS7_SP_SP_NSC_11hip_rocprim7__merge17predicate_wrapperIiiNSC_7greaterIiEEEEEE10hipError_tPvRmT0_T1_T2_T3_T4_T5_mmT6_P12ihipStream_tbEUlT_E0_NS1_11comp_targetILNS1_3genE10ELNS1_11target_archE1200ELNS1_3gpuE4ELNS1_3repE0EEENS1_30default_config_static_selectorELNS0_4arch9wavefront6targetE0EEEvS10_,"axG",@progbits,_ZN7rocprim17ROCPRIM_400000_NS6detail17trampoline_kernelINS0_14default_configENS1_21merge_config_selectorINS0_5tupleIJiiEEENS0_10empty_typeEEEZNS1_10merge_implIS3_NS0_12zip_iteratorINS5_IJN6thrust23THRUST_200600_302600_NS6detail15normal_iteratorINSC_10device_ptrIKiEEEESI_EEEEESK_NSA_INS5_IJNSE_INSF_IiEEEESM_EEEEEPS7_SP_SP_NSC_11hip_rocprim7__merge17predicate_wrapperIiiNSC_7greaterIiEEEEEE10hipError_tPvRmT0_T1_T2_T3_T4_T5_mmT6_P12ihipStream_tbEUlT_E0_NS1_11comp_targetILNS1_3genE10ELNS1_11target_archE1200ELNS1_3gpuE4ELNS1_3repE0EEENS1_30default_config_static_selectorELNS0_4arch9wavefront6targetE0EEEvS10_,comdat
.Lfunc_end440:
	.size	_ZN7rocprim17ROCPRIM_400000_NS6detail17trampoline_kernelINS0_14default_configENS1_21merge_config_selectorINS0_5tupleIJiiEEENS0_10empty_typeEEEZNS1_10merge_implIS3_NS0_12zip_iteratorINS5_IJN6thrust23THRUST_200600_302600_NS6detail15normal_iteratorINSC_10device_ptrIKiEEEESI_EEEEESK_NSA_INS5_IJNSE_INSF_IiEEEESM_EEEEEPS7_SP_SP_NSC_11hip_rocprim7__merge17predicate_wrapperIiiNSC_7greaterIiEEEEEE10hipError_tPvRmT0_T1_T2_T3_T4_T5_mmT6_P12ihipStream_tbEUlT_E0_NS1_11comp_targetILNS1_3genE10ELNS1_11target_archE1200ELNS1_3gpuE4ELNS1_3repE0EEENS1_30default_config_static_selectorELNS0_4arch9wavefront6targetE0EEEvS10_, .Lfunc_end440-_ZN7rocprim17ROCPRIM_400000_NS6detail17trampoline_kernelINS0_14default_configENS1_21merge_config_selectorINS0_5tupleIJiiEEENS0_10empty_typeEEEZNS1_10merge_implIS3_NS0_12zip_iteratorINS5_IJN6thrust23THRUST_200600_302600_NS6detail15normal_iteratorINSC_10device_ptrIKiEEEESI_EEEEESK_NSA_INS5_IJNSE_INSF_IiEEEESM_EEEEEPS7_SP_SP_NSC_11hip_rocprim7__merge17predicate_wrapperIiiNSC_7greaterIiEEEEEE10hipError_tPvRmT0_T1_T2_T3_T4_T5_mmT6_P12ihipStream_tbEUlT_E0_NS1_11comp_targetILNS1_3genE10ELNS1_11target_archE1200ELNS1_3gpuE4ELNS1_3repE0EEENS1_30default_config_static_selectorELNS0_4arch9wavefront6targetE0EEEvS10_
                                        ; -- End function
	.set _ZN7rocprim17ROCPRIM_400000_NS6detail17trampoline_kernelINS0_14default_configENS1_21merge_config_selectorINS0_5tupleIJiiEEENS0_10empty_typeEEEZNS1_10merge_implIS3_NS0_12zip_iteratorINS5_IJN6thrust23THRUST_200600_302600_NS6detail15normal_iteratorINSC_10device_ptrIKiEEEESI_EEEEESK_NSA_INS5_IJNSE_INSF_IiEEEESM_EEEEEPS7_SP_SP_NSC_11hip_rocprim7__merge17predicate_wrapperIiiNSC_7greaterIiEEEEEE10hipError_tPvRmT0_T1_T2_T3_T4_T5_mmT6_P12ihipStream_tbEUlT_E0_NS1_11comp_targetILNS1_3genE10ELNS1_11target_archE1200ELNS1_3gpuE4ELNS1_3repE0EEENS1_30default_config_static_selectorELNS0_4arch9wavefront6targetE0EEEvS10_.num_vgpr, 0
	.set _ZN7rocprim17ROCPRIM_400000_NS6detail17trampoline_kernelINS0_14default_configENS1_21merge_config_selectorINS0_5tupleIJiiEEENS0_10empty_typeEEEZNS1_10merge_implIS3_NS0_12zip_iteratorINS5_IJN6thrust23THRUST_200600_302600_NS6detail15normal_iteratorINSC_10device_ptrIKiEEEESI_EEEEESK_NSA_INS5_IJNSE_INSF_IiEEEESM_EEEEEPS7_SP_SP_NSC_11hip_rocprim7__merge17predicate_wrapperIiiNSC_7greaterIiEEEEEE10hipError_tPvRmT0_T1_T2_T3_T4_T5_mmT6_P12ihipStream_tbEUlT_E0_NS1_11comp_targetILNS1_3genE10ELNS1_11target_archE1200ELNS1_3gpuE4ELNS1_3repE0EEENS1_30default_config_static_selectorELNS0_4arch9wavefront6targetE0EEEvS10_.num_agpr, 0
	.set _ZN7rocprim17ROCPRIM_400000_NS6detail17trampoline_kernelINS0_14default_configENS1_21merge_config_selectorINS0_5tupleIJiiEEENS0_10empty_typeEEEZNS1_10merge_implIS3_NS0_12zip_iteratorINS5_IJN6thrust23THRUST_200600_302600_NS6detail15normal_iteratorINSC_10device_ptrIKiEEEESI_EEEEESK_NSA_INS5_IJNSE_INSF_IiEEEESM_EEEEEPS7_SP_SP_NSC_11hip_rocprim7__merge17predicate_wrapperIiiNSC_7greaterIiEEEEEE10hipError_tPvRmT0_T1_T2_T3_T4_T5_mmT6_P12ihipStream_tbEUlT_E0_NS1_11comp_targetILNS1_3genE10ELNS1_11target_archE1200ELNS1_3gpuE4ELNS1_3repE0EEENS1_30default_config_static_selectorELNS0_4arch9wavefront6targetE0EEEvS10_.numbered_sgpr, 0
	.set _ZN7rocprim17ROCPRIM_400000_NS6detail17trampoline_kernelINS0_14default_configENS1_21merge_config_selectorINS0_5tupleIJiiEEENS0_10empty_typeEEEZNS1_10merge_implIS3_NS0_12zip_iteratorINS5_IJN6thrust23THRUST_200600_302600_NS6detail15normal_iteratorINSC_10device_ptrIKiEEEESI_EEEEESK_NSA_INS5_IJNSE_INSF_IiEEEESM_EEEEEPS7_SP_SP_NSC_11hip_rocprim7__merge17predicate_wrapperIiiNSC_7greaterIiEEEEEE10hipError_tPvRmT0_T1_T2_T3_T4_T5_mmT6_P12ihipStream_tbEUlT_E0_NS1_11comp_targetILNS1_3genE10ELNS1_11target_archE1200ELNS1_3gpuE4ELNS1_3repE0EEENS1_30default_config_static_selectorELNS0_4arch9wavefront6targetE0EEEvS10_.num_named_barrier, 0
	.set _ZN7rocprim17ROCPRIM_400000_NS6detail17trampoline_kernelINS0_14default_configENS1_21merge_config_selectorINS0_5tupleIJiiEEENS0_10empty_typeEEEZNS1_10merge_implIS3_NS0_12zip_iteratorINS5_IJN6thrust23THRUST_200600_302600_NS6detail15normal_iteratorINSC_10device_ptrIKiEEEESI_EEEEESK_NSA_INS5_IJNSE_INSF_IiEEEESM_EEEEEPS7_SP_SP_NSC_11hip_rocprim7__merge17predicate_wrapperIiiNSC_7greaterIiEEEEEE10hipError_tPvRmT0_T1_T2_T3_T4_T5_mmT6_P12ihipStream_tbEUlT_E0_NS1_11comp_targetILNS1_3genE10ELNS1_11target_archE1200ELNS1_3gpuE4ELNS1_3repE0EEENS1_30default_config_static_selectorELNS0_4arch9wavefront6targetE0EEEvS10_.private_seg_size, 0
	.set _ZN7rocprim17ROCPRIM_400000_NS6detail17trampoline_kernelINS0_14default_configENS1_21merge_config_selectorINS0_5tupleIJiiEEENS0_10empty_typeEEEZNS1_10merge_implIS3_NS0_12zip_iteratorINS5_IJN6thrust23THRUST_200600_302600_NS6detail15normal_iteratorINSC_10device_ptrIKiEEEESI_EEEEESK_NSA_INS5_IJNSE_INSF_IiEEEESM_EEEEEPS7_SP_SP_NSC_11hip_rocprim7__merge17predicate_wrapperIiiNSC_7greaterIiEEEEEE10hipError_tPvRmT0_T1_T2_T3_T4_T5_mmT6_P12ihipStream_tbEUlT_E0_NS1_11comp_targetILNS1_3genE10ELNS1_11target_archE1200ELNS1_3gpuE4ELNS1_3repE0EEENS1_30default_config_static_selectorELNS0_4arch9wavefront6targetE0EEEvS10_.uses_vcc, 0
	.set _ZN7rocprim17ROCPRIM_400000_NS6detail17trampoline_kernelINS0_14default_configENS1_21merge_config_selectorINS0_5tupleIJiiEEENS0_10empty_typeEEEZNS1_10merge_implIS3_NS0_12zip_iteratorINS5_IJN6thrust23THRUST_200600_302600_NS6detail15normal_iteratorINSC_10device_ptrIKiEEEESI_EEEEESK_NSA_INS5_IJNSE_INSF_IiEEEESM_EEEEEPS7_SP_SP_NSC_11hip_rocprim7__merge17predicate_wrapperIiiNSC_7greaterIiEEEEEE10hipError_tPvRmT0_T1_T2_T3_T4_T5_mmT6_P12ihipStream_tbEUlT_E0_NS1_11comp_targetILNS1_3genE10ELNS1_11target_archE1200ELNS1_3gpuE4ELNS1_3repE0EEENS1_30default_config_static_selectorELNS0_4arch9wavefront6targetE0EEEvS10_.uses_flat_scratch, 0
	.set _ZN7rocprim17ROCPRIM_400000_NS6detail17trampoline_kernelINS0_14default_configENS1_21merge_config_selectorINS0_5tupleIJiiEEENS0_10empty_typeEEEZNS1_10merge_implIS3_NS0_12zip_iteratorINS5_IJN6thrust23THRUST_200600_302600_NS6detail15normal_iteratorINSC_10device_ptrIKiEEEESI_EEEEESK_NSA_INS5_IJNSE_INSF_IiEEEESM_EEEEEPS7_SP_SP_NSC_11hip_rocprim7__merge17predicate_wrapperIiiNSC_7greaterIiEEEEEE10hipError_tPvRmT0_T1_T2_T3_T4_T5_mmT6_P12ihipStream_tbEUlT_E0_NS1_11comp_targetILNS1_3genE10ELNS1_11target_archE1200ELNS1_3gpuE4ELNS1_3repE0EEENS1_30default_config_static_selectorELNS0_4arch9wavefront6targetE0EEEvS10_.has_dyn_sized_stack, 0
	.set _ZN7rocprim17ROCPRIM_400000_NS6detail17trampoline_kernelINS0_14default_configENS1_21merge_config_selectorINS0_5tupleIJiiEEENS0_10empty_typeEEEZNS1_10merge_implIS3_NS0_12zip_iteratorINS5_IJN6thrust23THRUST_200600_302600_NS6detail15normal_iteratorINSC_10device_ptrIKiEEEESI_EEEEESK_NSA_INS5_IJNSE_INSF_IiEEEESM_EEEEEPS7_SP_SP_NSC_11hip_rocprim7__merge17predicate_wrapperIiiNSC_7greaterIiEEEEEE10hipError_tPvRmT0_T1_T2_T3_T4_T5_mmT6_P12ihipStream_tbEUlT_E0_NS1_11comp_targetILNS1_3genE10ELNS1_11target_archE1200ELNS1_3gpuE4ELNS1_3repE0EEENS1_30default_config_static_selectorELNS0_4arch9wavefront6targetE0EEEvS10_.has_recursion, 0
	.set _ZN7rocprim17ROCPRIM_400000_NS6detail17trampoline_kernelINS0_14default_configENS1_21merge_config_selectorINS0_5tupleIJiiEEENS0_10empty_typeEEEZNS1_10merge_implIS3_NS0_12zip_iteratorINS5_IJN6thrust23THRUST_200600_302600_NS6detail15normal_iteratorINSC_10device_ptrIKiEEEESI_EEEEESK_NSA_INS5_IJNSE_INSF_IiEEEESM_EEEEEPS7_SP_SP_NSC_11hip_rocprim7__merge17predicate_wrapperIiiNSC_7greaterIiEEEEEE10hipError_tPvRmT0_T1_T2_T3_T4_T5_mmT6_P12ihipStream_tbEUlT_E0_NS1_11comp_targetILNS1_3genE10ELNS1_11target_archE1200ELNS1_3gpuE4ELNS1_3repE0EEENS1_30default_config_static_selectorELNS0_4arch9wavefront6targetE0EEEvS10_.has_indirect_call, 0
	.section	.AMDGPU.csdata,"",@progbits
; Kernel info:
; codeLenInByte = 0
; TotalNumSgprs: 0
; NumVgprs: 0
; ScratchSize: 0
; MemoryBound: 0
; FloatMode: 240
; IeeeMode: 1
; LDSByteSize: 0 bytes/workgroup (compile time only)
; SGPRBlocks: 0
; VGPRBlocks: 0
; NumSGPRsForWavesPerEU: 1
; NumVGPRsForWavesPerEU: 1
; NamedBarCnt: 0
; Occupancy: 16
; WaveLimiterHint : 0
; COMPUTE_PGM_RSRC2:SCRATCH_EN: 0
; COMPUTE_PGM_RSRC2:USER_SGPR: 2
; COMPUTE_PGM_RSRC2:TRAP_HANDLER: 0
; COMPUTE_PGM_RSRC2:TGID_X_EN: 1
; COMPUTE_PGM_RSRC2:TGID_Y_EN: 0
; COMPUTE_PGM_RSRC2:TGID_Z_EN: 0
; COMPUTE_PGM_RSRC2:TIDIG_COMP_CNT: 0
	.section	.text._ZN7rocprim17ROCPRIM_400000_NS6detail17trampoline_kernelINS0_14default_configENS1_21merge_config_selectorINS0_5tupleIJiiEEENS0_10empty_typeEEEZNS1_10merge_implIS3_NS0_12zip_iteratorINS5_IJN6thrust23THRUST_200600_302600_NS6detail15normal_iteratorINSC_10device_ptrIKiEEEESI_EEEEESK_NSA_INS5_IJNSE_INSF_IiEEEESM_EEEEEPS7_SP_SP_NSC_11hip_rocprim7__merge17predicate_wrapperIiiNSC_7greaterIiEEEEEE10hipError_tPvRmT0_T1_T2_T3_T4_T5_mmT6_P12ihipStream_tbEUlT_E0_NS1_11comp_targetILNS1_3genE9ELNS1_11target_archE1100ELNS1_3gpuE3ELNS1_3repE0EEENS1_30default_config_static_selectorELNS0_4arch9wavefront6targetE0EEEvS10_,"axG",@progbits,_ZN7rocprim17ROCPRIM_400000_NS6detail17trampoline_kernelINS0_14default_configENS1_21merge_config_selectorINS0_5tupleIJiiEEENS0_10empty_typeEEEZNS1_10merge_implIS3_NS0_12zip_iteratorINS5_IJN6thrust23THRUST_200600_302600_NS6detail15normal_iteratorINSC_10device_ptrIKiEEEESI_EEEEESK_NSA_INS5_IJNSE_INSF_IiEEEESM_EEEEEPS7_SP_SP_NSC_11hip_rocprim7__merge17predicate_wrapperIiiNSC_7greaterIiEEEEEE10hipError_tPvRmT0_T1_T2_T3_T4_T5_mmT6_P12ihipStream_tbEUlT_E0_NS1_11comp_targetILNS1_3genE9ELNS1_11target_archE1100ELNS1_3gpuE3ELNS1_3repE0EEENS1_30default_config_static_selectorELNS0_4arch9wavefront6targetE0EEEvS10_,comdat
	.protected	_ZN7rocprim17ROCPRIM_400000_NS6detail17trampoline_kernelINS0_14default_configENS1_21merge_config_selectorINS0_5tupleIJiiEEENS0_10empty_typeEEEZNS1_10merge_implIS3_NS0_12zip_iteratorINS5_IJN6thrust23THRUST_200600_302600_NS6detail15normal_iteratorINSC_10device_ptrIKiEEEESI_EEEEESK_NSA_INS5_IJNSE_INSF_IiEEEESM_EEEEEPS7_SP_SP_NSC_11hip_rocprim7__merge17predicate_wrapperIiiNSC_7greaterIiEEEEEE10hipError_tPvRmT0_T1_T2_T3_T4_T5_mmT6_P12ihipStream_tbEUlT_E0_NS1_11comp_targetILNS1_3genE9ELNS1_11target_archE1100ELNS1_3gpuE3ELNS1_3repE0EEENS1_30default_config_static_selectorELNS0_4arch9wavefront6targetE0EEEvS10_ ; -- Begin function _ZN7rocprim17ROCPRIM_400000_NS6detail17trampoline_kernelINS0_14default_configENS1_21merge_config_selectorINS0_5tupleIJiiEEENS0_10empty_typeEEEZNS1_10merge_implIS3_NS0_12zip_iteratorINS5_IJN6thrust23THRUST_200600_302600_NS6detail15normal_iteratorINSC_10device_ptrIKiEEEESI_EEEEESK_NSA_INS5_IJNSE_INSF_IiEEEESM_EEEEEPS7_SP_SP_NSC_11hip_rocprim7__merge17predicate_wrapperIiiNSC_7greaterIiEEEEEE10hipError_tPvRmT0_T1_T2_T3_T4_T5_mmT6_P12ihipStream_tbEUlT_E0_NS1_11comp_targetILNS1_3genE9ELNS1_11target_archE1100ELNS1_3gpuE3ELNS1_3repE0EEENS1_30default_config_static_selectorELNS0_4arch9wavefront6targetE0EEEvS10_
	.globl	_ZN7rocprim17ROCPRIM_400000_NS6detail17trampoline_kernelINS0_14default_configENS1_21merge_config_selectorINS0_5tupleIJiiEEENS0_10empty_typeEEEZNS1_10merge_implIS3_NS0_12zip_iteratorINS5_IJN6thrust23THRUST_200600_302600_NS6detail15normal_iteratorINSC_10device_ptrIKiEEEESI_EEEEESK_NSA_INS5_IJNSE_INSF_IiEEEESM_EEEEEPS7_SP_SP_NSC_11hip_rocprim7__merge17predicate_wrapperIiiNSC_7greaterIiEEEEEE10hipError_tPvRmT0_T1_T2_T3_T4_T5_mmT6_P12ihipStream_tbEUlT_E0_NS1_11comp_targetILNS1_3genE9ELNS1_11target_archE1100ELNS1_3gpuE3ELNS1_3repE0EEENS1_30default_config_static_selectorELNS0_4arch9wavefront6targetE0EEEvS10_
	.p2align	8
	.type	_ZN7rocprim17ROCPRIM_400000_NS6detail17trampoline_kernelINS0_14default_configENS1_21merge_config_selectorINS0_5tupleIJiiEEENS0_10empty_typeEEEZNS1_10merge_implIS3_NS0_12zip_iteratorINS5_IJN6thrust23THRUST_200600_302600_NS6detail15normal_iteratorINSC_10device_ptrIKiEEEESI_EEEEESK_NSA_INS5_IJNSE_INSF_IiEEEESM_EEEEEPS7_SP_SP_NSC_11hip_rocprim7__merge17predicate_wrapperIiiNSC_7greaterIiEEEEEE10hipError_tPvRmT0_T1_T2_T3_T4_T5_mmT6_P12ihipStream_tbEUlT_E0_NS1_11comp_targetILNS1_3genE9ELNS1_11target_archE1100ELNS1_3gpuE3ELNS1_3repE0EEENS1_30default_config_static_selectorELNS0_4arch9wavefront6targetE0EEEvS10_,@function
_ZN7rocprim17ROCPRIM_400000_NS6detail17trampoline_kernelINS0_14default_configENS1_21merge_config_selectorINS0_5tupleIJiiEEENS0_10empty_typeEEEZNS1_10merge_implIS3_NS0_12zip_iteratorINS5_IJN6thrust23THRUST_200600_302600_NS6detail15normal_iteratorINSC_10device_ptrIKiEEEESI_EEEEESK_NSA_INS5_IJNSE_INSF_IiEEEESM_EEEEEPS7_SP_SP_NSC_11hip_rocprim7__merge17predicate_wrapperIiiNSC_7greaterIiEEEEEE10hipError_tPvRmT0_T1_T2_T3_T4_T5_mmT6_P12ihipStream_tbEUlT_E0_NS1_11comp_targetILNS1_3genE9ELNS1_11target_archE1100ELNS1_3gpuE3ELNS1_3repE0EEENS1_30default_config_static_selectorELNS0_4arch9wavefront6targetE0EEEvS10_: ; @_ZN7rocprim17ROCPRIM_400000_NS6detail17trampoline_kernelINS0_14default_configENS1_21merge_config_selectorINS0_5tupleIJiiEEENS0_10empty_typeEEEZNS1_10merge_implIS3_NS0_12zip_iteratorINS5_IJN6thrust23THRUST_200600_302600_NS6detail15normal_iteratorINSC_10device_ptrIKiEEEESI_EEEEESK_NSA_INS5_IJNSE_INSF_IiEEEESM_EEEEEPS7_SP_SP_NSC_11hip_rocprim7__merge17predicate_wrapperIiiNSC_7greaterIiEEEEEE10hipError_tPvRmT0_T1_T2_T3_T4_T5_mmT6_P12ihipStream_tbEUlT_E0_NS1_11comp_targetILNS1_3genE9ELNS1_11target_archE1100ELNS1_3gpuE3ELNS1_3repE0EEENS1_30default_config_static_selectorELNS0_4arch9wavefront6targetE0EEEvS10_
; %bb.0:
	.section	.rodata,"a",@progbits
	.p2align	6, 0x0
	.amdhsa_kernel _ZN7rocprim17ROCPRIM_400000_NS6detail17trampoline_kernelINS0_14default_configENS1_21merge_config_selectorINS0_5tupleIJiiEEENS0_10empty_typeEEEZNS1_10merge_implIS3_NS0_12zip_iteratorINS5_IJN6thrust23THRUST_200600_302600_NS6detail15normal_iteratorINSC_10device_ptrIKiEEEESI_EEEEESK_NSA_INS5_IJNSE_INSF_IiEEEESM_EEEEEPS7_SP_SP_NSC_11hip_rocprim7__merge17predicate_wrapperIiiNSC_7greaterIiEEEEEE10hipError_tPvRmT0_T1_T2_T3_T4_T5_mmT6_P12ihipStream_tbEUlT_E0_NS1_11comp_targetILNS1_3genE9ELNS1_11target_archE1100ELNS1_3gpuE3ELNS1_3repE0EEENS1_30default_config_static_selectorELNS0_4arch9wavefront6targetE0EEEvS10_
		.amdhsa_group_segment_fixed_size 0
		.amdhsa_private_segment_fixed_size 0
		.amdhsa_kernarg_size 112
		.amdhsa_user_sgpr_count 2
		.amdhsa_user_sgpr_dispatch_ptr 0
		.amdhsa_user_sgpr_queue_ptr 0
		.amdhsa_user_sgpr_kernarg_segment_ptr 1
		.amdhsa_user_sgpr_dispatch_id 0
		.amdhsa_user_sgpr_kernarg_preload_length 0
		.amdhsa_user_sgpr_kernarg_preload_offset 0
		.amdhsa_user_sgpr_private_segment_size 0
		.amdhsa_wavefront_size32 1
		.amdhsa_uses_dynamic_stack 0
		.amdhsa_enable_private_segment 0
		.amdhsa_system_sgpr_workgroup_id_x 1
		.amdhsa_system_sgpr_workgroup_id_y 0
		.amdhsa_system_sgpr_workgroup_id_z 0
		.amdhsa_system_sgpr_workgroup_info 0
		.amdhsa_system_vgpr_workitem_id 0
		.amdhsa_next_free_vgpr 1
		.amdhsa_next_free_sgpr 1
		.amdhsa_named_barrier_count 0
		.amdhsa_reserve_vcc 0
		.amdhsa_float_round_mode_32 0
		.amdhsa_float_round_mode_16_64 0
		.amdhsa_float_denorm_mode_32 3
		.amdhsa_float_denorm_mode_16_64 3
		.amdhsa_fp16_overflow 0
		.amdhsa_memory_ordered 1
		.amdhsa_forward_progress 1
		.amdhsa_inst_pref_size 0
		.amdhsa_round_robin_scheduling 0
		.amdhsa_exception_fp_ieee_invalid_op 0
		.amdhsa_exception_fp_denorm_src 0
		.amdhsa_exception_fp_ieee_div_zero 0
		.amdhsa_exception_fp_ieee_overflow 0
		.amdhsa_exception_fp_ieee_underflow 0
		.amdhsa_exception_fp_ieee_inexact 0
		.amdhsa_exception_int_div_zero 0
	.end_amdhsa_kernel
	.section	.text._ZN7rocprim17ROCPRIM_400000_NS6detail17trampoline_kernelINS0_14default_configENS1_21merge_config_selectorINS0_5tupleIJiiEEENS0_10empty_typeEEEZNS1_10merge_implIS3_NS0_12zip_iteratorINS5_IJN6thrust23THRUST_200600_302600_NS6detail15normal_iteratorINSC_10device_ptrIKiEEEESI_EEEEESK_NSA_INS5_IJNSE_INSF_IiEEEESM_EEEEEPS7_SP_SP_NSC_11hip_rocprim7__merge17predicate_wrapperIiiNSC_7greaterIiEEEEEE10hipError_tPvRmT0_T1_T2_T3_T4_T5_mmT6_P12ihipStream_tbEUlT_E0_NS1_11comp_targetILNS1_3genE9ELNS1_11target_archE1100ELNS1_3gpuE3ELNS1_3repE0EEENS1_30default_config_static_selectorELNS0_4arch9wavefront6targetE0EEEvS10_,"axG",@progbits,_ZN7rocprim17ROCPRIM_400000_NS6detail17trampoline_kernelINS0_14default_configENS1_21merge_config_selectorINS0_5tupleIJiiEEENS0_10empty_typeEEEZNS1_10merge_implIS3_NS0_12zip_iteratorINS5_IJN6thrust23THRUST_200600_302600_NS6detail15normal_iteratorINSC_10device_ptrIKiEEEESI_EEEEESK_NSA_INS5_IJNSE_INSF_IiEEEESM_EEEEEPS7_SP_SP_NSC_11hip_rocprim7__merge17predicate_wrapperIiiNSC_7greaterIiEEEEEE10hipError_tPvRmT0_T1_T2_T3_T4_T5_mmT6_P12ihipStream_tbEUlT_E0_NS1_11comp_targetILNS1_3genE9ELNS1_11target_archE1100ELNS1_3gpuE3ELNS1_3repE0EEENS1_30default_config_static_selectorELNS0_4arch9wavefront6targetE0EEEvS10_,comdat
.Lfunc_end441:
	.size	_ZN7rocprim17ROCPRIM_400000_NS6detail17trampoline_kernelINS0_14default_configENS1_21merge_config_selectorINS0_5tupleIJiiEEENS0_10empty_typeEEEZNS1_10merge_implIS3_NS0_12zip_iteratorINS5_IJN6thrust23THRUST_200600_302600_NS6detail15normal_iteratorINSC_10device_ptrIKiEEEESI_EEEEESK_NSA_INS5_IJNSE_INSF_IiEEEESM_EEEEEPS7_SP_SP_NSC_11hip_rocprim7__merge17predicate_wrapperIiiNSC_7greaterIiEEEEEE10hipError_tPvRmT0_T1_T2_T3_T4_T5_mmT6_P12ihipStream_tbEUlT_E0_NS1_11comp_targetILNS1_3genE9ELNS1_11target_archE1100ELNS1_3gpuE3ELNS1_3repE0EEENS1_30default_config_static_selectorELNS0_4arch9wavefront6targetE0EEEvS10_, .Lfunc_end441-_ZN7rocprim17ROCPRIM_400000_NS6detail17trampoline_kernelINS0_14default_configENS1_21merge_config_selectorINS0_5tupleIJiiEEENS0_10empty_typeEEEZNS1_10merge_implIS3_NS0_12zip_iteratorINS5_IJN6thrust23THRUST_200600_302600_NS6detail15normal_iteratorINSC_10device_ptrIKiEEEESI_EEEEESK_NSA_INS5_IJNSE_INSF_IiEEEESM_EEEEEPS7_SP_SP_NSC_11hip_rocprim7__merge17predicate_wrapperIiiNSC_7greaterIiEEEEEE10hipError_tPvRmT0_T1_T2_T3_T4_T5_mmT6_P12ihipStream_tbEUlT_E0_NS1_11comp_targetILNS1_3genE9ELNS1_11target_archE1100ELNS1_3gpuE3ELNS1_3repE0EEENS1_30default_config_static_selectorELNS0_4arch9wavefront6targetE0EEEvS10_
                                        ; -- End function
	.set _ZN7rocprim17ROCPRIM_400000_NS6detail17trampoline_kernelINS0_14default_configENS1_21merge_config_selectorINS0_5tupleIJiiEEENS0_10empty_typeEEEZNS1_10merge_implIS3_NS0_12zip_iteratorINS5_IJN6thrust23THRUST_200600_302600_NS6detail15normal_iteratorINSC_10device_ptrIKiEEEESI_EEEEESK_NSA_INS5_IJNSE_INSF_IiEEEESM_EEEEEPS7_SP_SP_NSC_11hip_rocprim7__merge17predicate_wrapperIiiNSC_7greaterIiEEEEEE10hipError_tPvRmT0_T1_T2_T3_T4_T5_mmT6_P12ihipStream_tbEUlT_E0_NS1_11comp_targetILNS1_3genE9ELNS1_11target_archE1100ELNS1_3gpuE3ELNS1_3repE0EEENS1_30default_config_static_selectorELNS0_4arch9wavefront6targetE0EEEvS10_.num_vgpr, 0
	.set _ZN7rocprim17ROCPRIM_400000_NS6detail17trampoline_kernelINS0_14default_configENS1_21merge_config_selectorINS0_5tupleIJiiEEENS0_10empty_typeEEEZNS1_10merge_implIS3_NS0_12zip_iteratorINS5_IJN6thrust23THRUST_200600_302600_NS6detail15normal_iteratorINSC_10device_ptrIKiEEEESI_EEEEESK_NSA_INS5_IJNSE_INSF_IiEEEESM_EEEEEPS7_SP_SP_NSC_11hip_rocprim7__merge17predicate_wrapperIiiNSC_7greaterIiEEEEEE10hipError_tPvRmT0_T1_T2_T3_T4_T5_mmT6_P12ihipStream_tbEUlT_E0_NS1_11comp_targetILNS1_3genE9ELNS1_11target_archE1100ELNS1_3gpuE3ELNS1_3repE0EEENS1_30default_config_static_selectorELNS0_4arch9wavefront6targetE0EEEvS10_.num_agpr, 0
	.set _ZN7rocprim17ROCPRIM_400000_NS6detail17trampoline_kernelINS0_14default_configENS1_21merge_config_selectorINS0_5tupleIJiiEEENS0_10empty_typeEEEZNS1_10merge_implIS3_NS0_12zip_iteratorINS5_IJN6thrust23THRUST_200600_302600_NS6detail15normal_iteratorINSC_10device_ptrIKiEEEESI_EEEEESK_NSA_INS5_IJNSE_INSF_IiEEEESM_EEEEEPS7_SP_SP_NSC_11hip_rocprim7__merge17predicate_wrapperIiiNSC_7greaterIiEEEEEE10hipError_tPvRmT0_T1_T2_T3_T4_T5_mmT6_P12ihipStream_tbEUlT_E0_NS1_11comp_targetILNS1_3genE9ELNS1_11target_archE1100ELNS1_3gpuE3ELNS1_3repE0EEENS1_30default_config_static_selectorELNS0_4arch9wavefront6targetE0EEEvS10_.numbered_sgpr, 0
	.set _ZN7rocprim17ROCPRIM_400000_NS6detail17trampoline_kernelINS0_14default_configENS1_21merge_config_selectorINS0_5tupleIJiiEEENS0_10empty_typeEEEZNS1_10merge_implIS3_NS0_12zip_iteratorINS5_IJN6thrust23THRUST_200600_302600_NS6detail15normal_iteratorINSC_10device_ptrIKiEEEESI_EEEEESK_NSA_INS5_IJNSE_INSF_IiEEEESM_EEEEEPS7_SP_SP_NSC_11hip_rocprim7__merge17predicate_wrapperIiiNSC_7greaterIiEEEEEE10hipError_tPvRmT0_T1_T2_T3_T4_T5_mmT6_P12ihipStream_tbEUlT_E0_NS1_11comp_targetILNS1_3genE9ELNS1_11target_archE1100ELNS1_3gpuE3ELNS1_3repE0EEENS1_30default_config_static_selectorELNS0_4arch9wavefront6targetE0EEEvS10_.num_named_barrier, 0
	.set _ZN7rocprim17ROCPRIM_400000_NS6detail17trampoline_kernelINS0_14default_configENS1_21merge_config_selectorINS0_5tupleIJiiEEENS0_10empty_typeEEEZNS1_10merge_implIS3_NS0_12zip_iteratorINS5_IJN6thrust23THRUST_200600_302600_NS6detail15normal_iteratorINSC_10device_ptrIKiEEEESI_EEEEESK_NSA_INS5_IJNSE_INSF_IiEEEESM_EEEEEPS7_SP_SP_NSC_11hip_rocprim7__merge17predicate_wrapperIiiNSC_7greaterIiEEEEEE10hipError_tPvRmT0_T1_T2_T3_T4_T5_mmT6_P12ihipStream_tbEUlT_E0_NS1_11comp_targetILNS1_3genE9ELNS1_11target_archE1100ELNS1_3gpuE3ELNS1_3repE0EEENS1_30default_config_static_selectorELNS0_4arch9wavefront6targetE0EEEvS10_.private_seg_size, 0
	.set _ZN7rocprim17ROCPRIM_400000_NS6detail17trampoline_kernelINS0_14default_configENS1_21merge_config_selectorINS0_5tupleIJiiEEENS0_10empty_typeEEEZNS1_10merge_implIS3_NS0_12zip_iteratorINS5_IJN6thrust23THRUST_200600_302600_NS6detail15normal_iteratorINSC_10device_ptrIKiEEEESI_EEEEESK_NSA_INS5_IJNSE_INSF_IiEEEESM_EEEEEPS7_SP_SP_NSC_11hip_rocprim7__merge17predicate_wrapperIiiNSC_7greaterIiEEEEEE10hipError_tPvRmT0_T1_T2_T3_T4_T5_mmT6_P12ihipStream_tbEUlT_E0_NS1_11comp_targetILNS1_3genE9ELNS1_11target_archE1100ELNS1_3gpuE3ELNS1_3repE0EEENS1_30default_config_static_selectorELNS0_4arch9wavefront6targetE0EEEvS10_.uses_vcc, 0
	.set _ZN7rocprim17ROCPRIM_400000_NS6detail17trampoline_kernelINS0_14default_configENS1_21merge_config_selectorINS0_5tupleIJiiEEENS0_10empty_typeEEEZNS1_10merge_implIS3_NS0_12zip_iteratorINS5_IJN6thrust23THRUST_200600_302600_NS6detail15normal_iteratorINSC_10device_ptrIKiEEEESI_EEEEESK_NSA_INS5_IJNSE_INSF_IiEEEESM_EEEEEPS7_SP_SP_NSC_11hip_rocprim7__merge17predicate_wrapperIiiNSC_7greaterIiEEEEEE10hipError_tPvRmT0_T1_T2_T3_T4_T5_mmT6_P12ihipStream_tbEUlT_E0_NS1_11comp_targetILNS1_3genE9ELNS1_11target_archE1100ELNS1_3gpuE3ELNS1_3repE0EEENS1_30default_config_static_selectorELNS0_4arch9wavefront6targetE0EEEvS10_.uses_flat_scratch, 0
	.set _ZN7rocprim17ROCPRIM_400000_NS6detail17trampoline_kernelINS0_14default_configENS1_21merge_config_selectorINS0_5tupleIJiiEEENS0_10empty_typeEEEZNS1_10merge_implIS3_NS0_12zip_iteratorINS5_IJN6thrust23THRUST_200600_302600_NS6detail15normal_iteratorINSC_10device_ptrIKiEEEESI_EEEEESK_NSA_INS5_IJNSE_INSF_IiEEEESM_EEEEEPS7_SP_SP_NSC_11hip_rocprim7__merge17predicate_wrapperIiiNSC_7greaterIiEEEEEE10hipError_tPvRmT0_T1_T2_T3_T4_T5_mmT6_P12ihipStream_tbEUlT_E0_NS1_11comp_targetILNS1_3genE9ELNS1_11target_archE1100ELNS1_3gpuE3ELNS1_3repE0EEENS1_30default_config_static_selectorELNS0_4arch9wavefront6targetE0EEEvS10_.has_dyn_sized_stack, 0
	.set _ZN7rocprim17ROCPRIM_400000_NS6detail17trampoline_kernelINS0_14default_configENS1_21merge_config_selectorINS0_5tupleIJiiEEENS0_10empty_typeEEEZNS1_10merge_implIS3_NS0_12zip_iteratorINS5_IJN6thrust23THRUST_200600_302600_NS6detail15normal_iteratorINSC_10device_ptrIKiEEEESI_EEEEESK_NSA_INS5_IJNSE_INSF_IiEEEESM_EEEEEPS7_SP_SP_NSC_11hip_rocprim7__merge17predicate_wrapperIiiNSC_7greaterIiEEEEEE10hipError_tPvRmT0_T1_T2_T3_T4_T5_mmT6_P12ihipStream_tbEUlT_E0_NS1_11comp_targetILNS1_3genE9ELNS1_11target_archE1100ELNS1_3gpuE3ELNS1_3repE0EEENS1_30default_config_static_selectorELNS0_4arch9wavefront6targetE0EEEvS10_.has_recursion, 0
	.set _ZN7rocprim17ROCPRIM_400000_NS6detail17trampoline_kernelINS0_14default_configENS1_21merge_config_selectorINS0_5tupleIJiiEEENS0_10empty_typeEEEZNS1_10merge_implIS3_NS0_12zip_iteratorINS5_IJN6thrust23THRUST_200600_302600_NS6detail15normal_iteratorINSC_10device_ptrIKiEEEESI_EEEEESK_NSA_INS5_IJNSE_INSF_IiEEEESM_EEEEEPS7_SP_SP_NSC_11hip_rocprim7__merge17predicate_wrapperIiiNSC_7greaterIiEEEEEE10hipError_tPvRmT0_T1_T2_T3_T4_T5_mmT6_P12ihipStream_tbEUlT_E0_NS1_11comp_targetILNS1_3genE9ELNS1_11target_archE1100ELNS1_3gpuE3ELNS1_3repE0EEENS1_30default_config_static_selectorELNS0_4arch9wavefront6targetE0EEEvS10_.has_indirect_call, 0
	.section	.AMDGPU.csdata,"",@progbits
; Kernel info:
; codeLenInByte = 0
; TotalNumSgprs: 0
; NumVgprs: 0
; ScratchSize: 0
; MemoryBound: 0
; FloatMode: 240
; IeeeMode: 1
; LDSByteSize: 0 bytes/workgroup (compile time only)
; SGPRBlocks: 0
; VGPRBlocks: 0
; NumSGPRsForWavesPerEU: 1
; NumVGPRsForWavesPerEU: 1
; NamedBarCnt: 0
; Occupancy: 16
; WaveLimiterHint : 0
; COMPUTE_PGM_RSRC2:SCRATCH_EN: 0
; COMPUTE_PGM_RSRC2:USER_SGPR: 2
; COMPUTE_PGM_RSRC2:TRAP_HANDLER: 0
; COMPUTE_PGM_RSRC2:TGID_X_EN: 1
; COMPUTE_PGM_RSRC2:TGID_Y_EN: 0
; COMPUTE_PGM_RSRC2:TGID_Z_EN: 0
; COMPUTE_PGM_RSRC2:TIDIG_COMP_CNT: 0
	.section	.text._ZN7rocprim17ROCPRIM_400000_NS6detail17trampoline_kernelINS0_14default_configENS1_21merge_config_selectorINS0_5tupleIJiiEEENS0_10empty_typeEEEZNS1_10merge_implIS3_NS0_12zip_iteratorINS5_IJN6thrust23THRUST_200600_302600_NS6detail15normal_iteratorINSC_10device_ptrIKiEEEESI_EEEEESK_NSA_INS5_IJNSE_INSF_IiEEEESM_EEEEEPS7_SP_SP_NSC_11hip_rocprim7__merge17predicate_wrapperIiiNSC_7greaterIiEEEEEE10hipError_tPvRmT0_T1_T2_T3_T4_T5_mmT6_P12ihipStream_tbEUlT_E0_NS1_11comp_targetILNS1_3genE8ELNS1_11target_archE1030ELNS1_3gpuE2ELNS1_3repE0EEENS1_30default_config_static_selectorELNS0_4arch9wavefront6targetE0EEEvS10_,"axG",@progbits,_ZN7rocprim17ROCPRIM_400000_NS6detail17trampoline_kernelINS0_14default_configENS1_21merge_config_selectorINS0_5tupleIJiiEEENS0_10empty_typeEEEZNS1_10merge_implIS3_NS0_12zip_iteratorINS5_IJN6thrust23THRUST_200600_302600_NS6detail15normal_iteratorINSC_10device_ptrIKiEEEESI_EEEEESK_NSA_INS5_IJNSE_INSF_IiEEEESM_EEEEEPS7_SP_SP_NSC_11hip_rocprim7__merge17predicate_wrapperIiiNSC_7greaterIiEEEEEE10hipError_tPvRmT0_T1_T2_T3_T4_T5_mmT6_P12ihipStream_tbEUlT_E0_NS1_11comp_targetILNS1_3genE8ELNS1_11target_archE1030ELNS1_3gpuE2ELNS1_3repE0EEENS1_30default_config_static_selectorELNS0_4arch9wavefront6targetE0EEEvS10_,comdat
	.protected	_ZN7rocprim17ROCPRIM_400000_NS6detail17trampoline_kernelINS0_14default_configENS1_21merge_config_selectorINS0_5tupleIJiiEEENS0_10empty_typeEEEZNS1_10merge_implIS3_NS0_12zip_iteratorINS5_IJN6thrust23THRUST_200600_302600_NS6detail15normal_iteratorINSC_10device_ptrIKiEEEESI_EEEEESK_NSA_INS5_IJNSE_INSF_IiEEEESM_EEEEEPS7_SP_SP_NSC_11hip_rocprim7__merge17predicate_wrapperIiiNSC_7greaterIiEEEEEE10hipError_tPvRmT0_T1_T2_T3_T4_T5_mmT6_P12ihipStream_tbEUlT_E0_NS1_11comp_targetILNS1_3genE8ELNS1_11target_archE1030ELNS1_3gpuE2ELNS1_3repE0EEENS1_30default_config_static_selectorELNS0_4arch9wavefront6targetE0EEEvS10_ ; -- Begin function _ZN7rocprim17ROCPRIM_400000_NS6detail17trampoline_kernelINS0_14default_configENS1_21merge_config_selectorINS0_5tupleIJiiEEENS0_10empty_typeEEEZNS1_10merge_implIS3_NS0_12zip_iteratorINS5_IJN6thrust23THRUST_200600_302600_NS6detail15normal_iteratorINSC_10device_ptrIKiEEEESI_EEEEESK_NSA_INS5_IJNSE_INSF_IiEEEESM_EEEEEPS7_SP_SP_NSC_11hip_rocprim7__merge17predicate_wrapperIiiNSC_7greaterIiEEEEEE10hipError_tPvRmT0_T1_T2_T3_T4_T5_mmT6_P12ihipStream_tbEUlT_E0_NS1_11comp_targetILNS1_3genE8ELNS1_11target_archE1030ELNS1_3gpuE2ELNS1_3repE0EEENS1_30default_config_static_selectorELNS0_4arch9wavefront6targetE0EEEvS10_
	.globl	_ZN7rocprim17ROCPRIM_400000_NS6detail17trampoline_kernelINS0_14default_configENS1_21merge_config_selectorINS0_5tupleIJiiEEENS0_10empty_typeEEEZNS1_10merge_implIS3_NS0_12zip_iteratorINS5_IJN6thrust23THRUST_200600_302600_NS6detail15normal_iteratorINSC_10device_ptrIKiEEEESI_EEEEESK_NSA_INS5_IJNSE_INSF_IiEEEESM_EEEEEPS7_SP_SP_NSC_11hip_rocprim7__merge17predicate_wrapperIiiNSC_7greaterIiEEEEEE10hipError_tPvRmT0_T1_T2_T3_T4_T5_mmT6_P12ihipStream_tbEUlT_E0_NS1_11comp_targetILNS1_3genE8ELNS1_11target_archE1030ELNS1_3gpuE2ELNS1_3repE0EEENS1_30default_config_static_selectorELNS0_4arch9wavefront6targetE0EEEvS10_
	.p2align	8
	.type	_ZN7rocprim17ROCPRIM_400000_NS6detail17trampoline_kernelINS0_14default_configENS1_21merge_config_selectorINS0_5tupleIJiiEEENS0_10empty_typeEEEZNS1_10merge_implIS3_NS0_12zip_iteratorINS5_IJN6thrust23THRUST_200600_302600_NS6detail15normal_iteratorINSC_10device_ptrIKiEEEESI_EEEEESK_NSA_INS5_IJNSE_INSF_IiEEEESM_EEEEEPS7_SP_SP_NSC_11hip_rocprim7__merge17predicate_wrapperIiiNSC_7greaterIiEEEEEE10hipError_tPvRmT0_T1_T2_T3_T4_T5_mmT6_P12ihipStream_tbEUlT_E0_NS1_11comp_targetILNS1_3genE8ELNS1_11target_archE1030ELNS1_3gpuE2ELNS1_3repE0EEENS1_30default_config_static_selectorELNS0_4arch9wavefront6targetE0EEEvS10_,@function
_ZN7rocprim17ROCPRIM_400000_NS6detail17trampoline_kernelINS0_14default_configENS1_21merge_config_selectorINS0_5tupleIJiiEEENS0_10empty_typeEEEZNS1_10merge_implIS3_NS0_12zip_iteratorINS5_IJN6thrust23THRUST_200600_302600_NS6detail15normal_iteratorINSC_10device_ptrIKiEEEESI_EEEEESK_NSA_INS5_IJNSE_INSF_IiEEEESM_EEEEEPS7_SP_SP_NSC_11hip_rocprim7__merge17predicate_wrapperIiiNSC_7greaterIiEEEEEE10hipError_tPvRmT0_T1_T2_T3_T4_T5_mmT6_P12ihipStream_tbEUlT_E0_NS1_11comp_targetILNS1_3genE8ELNS1_11target_archE1030ELNS1_3gpuE2ELNS1_3repE0EEENS1_30default_config_static_selectorELNS0_4arch9wavefront6targetE0EEEvS10_: ; @_ZN7rocprim17ROCPRIM_400000_NS6detail17trampoline_kernelINS0_14default_configENS1_21merge_config_selectorINS0_5tupleIJiiEEENS0_10empty_typeEEEZNS1_10merge_implIS3_NS0_12zip_iteratorINS5_IJN6thrust23THRUST_200600_302600_NS6detail15normal_iteratorINSC_10device_ptrIKiEEEESI_EEEEESK_NSA_INS5_IJNSE_INSF_IiEEEESM_EEEEEPS7_SP_SP_NSC_11hip_rocprim7__merge17predicate_wrapperIiiNSC_7greaterIiEEEEEE10hipError_tPvRmT0_T1_T2_T3_T4_T5_mmT6_P12ihipStream_tbEUlT_E0_NS1_11comp_targetILNS1_3genE8ELNS1_11target_archE1030ELNS1_3gpuE2ELNS1_3repE0EEENS1_30default_config_static_selectorELNS0_4arch9wavefront6targetE0EEEvS10_
; %bb.0:
	.section	.rodata,"a",@progbits
	.p2align	6, 0x0
	.amdhsa_kernel _ZN7rocprim17ROCPRIM_400000_NS6detail17trampoline_kernelINS0_14default_configENS1_21merge_config_selectorINS0_5tupleIJiiEEENS0_10empty_typeEEEZNS1_10merge_implIS3_NS0_12zip_iteratorINS5_IJN6thrust23THRUST_200600_302600_NS6detail15normal_iteratorINSC_10device_ptrIKiEEEESI_EEEEESK_NSA_INS5_IJNSE_INSF_IiEEEESM_EEEEEPS7_SP_SP_NSC_11hip_rocprim7__merge17predicate_wrapperIiiNSC_7greaterIiEEEEEE10hipError_tPvRmT0_T1_T2_T3_T4_T5_mmT6_P12ihipStream_tbEUlT_E0_NS1_11comp_targetILNS1_3genE8ELNS1_11target_archE1030ELNS1_3gpuE2ELNS1_3repE0EEENS1_30default_config_static_selectorELNS0_4arch9wavefront6targetE0EEEvS10_
		.amdhsa_group_segment_fixed_size 0
		.amdhsa_private_segment_fixed_size 0
		.amdhsa_kernarg_size 112
		.amdhsa_user_sgpr_count 2
		.amdhsa_user_sgpr_dispatch_ptr 0
		.amdhsa_user_sgpr_queue_ptr 0
		.amdhsa_user_sgpr_kernarg_segment_ptr 1
		.amdhsa_user_sgpr_dispatch_id 0
		.amdhsa_user_sgpr_kernarg_preload_length 0
		.amdhsa_user_sgpr_kernarg_preload_offset 0
		.amdhsa_user_sgpr_private_segment_size 0
		.amdhsa_wavefront_size32 1
		.amdhsa_uses_dynamic_stack 0
		.amdhsa_enable_private_segment 0
		.amdhsa_system_sgpr_workgroup_id_x 1
		.amdhsa_system_sgpr_workgroup_id_y 0
		.amdhsa_system_sgpr_workgroup_id_z 0
		.amdhsa_system_sgpr_workgroup_info 0
		.amdhsa_system_vgpr_workitem_id 0
		.amdhsa_next_free_vgpr 1
		.amdhsa_next_free_sgpr 1
		.amdhsa_named_barrier_count 0
		.amdhsa_reserve_vcc 0
		.amdhsa_float_round_mode_32 0
		.amdhsa_float_round_mode_16_64 0
		.amdhsa_float_denorm_mode_32 3
		.amdhsa_float_denorm_mode_16_64 3
		.amdhsa_fp16_overflow 0
		.amdhsa_memory_ordered 1
		.amdhsa_forward_progress 1
		.amdhsa_inst_pref_size 0
		.amdhsa_round_robin_scheduling 0
		.amdhsa_exception_fp_ieee_invalid_op 0
		.amdhsa_exception_fp_denorm_src 0
		.amdhsa_exception_fp_ieee_div_zero 0
		.amdhsa_exception_fp_ieee_overflow 0
		.amdhsa_exception_fp_ieee_underflow 0
		.amdhsa_exception_fp_ieee_inexact 0
		.amdhsa_exception_int_div_zero 0
	.end_amdhsa_kernel
	.section	.text._ZN7rocprim17ROCPRIM_400000_NS6detail17trampoline_kernelINS0_14default_configENS1_21merge_config_selectorINS0_5tupleIJiiEEENS0_10empty_typeEEEZNS1_10merge_implIS3_NS0_12zip_iteratorINS5_IJN6thrust23THRUST_200600_302600_NS6detail15normal_iteratorINSC_10device_ptrIKiEEEESI_EEEEESK_NSA_INS5_IJNSE_INSF_IiEEEESM_EEEEEPS7_SP_SP_NSC_11hip_rocprim7__merge17predicate_wrapperIiiNSC_7greaterIiEEEEEE10hipError_tPvRmT0_T1_T2_T3_T4_T5_mmT6_P12ihipStream_tbEUlT_E0_NS1_11comp_targetILNS1_3genE8ELNS1_11target_archE1030ELNS1_3gpuE2ELNS1_3repE0EEENS1_30default_config_static_selectorELNS0_4arch9wavefront6targetE0EEEvS10_,"axG",@progbits,_ZN7rocprim17ROCPRIM_400000_NS6detail17trampoline_kernelINS0_14default_configENS1_21merge_config_selectorINS0_5tupleIJiiEEENS0_10empty_typeEEEZNS1_10merge_implIS3_NS0_12zip_iteratorINS5_IJN6thrust23THRUST_200600_302600_NS6detail15normal_iteratorINSC_10device_ptrIKiEEEESI_EEEEESK_NSA_INS5_IJNSE_INSF_IiEEEESM_EEEEEPS7_SP_SP_NSC_11hip_rocprim7__merge17predicate_wrapperIiiNSC_7greaterIiEEEEEE10hipError_tPvRmT0_T1_T2_T3_T4_T5_mmT6_P12ihipStream_tbEUlT_E0_NS1_11comp_targetILNS1_3genE8ELNS1_11target_archE1030ELNS1_3gpuE2ELNS1_3repE0EEENS1_30default_config_static_selectorELNS0_4arch9wavefront6targetE0EEEvS10_,comdat
.Lfunc_end442:
	.size	_ZN7rocprim17ROCPRIM_400000_NS6detail17trampoline_kernelINS0_14default_configENS1_21merge_config_selectorINS0_5tupleIJiiEEENS0_10empty_typeEEEZNS1_10merge_implIS3_NS0_12zip_iteratorINS5_IJN6thrust23THRUST_200600_302600_NS6detail15normal_iteratorINSC_10device_ptrIKiEEEESI_EEEEESK_NSA_INS5_IJNSE_INSF_IiEEEESM_EEEEEPS7_SP_SP_NSC_11hip_rocprim7__merge17predicate_wrapperIiiNSC_7greaterIiEEEEEE10hipError_tPvRmT0_T1_T2_T3_T4_T5_mmT6_P12ihipStream_tbEUlT_E0_NS1_11comp_targetILNS1_3genE8ELNS1_11target_archE1030ELNS1_3gpuE2ELNS1_3repE0EEENS1_30default_config_static_selectorELNS0_4arch9wavefront6targetE0EEEvS10_, .Lfunc_end442-_ZN7rocprim17ROCPRIM_400000_NS6detail17trampoline_kernelINS0_14default_configENS1_21merge_config_selectorINS0_5tupleIJiiEEENS0_10empty_typeEEEZNS1_10merge_implIS3_NS0_12zip_iteratorINS5_IJN6thrust23THRUST_200600_302600_NS6detail15normal_iteratorINSC_10device_ptrIKiEEEESI_EEEEESK_NSA_INS5_IJNSE_INSF_IiEEEESM_EEEEEPS7_SP_SP_NSC_11hip_rocprim7__merge17predicate_wrapperIiiNSC_7greaterIiEEEEEE10hipError_tPvRmT0_T1_T2_T3_T4_T5_mmT6_P12ihipStream_tbEUlT_E0_NS1_11comp_targetILNS1_3genE8ELNS1_11target_archE1030ELNS1_3gpuE2ELNS1_3repE0EEENS1_30default_config_static_selectorELNS0_4arch9wavefront6targetE0EEEvS10_
                                        ; -- End function
	.set _ZN7rocprim17ROCPRIM_400000_NS6detail17trampoline_kernelINS0_14default_configENS1_21merge_config_selectorINS0_5tupleIJiiEEENS0_10empty_typeEEEZNS1_10merge_implIS3_NS0_12zip_iteratorINS5_IJN6thrust23THRUST_200600_302600_NS6detail15normal_iteratorINSC_10device_ptrIKiEEEESI_EEEEESK_NSA_INS5_IJNSE_INSF_IiEEEESM_EEEEEPS7_SP_SP_NSC_11hip_rocprim7__merge17predicate_wrapperIiiNSC_7greaterIiEEEEEE10hipError_tPvRmT0_T1_T2_T3_T4_T5_mmT6_P12ihipStream_tbEUlT_E0_NS1_11comp_targetILNS1_3genE8ELNS1_11target_archE1030ELNS1_3gpuE2ELNS1_3repE0EEENS1_30default_config_static_selectorELNS0_4arch9wavefront6targetE0EEEvS10_.num_vgpr, 0
	.set _ZN7rocprim17ROCPRIM_400000_NS6detail17trampoline_kernelINS0_14default_configENS1_21merge_config_selectorINS0_5tupleIJiiEEENS0_10empty_typeEEEZNS1_10merge_implIS3_NS0_12zip_iteratorINS5_IJN6thrust23THRUST_200600_302600_NS6detail15normal_iteratorINSC_10device_ptrIKiEEEESI_EEEEESK_NSA_INS5_IJNSE_INSF_IiEEEESM_EEEEEPS7_SP_SP_NSC_11hip_rocprim7__merge17predicate_wrapperIiiNSC_7greaterIiEEEEEE10hipError_tPvRmT0_T1_T2_T3_T4_T5_mmT6_P12ihipStream_tbEUlT_E0_NS1_11comp_targetILNS1_3genE8ELNS1_11target_archE1030ELNS1_3gpuE2ELNS1_3repE0EEENS1_30default_config_static_selectorELNS0_4arch9wavefront6targetE0EEEvS10_.num_agpr, 0
	.set _ZN7rocprim17ROCPRIM_400000_NS6detail17trampoline_kernelINS0_14default_configENS1_21merge_config_selectorINS0_5tupleIJiiEEENS0_10empty_typeEEEZNS1_10merge_implIS3_NS0_12zip_iteratorINS5_IJN6thrust23THRUST_200600_302600_NS6detail15normal_iteratorINSC_10device_ptrIKiEEEESI_EEEEESK_NSA_INS5_IJNSE_INSF_IiEEEESM_EEEEEPS7_SP_SP_NSC_11hip_rocprim7__merge17predicate_wrapperIiiNSC_7greaterIiEEEEEE10hipError_tPvRmT0_T1_T2_T3_T4_T5_mmT6_P12ihipStream_tbEUlT_E0_NS1_11comp_targetILNS1_3genE8ELNS1_11target_archE1030ELNS1_3gpuE2ELNS1_3repE0EEENS1_30default_config_static_selectorELNS0_4arch9wavefront6targetE0EEEvS10_.numbered_sgpr, 0
	.set _ZN7rocprim17ROCPRIM_400000_NS6detail17trampoline_kernelINS0_14default_configENS1_21merge_config_selectorINS0_5tupleIJiiEEENS0_10empty_typeEEEZNS1_10merge_implIS3_NS0_12zip_iteratorINS5_IJN6thrust23THRUST_200600_302600_NS6detail15normal_iteratorINSC_10device_ptrIKiEEEESI_EEEEESK_NSA_INS5_IJNSE_INSF_IiEEEESM_EEEEEPS7_SP_SP_NSC_11hip_rocprim7__merge17predicate_wrapperIiiNSC_7greaterIiEEEEEE10hipError_tPvRmT0_T1_T2_T3_T4_T5_mmT6_P12ihipStream_tbEUlT_E0_NS1_11comp_targetILNS1_3genE8ELNS1_11target_archE1030ELNS1_3gpuE2ELNS1_3repE0EEENS1_30default_config_static_selectorELNS0_4arch9wavefront6targetE0EEEvS10_.num_named_barrier, 0
	.set _ZN7rocprim17ROCPRIM_400000_NS6detail17trampoline_kernelINS0_14default_configENS1_21merge_config_selectorINS0_5tupleIJiiEEENS0_10empty_typeEEEZNS1_10merge_implIS3_NS0_12zip_iteratorINS5_IJN6thrust23THRUST_200600_302600_NS6detail15normal_iteratorINSC_10device_ptrIKiEEEESI_EEEEESK_NSA_INS5_IJNSE_INSF_IiEEEESM_EEEEEPS7_SP_SP_NSC_11hip_rocprim7__merge17predicate_wrapperIiiNSC_7greaterIiEEEEEE10hipError_tPvRmT0_T1_T2_T3_T4_T5_mmT6_P12ihipStream_tbEUlT_E0_NS1_11comp_targetILNS1_3genE8ELNS1_11target_archE1030ELNS1_3gpuE2ELNS1_3repE0EEENS1_30default_config_static_selectorELNS0_4arch9wavefront6targetE0EEEvS10_.private_seg_size, 0
	.set _ZN7rocprim17ROCPRIM_400000_NS6detail17trampoline_kernelINS0_14default_configENS1_21merge_config_selectorINS0_5tupleIJiiEEENS0_10empty_typeEEEZNS1_10merge_implIS3_NS0_12zip_iteratorINS5_IJN6thrust23THRUST_200600_302600_NS6detail15normal_iteratorINSC_10device_ptrIKiEEEESI_EEEEESK_NSA_INS5_IJNSE_INSF_IiEEEESM_EEEEEPS7_SP_SP_NSC_11hip_rocprim7__merge17predicate_wrapperIiiNSC_7greaterIiEEEEEE10hipError_tPvRmT0_T1_T2_T3_T4_T5_mmT6_P12ihipStream_tbEUlT_E0_NS1_11comp_targetILNS1_3genE8ELNS1_11target_archE1030ELNS1_3gpuE2ELNS1_3repE0EEENS1_30default_config_static_selectorELNS0_4arch9wavefront6targetE0EEEvS10_.uses_vcc, 0
	.set _ZN7rocprim17ROCPRIM_400000_NS6detail17trampoline_kernelINS0_14default_configENS1_21merge_config_selectorINS0_5tupleIJiiEEENS0_10empty_typeEEEZNS1_10merge_implIS3_NS0_12zip_iteratorINS5_IJN6thrust23THRUST_200600_302600_NS6detail15normal_iteratorINSC_10device_ptrIKiEEEESI_EEEEESK_NSA_INS5_IJNSE_INSF_IiEEEESM_EEEEEPS7_SP_SP_NSC_11hip_rocprim7__merge17predicate_wrapperIiiNSC_7greaterIiEEEEEE10hipError_tPvRmT0_T1_T2_T3_T4_T5_mmT6_P12ihipStream_tbEUlT_E0_NS1_11comp_targetILNS1_3genE8ELNS1_11target_archE1030ELNS1_3gpuE2ELNS1_3repE0EEENS1_30default_config_static_selectorELNS0_4arch9wavefront6targetE0EEEvS10_.uses_flat_scratch, 0
	.set _ZN7rocprim17ROCPRIM_400000_NS6detail17trampoline_kernelINS0_14default_configENS1_21merge_config_selectorINS0_5tupleIJiiEEENS0_10empty_typeEEEZNS1_10merge_implIS3_NS0_12zip_iteratorINS5_IJN6thrust23THRUST_200600_302600_NS6detail15normal_iteratorINSC_10device_ptrIKiEEEESI_EEEEESK_NSA_INS5_IJNSE_INSF_IiEEEESM_EEEEEPS7_SP_SP_NSC_11hip_rocprim7__merge17predicate_wrapperIiiNSC_7greaterIiEEEEEE10hipError_tPvRmT0_T1_T2_T3_T4_T5_mmT6_P12ihipStream_tbEUlT_E0_NS1_11comp_targetILNS1_3genE8ELNS1_11target_archE1030ELNS1_3gpuE2ELNS1_3repE0EEENS1_30default_config_static_selectorELNS0_4arch9wavefront6targetE0EEEvS10_.has_dyn_sized_stack, 0
	.set _ZN7rocprim17ROCPRIM_400000_NS6detail17trampoline_kernelINS0_14default_configENS1_21merge_config_selectorINS0_5tupleIJiiEEENS0_10empty_typeEEEZNS1_10merge_implIS3_NS0_12zip_iteratorINS5_IJN6thrust23THRUST_200600_302600_NS6detail15normal_iteratorINSC_10device_ptrIKiEEEESI_EEEEESK_NSA_INS5_IJNSE_INSF_IiEEEESM_EEEEEPS7_SP_SP_NSC_11hip_rocprim7__merge17predicate_wrapperIiiNSC_7greaterIiEEEEEE10hipError_tPvRmT0_T1_T2_T3_T4_T5_mmT6_P12ihipStream_tbEUlT_E0_NS1_11comp_targetILNS1_3genE8ELNS1_11target_archE1030ELNS1_3gpuE2ELNS1_3repE0EEENS1_30default_config_static_selectorELNS0_4arch9wavefront6targetE0EEEvS10_.has_recursion, 0
	.set _ZN7rocprim17ROCPRIM_400000_NS6detail17trampoline_kernelINS0_14default_configENS1_21merge_config_selectorINS0_5tupleIJiiEEENS0_10empty_typeEEEZNS1_10merge_implIS3_NS0_12zip_iteratorINS5_IJN6thrust23THRUST_200600_302600_NS6detail15normal_iteratorINSC_10device_ptrIKiEEEESI_EEEEESK_NSA_INS5_IJNSE_INSF_IiEEEESM_EEEEEPS7_SP_SP_NSC_11hip_rocprim7__merge17predicate_wrapperIiiNSC_7greaterIiEEEEEE10hipError_tPvRmT0_T1_T2_T3_T4_T5_mmT6_P12ihipStream_tbEUlT_E0_NS1_11comp_targetILNS1_3genE8ELNS1_11target_archE1030ELNS1_3gpuE2ELNS1_3repE0EEENS1_30default_config_static_selectorELNS0_4arch9wavefront6targetE0EEEvS10_.has_indirect_call, 0
	.section	.AMDGPU.csdata,"",@progbits
; Kernel info:
; codeLenInByte = 0
; TotalNumSgprs: 0
; NumVgprs: 0
; ScratchSize: 0
; MemoryBound: 0
; FloatMode: 240
; IeeeMode: 1
; LDSByteSize: 0 bytes/workgroup (compile time only)
; SGPRBlocks: 0
; VGPRBlocks: 0
; NumSGPRsForWavesPerEU: 1
; NumVGPRsForWavesPerEU: 1
; NamedBarCnt: 0
; Occupancy: 16
; WaveLimiterHint : 0
; COMPUTE_PGM_RSRC2:SCRATCH_EN: 0
; COMPUTE_PGM_RSRC2:USER_SGPR: 2
; COMPUTE_PGM_RSRC2:TRAP_HANDLER: 0
; COMPUTE_PGM_RSRC2:TGID_X_EN: 1
; COMPUTE_PGM_RSRC2:TGID_Y_EN: 0
; COMPUTE_PGM_RSRC2:TGID_Z_EN: 0
; COMPUTE_PGM_RSRC2:TIDIG_COMP_CNT: 0
	.section	.text._ZN7rocprim17ROCPRIM_400000_NS6detail17trampoline_kernelINS0_14default_configENS1_21merge_config_selectorINS0_5tupleIJssEEENS0_10empty_typeEEEZNS1_10merge_implIS3_NS0_12zip_iteratorINS5_IJN6thrust23THRUST_200600_302600_NS6detail15normal_iteratorINSC_10device_ptrIKsEEEESI_EEEEESK_NSA_INS5_IJNSE_INSF_IsEEEESM_EEEEEPS7_SP_SP_NSC_11hip_rocprim7__merge17predicate_wrapperIssNSC_7greaterIsEEEEEE10hipError_tPvRmT0_T1_T2_T3_T4_T5_mmT6_P12ihipStream_tbEUlT_E_NS1_11comp_targetILNS1_3genE0ELNS1_11target_archE4294967295ELNS1_3gpuE0ELNS1_3repE0EEENS1_30default_config_static_selectorELNS0_4arch9wavefront6targetE0EEEvS10_,"axG",@progbits,_ZN7rocprim17ROCPRIM_400000_NS6detail17trampoline_kernelINS0_14default_configENS1_21merge_config_selectorINS0_5tupleIJssEEENS0_10empty_typeEEEZNS1_10merge_implIS3_NS0_12zip_iteratorINS5_IJN6thrust23THRUST_200600_302600_NS6detail15normal_iteratorINSC_10device_ptrIKsEEEESI_EEEEESK_NSA_INS5_IJNSE_INSF_IsEEEESM_EEEEEPS7_SP_SP_NSC_11hip_rocprim7__merge17predicate_wrapperIssNSC_7greaterIsEEEEEE10hipError_tPvRmT0_T1_T2_T3_T4_T5_mmT6_P12ihipStream_tbEUlT_E_NS1_11comp_targetILNS1_3genE0ELNS1_11target_archE4294967295ELNS1_3gpuE0ELNS1_3repE0EEENS1_30default_config_static_selectorELNS0_4arch9wavefront6targetE0EEEvS10_,comdat
	.protected	_ZN7rocprim17ROCPRIM_400000_NS6detail17trampoline_kernelINS0_14default_configENS1_21merge_config_selectorINS0_5tupleIJssEEENS0_10empty_typeEEEZNS1_10merge_implIS3_NS0_12zip_iteratorINS5_IJN6thrust23THRUST_200600_302600_NS6detail15normal_iteratorINSC_10device_ptrIKsEEEESI_EEEEESK_NSA_INS5_IJNSE_INSF_IsEEEESM_EEEEEPS7_SP_SP_NSC_11hip_rocprim7__merge17predicate_wrapperIssNSC_7greaterIsEEEEEE10hipError_tPvRmT0_T1_T2_T3_T4_T5_mmT6_P12ihipStream_tbEUlT_E_NS1_11comp_targetILNS1_3genE0ELNS1_11target_archE4294967295ELNS1_3gpuE0ELNS1_3repE0EEENS1_30default_config_static_selectorELNS0_4arch9wavefront6targetE0EEEvS10_ ; -- Begin function _ZN7rocprim17ROCPRIM_400000_NS6detail17trampoline_kernelINS0_14default_configENS1_21merge_config_selectorINS0_5tupleIJssEEENS0_10empty_typeEEEZNS1_10merge_implIS3_NS0_12zip_iteratorINS5_IJN6thrust23THRUST_200600_302600_NS6detail15normal_iteratorINSC_10device_ptrIKsEEEESI_EEEEESK_NSA_INS5_IJNSE_INSF_IsEEEESM_EEEEEPS7_SP_SP_NSC_11hip_rocprim7__merge17predicate_wrapperIssNSC_7greaterIsEEEEEE10hipError_tPvRmT0_T1_T2_T3_T4_T5_mmT6_P12ihipStream_tbEUlT_E_NS1_11comp_targetILNS1_3genE0ELNS1_11target_archE4294967295ELNS1_3gpuE0ELNS1_3repE0EEENS1_30default_config_static_selectorELNS0_4arch9wavefront6targetE0EEEvS10_
	.globl	_ZN7rocprim17ROCPRIM_400000_NS6detail17trampoline_kernelINS0_14default_configENS1_21merge_config_selectorINS0_5tupleIJssEEENS0_10empty_typeEEEZNS1_10merge_implIS3_NS0_12zip_iteratorINS5_IJN6thrust23THRUST_200600_302600_NS6detail15normal_iteratorINSC_10device_ptrIKsEEEESI_EEEEESK_NSA_INS5_IJNSE_INSF_IsEEEESM_EEEEEPS7_SP_SP_NSC_11hip_rocprim7__merge17predicate_wrapperIssNSC_7greaterIsEEEEEE10hipError_tPvRmT0_T1_T2_T3_T4_T5_mmT6_P12ihipStream_tbEUlT_E_NS1_11comp_targetILNS1_3genE0ELNS1_11target_archE4294967295ELNS1_3gpuE0ELNS1_3repE0EEENS1_30default_config_static_selectorELNS0_4arch9wavefront6targetE0EEEvS10_
	.p2align	8
	.type	_ZN7rocprim17ROCPRIM_400000_NS6detail17trampoline_kernelINS0_14default_configENS1_21merge_config_selectorINS0_5tupleIJssEEENS0_10empty_typeEEEZNS1_10merge_implIS3_NS0_12zip_iteratorINS5_IJN6thrust23THRUST_200600_302600_NS6detail15normal_iteratorINSC_10device_ptrIKsEEEESI_EEEEESK_NSA_INS5_IJNSE_INSF_IsEEEESM_EEEEEPS7_SP_SP_NSC_11hip_rocprim7__merge17predicate_wrapperIssNSC_7greaterIsEEEEEE10hipError_tPvRmT0_T1_T2_T3_T4_T5_mmT6_P12ihipStream_tbEUlT_E_NS1_11comp_targetILNS1_3genE0ELNS1_11target_archE4294967295ELNS1_3gpuE0ELNS1_3repE0EEENS1_30default_config_static_selectorELNS0_4arch9wavefront6targetE0EEEvS10_,@function
_ZN7rocprim17ROCPRIM_400000_NS6detail17trampoline_kernelINS0_14default_configENS1_21merge_config_selectorINS0_5tupleIJssEEENS0_10empty_typeEEEZNS1_10merge_implIS3_NS0_12zip_iteratorINS5_IJN6thrust23THRUST_200600_302600_NS6detail15normal_iteratorINSC_10device_ptrIKsEEEESI_EEEEESK_NSA_INS5_IJNSE_INSF_IsEEEESM_EEEEEPS7_SP_SP_NSC_11hip_rocprim7__merge17predicate_wrapperIssNSC_7greaterIsEEEEEE10hipError_tPvRmT0_T1_T2_T3_T4_T5_mmT6_P12ihipStream_tbEUlT_E_NS1_11comp_targetILNS1_3genE0ELNS1_11target_archE4294967295ELNS1_3gpuE0ELNS1_3repE0EEENS1_30default_config_static_selectorELNS0_4arch9wavefront6targetE0EEEvS10_: ; @_ZN7rocprim17ROCPRIM_400000_NS6detail17trampoline_kernelINS0_14default_configENS1_21merge_config_selectorINS0_5tupleIJssEEENS0_10empty_typeEEEZNS1_10merge_implIS3_NS0_12zip_iteratorINS5_IJN6thrust23THRUST_200600_302600_NS6detail15normal_iteratorINSC_10device_ptrIKsEEEESI_EEEEESK_NSA_INS5_IJNSE_INSF_IsEEEESM_EEEEEPS7_SP_SP_NSC_11hip_rocprim7__merge17predicate_wrapperIssNSC_7greaterIsEEEEEE10hipError_tPvRmT0_T1_T2_T3_T4_T5_mmT6_P12ihipStream_tbEUlT_E_NS1_11comp_targetILNS1_3genE0ELNS1_11target_archE4294967295ELNS1_3gpuE0ELNS1_3repE0EEENS1_30default_config_static_selectorELNS0_4arch9wavefront6targetE0EEEvS10_
; %bb.0:
	s_clause 0x2
	s_load_b32 s4, s[0:1], 0x38
	s_load_b32 s2, s[0:1], 0x4c
	s_load_b128 s[8:11], s[0:1], 0x28
	s_getreg_b32 s7, hwreg(HW_REG_IB_STS2, 6, 4)
	s_wait_kmcnt 0x0
	s_cvt_f32_u32 s3, s4
	s_and_b32 s6, s2, 0xffff
	s_and_b32 s2, ttmp6, 15
	s_delay_alu instid0(SALU_CYCLE_1) | instskip(SKIP_1) | instid1(SALU_CYCLE_1)
	v_rcp_iflag_f32_e32 v1, s3
	s_bfe_u32 s3, ttmp6, 0x4000c
	s_add_co_i32 s3, s3, 1
	s_delay_alu instid0(SALU_CYCLE_1) | instskip(NEXT) | instid1(SALU_CYCLE_1)
	s_mul_i32 s3, ttmp9, s3
	s_add_co_i32 s2, s2, s3
	v_nop
	s_delay_alu instid0(TRANS32_DEP_1)
	v_readfirstlane_b32 s5, v1
	s_cmp_eq_u32 s7, 0
	s_cselect_b32 s7, ttmp9, s2
	s_sub_co_i32 s12, 0, s4
	s_mul_f32 s5, s5, 0x4f7ffffe
	s_add_nc_u64 s[2:3], s[10:11], s[8:9]
	v_mad_u32 v6, s7, s6, v0
	s_add_co_i32 s13, s4, s2
	s_cvt_u32_f32 s5, s5
	s_add_co_i32 s13, s13, -1
	s_delay_alu instid0(SALU_CYCLE_2) | instskip(NEXT) | instid1(SALU_CYCLE_1)
	s_mul_i32 s12, s12, s5
	s_mul_hi_u32 s12, s5, s12
	s_delay_alu instid0(SALU_CYCLE_1) | instskip(NEXT) | instid1(SALU_CYCLE_1)
	s_add_co_i32 s5, s5, s12
	s_mul_hi_u32 s5, s13, s5
	s_delay_alu instid0(SALU_CYCLE_1) | instskip(SKIP_2) | instid1(SALU_CYCLE_1)
	s_mul_i32 s12, s5, s4
	s_add_co_i32 s7, s5, 1
	s_sub_co_i32 s6, s13, s12
	s_sub_co_i32 s12, s6, s4
	s_cmp_ge_u32 s6, s4
	s_cselect_b32 s5, s7, s5
	s_cselect_b32 s6, s12, s6
	s_add_co_i32 s7, s5, 1
	s_cmp_ge_u32 s6, s4
	s_cselect_b32 s5, s7, s5
	s_delay_alu instid0(SALU_CYCLE_1)
	v_cmp_ge_u32_e32 vcc_lo, s5, v6
	s_and_saveexec_b32 s5, vcc_lo
	s_cbranch_execz .LBB443_6
; %bb.1:
	v_mul_lo_u32 v0, v6, s4
	v_mov_b32_e32 v1, 0
	s_load_b128 s[4:7], s[0:1], 0x0
	s_delay_alu instid0(VALU_DEP_1) | instskip(SKIP_1) | instid1(VALU_DEP_1)
	v_min_u64 v[4:5], v[0:1], s[2:3]
	s_mov_b32 s2, exec_lo
	v_max_u64 v[0:1], v[4:5], s[10:11]
	v_min_u64 v[2:3], v[4:5], s[8:9]
	s_delay_alu instid0(VALU_DEP_2) | instskip(NEXT) | instid1(VALU_DEP_1)
	v_sub_nc_u64_e64 v[0:1], v[0:1], s[10:11]
	v_cmpx_lt_u64_e64 v[0:1], v[2:3]
	s_cbranch_execz .LBB443_5
; %bb.2:
	s_wait_xcnt 0x0
	s_load_b64 s[0:1], s[0:1], 0x18
	s_wait_kmcnt 0x0
	v_lshl_add_u64 v[4:5], v[4:5], 1, s[0:1]
	s_mov_b32 s0, 0
.LBB443_3:                              ; =>This Inner Loop Header: Depth=1
	v_add_nc_u64_e32 v[8:9], v[2:3], v[0:1]
	s_delay_alu instid0(VALU_DEP_1) | instskip(SKIP_2) | instid1(VALU_DEP_2)
	v_lshrrev_b64 v[10:11], 1, v[8:9]
	v_and_b32_e32 v8, -2, v8
	v_xor_b32_e32 v13, -1, v9
	v_xor_b32_e32 v12, -2, v8
	v_add_nc_u64_e32 v[8:9], s[6:7], v[8:9]
	s_delay_alu instid0(VALU_DEP_2)
	v_add_nc_u64_e32 v[12:13], v[4:5], v[12:13]
	global_load_u16 v7, v[8:9], off
	global_load_u16 v14, v[12:13], off
	s_wait_xcnt 0x1
	v_add_nc_u64_e32 v[8:9], 1, v[10:11]
	s_wait_loadcnt 0x0
	v_cmp_gt_i16_e32 vcc_lo, v14, v7
	v_dual_cndmask_b32 v3, v3, v11 :: v_dual_cndmask_b32 v2, v2, v10
	s_delay_alu instid0(VALU_DEP_3) | instskip(NEXT) | instid1(VALU_DEP_1)
	v_dual_cndmask_b32 v1, v9, v1 :: v_dual_cndmask_b32 v0, v8, v0
	v_cmp_ge_u64_e32 vcc_lo, v[0:1], v[2:3]
	s_or_b32 s0, vcc_lo, s0
	s_delay_alu instid0(SALU_CYCLE_1)
	s_and_not1_b32 exec_lo, exec_lo, s0
	s_cbranch_execnz .LBB443_3
; %bb.4:
	s_or_b32 exec_lo, exec_lo, s0
.LBB443_5:
	s_delay_alu instid0(SALU_CYCLE_1)
	s_or_b32 exec_lo, exec_lo, s2
	s_wait_kmcnt 0x0
	global_store_b32 v6, v0, s[4:5] scale_offset
.LBB443_6:
	s_endpgm
	.section	.rodata,"a",@progbits
	.p2align	6, 0x0
	.amdhsa_kernel _ZN7rocprim17ROCPRIM_400000_NS6detail17trampoline_kernelINS0_14default_configENS1_21merge_config_selectorINS0_5tupleIJssEEENS0_10empty_typeEEEZNS1_10merge_implIS3_NS0_12zip_iteratorINS5_IJN6thrust23THRUST_200600_302600_NS6detail15normal_iteratorINSC_10device_ptrIKsEEEESI_EEEEESK_NSA_INS5_IJNSE_INSF_IsEEEESM_EEEEEPS7_SP_SP_NSC_11hip_rocprim7__merge17predicate_wrapperIssNSC_7greaterIsEEEEEE10hipError_tPvRmT0_T1_T2_T3_T4_T5_mmT6_P12ihipStream_tbEUlT_E_NS1_11comp_targetILNS1_3genE0ELNS1_11target_archE4294967295ELNS1_3gpuE0ELNS1_3repE0EEENS1_30default_config_static_selectorELNS0_4arch9wavefront6targetE0EEEvS10_
		.amdhsa_group_segment_fixed_size 0
		.amdhsa_private_segment_fixed_size 0
		.amdhsa_kernarg_size 320
		.amdhsa_user_sgpr_count 2
		.amdhsa_user_sgpr_dispatch_ptr 0
		.amdhsa_user_sgpr_queue_ptr 0
		.amdhsa_user_sgpr_kernarg_segment_ptr 1
		.amdhsa_user_sgpr_dispatch_id 0
		.amdhsa_user_sgpr_kernarg_preload_length 0
		.amdhsa_user_sgpr_kernarg_preload_offset 0
		.amdhsa_user_sgpr_private_segment_size 0
		.amdhsa_wavefront_size32 1
		.amdhsa_uses_dynamic_stack 0
		.amdhsa_enable_private_segment 0
		.amdhsa_system_sgpr_workgroup_id_x 1
		.amdhsa_system_sgpr_workgroup_id_y 0
		.amdhsa_system_sgpr_workgroup_id_z 0
		.amdhsa_system_sgpr_workgroup_info 0
		.amdhsa_system_vgpr_workitem_id 0
		.amdhsa_next_free_vgpr 15
		.amdhsa_next_free_sgpr 14
		.amdhsa_named_barrier_count 0
		.amdhsa_reserve_vcc 1
		.amdhsa_float_round_mode_32 0
		.amdhsa_float_round_mode_16_64 0
		.amdhsa_float_denorm_mode_32 3
		.amdhsa_float_denorm_mode_16_64 3
		.amdhsa_fp16_overflow 0
		.amdhsa_memory_ordered 1
		.amdhsa_forward_progress 1
		.amdhsa_inst_pref_size 4
		.amdhsa_round_robin_scheduling 0
		.amdhsa_exception_fp_ieee_invalid_op 0
		.amdhsa_exception_fp_denorm_src 0
		.amdhsa_exception_fp_ieee_div_zero 0
		.amdhsa_exception_fp_ieee_overflow 0
		.amdhsa_exception_fp_ieee_underflow 0
		.amdhsa_exception_fp_ieee_inexact 0
		.amdhsa_exception_int_div_zero 0
	.end_amdhsa_kernel
	.section	.text._ZN7rocprim17ROCPRIM_400000_NS6detail17trampoline_kernelINS0_14default_configENS1_21merge_config_selectorINS0_5tupleIJssEEENS0_10empty_typeEEEZNS1_10merge_implIS3_NS0_12zip_iteratorINS5_IJN6thrust23THRUST_200600_302600_NS6detail15normal_iteratorINSC_10device_ptrIKsEEEESI_EEEEESK_NSA_INS5_IJNSE_INSF_IsEEEESM_EEEEEPS7_SP_SP_NSC_11hip_rocprim7__merge17predicate_wrapperIssNSC_7greaterIsEEEEEE10hipError_tPvRmT0_T1_T2_T3_T4_T5_mmT6_P12ihipStream_tbEUlT_E_NS1_11comp_targetILNS1_3genE0ELNS1_11target_archE4294967295ELNS1_3gpuE0ELNS1_3repE0EEENS1_30default_config_static_selectorELNS0_4arch9wavefront6targetE0EEEvS10_,"axG",@progbits,_ZN7rocprim17ROCPRIM_400000_NS6detail17trampoline_kernelINS0_14default_configENS1_21merge_config_selectorINS0_5tupleIJssEEENS0_10empty_typeEEEZNS1_10merge_implIS3_NS0_12zip_iteratorINS5_IJN6thrust23THRUST_200600_302600_NS6detail15normal_iteratorINSC_10device_ptrIKsEEEESI_EEEEESK_NSA_INS5_IJNSE_INSF_IsEEEESM_EEEEEPS7_SP_SP_NSC_11hip_rocprim7__merge17predicate_wrapperIssNSC_7greaterIsEEEEEE10hipError_tPvRmT0_T1_T2_T3_T4_T5_mmT6_P12ihipStream_tbEUlT_E_NS1_11comp_targetILNS1_3genE0ELNS1_11target_archE4294967295ELNS1_3gpuE0ELNS1_3repE0EEENS1_30default_config_static_selectorELNS0_4arch9wavefront6targetE0EEEvS10_,comdat
.Lfunc_end443:
	.size	_ZN7rocprim17ROCPRIM_400000_NS6detail17trampoline_kernelINS0_14default_configENS1_21merge_config_selectorINS0_5tupleIJssEEENS0_10empty_typeEEEZNS1_10merge_implIS3_NS0_12zip_iteratorINS5_IJN6thrust23THRUST_200600_302600_NS6detail15normal_iteratorINSC_10device_ptrIKsEEEESI_EEEEESK_NSA_INS5_IJNSE_INSF_IsEEEESM_EEEEEPS7_SP_SP_NSC_11hip_rocprim7__merge17predicate_wrapperIssNSC_7greaterIsEEEEEE10hipError_tPvRmT0_T1_T2_T3_T4_T5_mmT6_P12ihipStream_tbEUlT_E_NS1_11comp_targetILNS1_3genE0ELNS1_11target_archE4294967295ELNS1_3gpuE0ELNS1_3repE0EEENS1_30default_config_static_selectorELNS0_4arch9wavefront6targetE0EEEvS10_, .Lfunc_end443-_ZN7rocprim17ROCPRIM_400000_NS6detail17trampoline_kernelINS0_14default_configENS1_21merge_config_selectorINS0_5tupleIJssEEENS0_10empty_typeEEEZNS1_10merge_implIS3_NS0_12zip_iteratorINS5_IJN6thrust23THRUST_200600_302600_NS6detail15normal_iteratorINSC_10device_ptrIKsEEEESI_EEEEESK_NSA_INS5_IJNSE_INSF_IsEEEESM_EEEEEPS7_SP_SP_NSC_11hip_rocprim7__merge17predicate_wrapperIssNSC_7greaterIsEEEEEE10hipError_tPvRmT0_T1_T2_T3_T4_T5_mmT6_P12ihipStream_tbEUlT_E_NS1_11comp_targetILNS1_3genE0ELNS1_11target_archE4294967295ELNS1_3gpuE0ELNS1_3repE0EEENS1_30default_config_static_selectorELNS0_4arch9wavefront6targetE0EEEvS10_
                                        ; -- End function
	.set _ZN7rocprim17ROCPRIM_400000_NS6detail17trampoline_kernelINS0_14default_configENS1_21merge_config_selectorINS0_5tupleIJssEEENS0_10empty_typeEEEZNS1_10merge_implIS3_NS0_12zip_iteratorINS5_IJN6thrust23THRUST_200600_302600_NS6detail15normal_iteratorINSC_10device_ptrIKsEEEESI_EEEEESK_NSA_INS5_IJNSE_INSF_IsEEEESM_EEEEEPS7_SP_SP_NSC_11hip_rocprim7__merge17predicate_wrapperIssNSC_7greaterIsEEEEEE10hipError_tPvRmT0_T1_T2_T3_T4_T5_mmT6_P12ihipStream_tbEUlT_E_NS1_11comp_targetILNS1_3genE0ELNS1_11target_archE4294967295ELNS1_3gpuE0ELNS1_3repE0EEENS1_30default_config_static_selectorELNS0_4arch9wavefront6targetE0EEEvS10_.num_vgpr, 15
	.set _ZN7rocprim17ROCPRIM_400000_NS6detail17trampoline_kernelINS0_14default_configENS1_21merge_config_selectorINS0_5tupleIJssEEENS0_10empty_typeEEEZNS1_10merge_implIS3_NS0_12zip_iteratorINS5_IJN6thrust23THRUST_200600_302600_NS6detail15normal_iteratorINSC_10device_ptrIKsEEEESI_EEEEESK_NSA_INS5_IJNSE_INSF_IsEEEESM_EEEEEPS7_SP_SP_NSC_11hip_rocprim7__merge17predicate_wrapperIssNSC_7greaterIsEEEEEE10hipError_tPvRmT0_T1_T2_T3_T4_T5_mmT6_P12ihipStream_tbEUlT_E_NS1_11comp_targetILNS1_3genE0ELNS1_11target_archE4294967295ELNS1_3gpuE0ELNS1_3repE0EEENS1_30default_config_static_selectorELNS0_4arch9wavefront6targetE0EEEvS10_.num_agpr, 0
	.set _ZN7rocprim17ROCPRIM_400000_NS6detail17trampoline_kernelINS0_14default_configENS1_21merge_config_selectorINS0_5tupleIJssEEENS0_10empty_typeEEEZNS1_10merge_implIS3_NS0_12zip_iteratorINS5_IJN6thrust23THRUST_200600_302600_NS6detail15normal_iteratorINSC_10device_ptrIKsEEEESI_EEEEESK_NSA_INS5_IJNSE_INSF_IsEEEESM_EEEEEPS7_SP_SP_NSC_11hip_rocprim7__merge17predicate_wrapperIssNSC_7greaterIsEEEEEE10hipError_tPvRmT0_T1_T2_T3_T4_T5_mmT6_P12ihipStream_tbEUlT_E_NS1_11comp_targetILNS1_3genE0ELNS1_11target_archE4294967295ELNS1_3gpuE0ELNS1_3repE0EEENS1_30default_config_static_selectorELNS0_4arch9wavefront6targetE0EEEvS10_.numbered_sgpr, 14
	.set _ZN7rocprim17ROCPRIM_400000_NS6detail17trampoline_kernelINS0_14default_configENS1_21merge_config_selectorINS0_5tupleIJssEEENS0_10empty_typeEEEZNS1_10merge_implIS3_NS0_12zip_iteratorINS5_IJN6thrust23THRUST_200600_302600_NS6detail15normal_iteratorINSC_10device_ptrIKsEEEESI_EEEEESK_NSA_INS5_IJNSE_INSF_IsEEEESM_EEEEEPS7_SP_SP_NSC_11hip_rocprim7__merge17predicate_wrapperIssNSC_7greaterIsEEEEEE10hipError_tPvRmT0_T1_T2_T3_T4_T5_mmT6_P12ihipStream_tbEUlT_E_NS1_11comp_targetILNS1_3genE0ELNS1_11target_archE4294967295ELNS1_3gpuE0ELNS1_3repE0EEENS1_30default_config_static_selectorELNS0_4arch9wavefront6targetE0EEEvS10_.num_named_barrier, 0
	.set _ZN7rocprim17ROCPRIM_400000_NS6detail17trampoline_kernelINS0_14default_configENS1_21merge_config_selectorINS0_5tupleIJssEEENS0_10empty_typeEEEZNS1_10merge_implIS3_NS0_12zip_iteratorINS5_IJN6thrust23THRUST_200600_302600_NS6detail15normal_iteratorINSC_10device_ptrIKsEEEESI_EEEEESK_NSA_INS5_IJNSE_INSF_IsEEEESM_EEEEEPS7_SP_SP_NSC_11hip_rocprim7__merge17predicate_wrapperIssNSC_7greaterIsEEEEEE10hipError_tPvRmT0_T1_T2_T3_T4_T5_mmT6_P12ihipStream_tbEUlT_E_NS1_11comp_targetILNS1_3genE0ELNS1_11target_archE4294967295ELNS1_3gpuE0ELNS1_3repE0EEENS1_30default_config_static_selectorELNS0_4arch9wavefront6targetE0EEEvS10_.private_seg_size, 0
	.set _ZN7rocprim17ROCPRIM_400000_NS6detail17trampoline_kernelINS0_14default_configENS1_21merge_config_selectorINS0_5tupleIJssEEENS0_10empty_typeEEEZNS1_10merge_implIS3_NS0_12zip_iteratorINS5_IJN6thrust23THRUST_200600_302600_NS6detail15normal_iteratorINSC_10device_ptrIKsEEEESI_EEEEESK_NSA_INS5_IJNSE_INSF_IsEEEESM_EEEEEPS7_SP_SP_NSC_11hip_rocprim7__merge17predicate_wrapperIssNSC_7greaterIsEEEEEE10hipError_tPvRmT0_T1_T2_T3_T4_T5_mmT6_P12ihipStream_tbEUlT_E_NS1_11comp_targetILNS1_3genE0ELNS1_11target_archE4294967295ELNS1_3gpuE0ELNS1_3repE0EEENS1_30default_config_static_selectorELNS0_4arch9wavefront6targetE0EEEvS10_.uses_vcc, 1
	.set _ZN7rocprim17ROCPRIM_400000_NS6detail17trampoline_kernelINS0_14default_configENS1_21merge_config_selectorINS0_5tupleIJssEEENS0_10empty_typeEEEZNS1_10merge_implIS3_NS0_12zip_iteratorINS5_IJN6thrust23THRUST_200600_302600_NS6detail15normal_iteratorINSC_10device_ptrIKsEEEESI_EEEEESK_NSA_INS5_IJNSE_INSF_IsEEEESM_EEEEEPS7_SP_SP_NSC_11hip_rocprim7__merge17predicate_wrapperIssNSC_7greaterIsEEEEEE10hipError_tPvRmT0_T1_T2_T3_T4_T5_mmT6_P12ihipStream_tbEUlT_E_NS1_11comp_targetILNS1_3genE0ELNS1_11target_archE4294967295ELNS1_3gpuE0ELNS1_3repE0EEENS1_30default_config_static_selectorELNS0_4arch9wavefront6targetE0EEEvS10_.uses_flat_scratch, 0
	.set _ZN7rocprim17ROCPRIM_400000_NS6detail17trampoline_kernelINS0_14default_configENS1_21merge_config_selectorINS0_5tupleIJssEEENS0_10empty_typeEEEZNS1_10merge_implIS3_NS0_12zip_iteratorINS5_IJN6thrust23THRUST_200600_302600_NS6detail15normal_iteratorINSC_10device_ptrIKsEEEESI_EEEEESK_NSA_INS5_IJNSE_INSF_IsEEEESM_EEEEEPS7_SP_SP_NSC_11hip_rocprim7__merge17predicate_wrapperIssNSC_7greaterIsEEEEEE10hipError_tPvRmT0_T1_T2_T3_T4_T5_mmT6_P12ihipStream_tbEUlT_E_NS1_11comp_targetILNS1_3genE0ELNS1_11target_archE4294967295ELNS1_3gpuE0ELNS1_3repE0EEENS1_30default_config_static_selectorELNS0_4arch9wavefront6targetE0EEEvS10_.has_dyn_sized_stack, 0
	.set _ZN7rocprim17ROCPRIM_400000_NS6detail17trampoline_kernelINS0_14default_configENS1_21merge_config_selectorINS0_5tupleIJssEEENS0_10empty_typeEEEZNS1_10merge_implIS3_NS0_12zip_iteratorINS5_IJN6thrust23THRUST_200600_302600_NS6detail15normal_iteratorINSC_10device_ptrIKsEEEESI_EEEEESK_NSA_INS5_IJNSE_INSF_IsEEEESM_EEEEEPS7_SP_SP_NSC_11hip_rocprim7__merge17predicate_wrapperIssNSC_7greaterIsEEEEEE10hipError_tPvRmT0_T1_T2_T3_T4_T5_mmT6_P12ihipStream_tbEUlT_E_NS1_11comp_targetILNS1_3genE0ELNS1_11target_archE4294967295ELNS1_3gpuE0ELNS1_3repE0EEENS1_30default_config_static_selectorELNS0_4arch9wavefront6targetE0EEEvS10_.has_recursion, 0
	.set _ZN7rocprim17ROCPRIM_400000_NS6detail17trampoline_kernelINS0_14default_configENS1_21merge_config_selectorINS0_5tupleIJssEEENS0_10empty_typeEEEZNS1_10merge_implIS3_NS0_12zip_iteratorINS5_IJN6thrust23THRUST_200600_302600_NS6detail15normal_iteratorINSC_10device_ptrIKsEEEESI_EEEEESK_NSA_INS5_IJNSE_INSF_IsEEEESM_EEEEEPS7_SP_SP_NSC_11hip_rocprim7__merge17predicate_wrapperIssNSC_7greaterIsEEEEEE10hipError_tPvRmT0_T1_T2_T3_T4_T5_mmT6_P12ihipStream_tbEUlT_E_NS1_11comp_targetILNS1_3genE0ELNS1_11target_archE4294967295ELNS1_3gpuE0ELNS1_3repE0EEENS1_30default_config_static_selectorELNS0_4arch9wavefront6targetE0EEEvS10_.has_indirect_call, 0
	.section	.AMDGPU.csdata,"",@progbits
; Kernel info:
; codeLenInByte = 480
; TotalNumSgprs: 16
; NumVgprs: 15
; ScratchSize: 0
; MemoryBound: 0
; FloatMode: 240
; IeeeMode: 1
; LDSByteSize: 0 bytes/workgroup (compile time only)
; SGPRBlocks: 0
; VGPRBlocks: 0
; NumSGPRsForWavesPerEU: 16
; NumVGPRsForWavesPerEU: 15
; NamedBarCnt: 0
; Occupancy: 16
; WaveLimiterHint : 0
; COMPUTE_PGM_RSRC2:SCRATCH_EN: 0
; COMPUTE_PGM_RSRC2:USER_SGPR: 2
; COMPUTE_PGM_RSRC2:TRAP_HANDLER: 0
; COMPUTE_PGM_RSRC2:TGID_X_EN: 1
; COMPUTE_PGM_RSRC2:TGID_Y_EN: 0
; COMPUTE_PGM_RSRC2:TGID_Z_EN: 0
; COMPUTE_PGM_RSRC2:TIDIG_COMP_CNT: 0
	.section	.text._ZN7rocprim17ROCPRIM_400000_NS6detail17trampoline_kernelINS0_14default_configENS1_21merge_config_selectorINS0_5tupleIJssEEENS0_10empty_typeEEEZNS1_10merge_implIS3_NS0_12zip_iteratorINS5_IJN6thrust23THRUST_200600_302600_NS6detail15normal_iteratorINSC_10device_ptrIKsEEEESI_EEEEESK_NSA_INS5_IJNSE_INSF_IsEEEESM_EEEEEPS7_SP_SP_NSC_11hip_rocprim7__merge17predicate_wrapperIssNSC_7greaterIsEEEEEE10hipError_tPvRmT0_T1_T2_T3_T4_T5_mmT6_P12ihipStream_tbEUlT_E_NS1_11comp_targetILNS1_3genE5ELNS1_11target_archE942ELNS1_3gpuE9ELNS1_3repE0EEENS1_30default_config_static_selectorELNS0_4arch9wavefront6targetE0EEEvS10_,"axG",@progbits,_ZN7rocprim17ROCPRIM_400000_NS6detail17trampoline_kernelINS0_14default_configENS1_21merge_config_selectorINS0_5tupleIJssEEENS0_10empty_typeEEEZNS1_10merge_implIS3_NS0_12zip_iteratorINS5_IJN6thrust23THRUST_200600_302600_NS6detail15normal_iteratorINSC_10device_ptrIKsEEEESI_EEEEESK_NSA_INS5_IJNSE_INSF_IsEEEESM_EEEEEPS7_SP_SP_NSC_11hip_rocprim7__merge17predicate_wrapperIssNSC_7greaterIsEEEEEE10hipError_tPvRmT0_T1_T2_T3_T4_T5_mmT6_P12ihipStream_tbEUlT_E_NS1_11comp_targetILNS1_3genE5ELNS1_11target_archE942ELNS1_3gpuE9ELNS1_3repE0EEENS1_30default_config_static_selectorELNS0_4arch9wavefront6targetE0EEEvS10_,comdat
	.protected	_ZN7rocprim17ROCPRIM_400000_NS6detail17trampoline_kernelINS0_14default_configENS1_21merge_config_selectorINS0_5tupleIJssEEENS0_10empty_typeEEEZNS1_10merge_implIS3_NS0_12zip_iteratorINS5_IJN6thrust23THRUST_200600_302600_NS6detail15normal_iteratorINSC_10device_ptrIKsEEEESI_EEEEESK_NSA_INS5_IJNSE_INSF_IsEEEESM_EEEEEPS7_SP_SP_NSC_11hip_rocprim7__merge17predicate_wrapperIssNSC_7greaterIsEEEEEE10hipError_tPvRmT0_T1_T2_T3_T4_T5_mmT6_P12ihipStream_tbEUlT_E_NS1_11comp_targetILNS1_3genE5ELNS1_11target_archE942ELNS1_3gpuE9ELNS1_3repE0EEENS1_30default_config_static_selectorELNS0_4arch9wavefront6targetE0EEEvS10_ ; -- Begin function _ZN7rocprim17ROCPRIM_400000_NS6detail17trampoline_kernelINS0_14default_configENS1_21merge_config_selectorINS0_5tupleIJssEEENS0_10empty_typeEEEZNS1_10merge_implIS3_NS0_12zip_iteratorINS5_IJN6thrust23THRUST_200600_302600_NS6detail15normal_iteratorINSC_10device_ptrIKsEEEESI_EEEEESK_NSA_INS5_IJNSE_INSF_IsEEEESM_EEEEEPS7_SP_SP_NSC_11hip_rocprim7__merge17predicate_wrapperIssNSC_7greaterIsEEEEEE10hipError_tPvRmT0_T1_T2_T3_T4_T5_mmT6_P12ihipStream_tbEUlT_E_NS1_11comp_targetILNS1_3genE5ELNS1_11target_archE942ELNS1_3gpuE9ELNS1_3repE0EEENS1_30default_config_static_selectorELNS0_4arch9wavefront6targetE0EEEvS10_
	.globl	_ZN7rocprim17ROCPRIM_400000_NS6detail17trampoline_kernelINS0_14default_configENS1_21merge_config_selectorINS0_5tupleIJssEEENS0_10empty_typeEEEZNS1_10merge_implIS3_NS0_12zip_iteratorINS5_IJN6thrust23THRUST_200600_302600_NS6detail15normal_iteratorINSC_10device_ptrIKsEEEESI_EEEEESK_NSA_INS5_IJNSE_INSF_IsEEEESM_EEEEEPS7_SP_SP_NSC_11hip_rocprim7__merge17predicate_wrapperIssNSC_7greaterIsEEEEEE10hipError_tPvRmT0_T1_T2_T3_T4_T5_mmT6_P12ihipStream_tbEUlT_E_NS1_11comp_targetILNS1_3genE5ELNS1_11target_archE942ELNS1_3gpuE9ELNS1_3repE0EEENS1_30default_config_static_selectorELNS0_4arch9wavefront6targetE0EEEvS10_
	.p2align	8
	.type	_ZN7rocprim17ROCPRIM_400000_NS6detail17trampoline_kernelINS0_14default_configENS1_21merge_config_selectorINS0_5tupleIJssEEENS0_10empty_typeEEEZNS1_10merge_implIS3_NS0_12zip_iteratorINS5_IJN6thrust23THRUST_200600_302600_NS6detail15normal_iteratorINSC_10device_ptrIKsEEEESI_EEEEESK_NSA_INS5_IJNSE_INSF_IsEEEESM_EEEEEPS7_SP_SP_NSC_11hip_rocprim7__merge17predicate_wrapperIssNSC_7greaterIsEEEEEE10hipError_tPvRmT0_T1_T2_T3_T4_T5_mmT6_P12ihipStream_tbEUlT_E_NS1_11comp_targetILNS1_3genE5ELNS1_11target_archE942ELNS1_3gpuE9ELNS1_3repE0EEENS1_30default_config_static_selectorELNS0_4arch9wavefront6targetE0EEEvS10_,@function
_ZN7rocprim17ROCPRIM_400000_NS6detail17trampoline_kernelINS0_14default_configENS1_21merge_config_selectorINS0_5tupleIJssEEENS0_10empty_typeEEEZNS1_10merge_implIS3_NS0_12zip_iteratorINS5_IJN6thrust23THRUST_200600_302600_NS6detail15normal_iteratorINSC_10device_ptrIKsEEEESI_EEEEESK_NSA_INS5_IJNSE_INSF_IsEEEESM_EEEEEPS7_SP_SP_NSC_11hip_rocprim7__merge17predicate_wrapperIssNSC_7greaterIsEEEEEE10hipError_tPvRmT0_T1_T2_T3_T4_T5_mmT6_P12ihipStream_tbEUlT_E_NS1_11comp_targetILNS1_3genE5ELNS1_11target_archE942ELNS1_3gpuE9ELNS1_3repE0EEENS1_30default_config_static_selectorELNS0_4arch9wavefront6targetE0EEEvS10_: ; @_ZN7rocprim17ROCPRIM_400000_NS6detail17trampoline_kernelINS0_14default_configENS1_21merge_config_selectorINS0_5tupleIJssEEENS0_10empty_typeEEEZNS1_10merge_implIS3_NS0_12zip_iteratorINS5_IJN6thrust23THRUST_200600_302600_NS6detail15normal_iteratorINSC_10device_ptrIKsEEEESI_EEEEESK_NSA_INS5_IJNSE_INSF_IsEEEESM_EEEEEPS7_SP_SP_NSC_11hip_rocprim7__merge17predicate_wrapperIssNSC_7greaterIsEEEEEE10hipError_tPvRmT0_T1_T2_T3_T4_T5_mmT6_P12ihipStream_tbEUlT_E_NS1_11comp_targetILNS1_3genE5ELNS1_11target_archE942ELNS1_3gpuE9ELNS1_3repE0EEENS1_30default_config_static_selectorELNS0_4arch9wavefront6targetE0EEEvS10_
; %bb.0:
	.section	.rodata,"a",@progbits
	.p2align	6, 0x0
	.amdhsa_kernel _ZN7rocprim17ROCPRIM_400000_NS6detail17trampoline_kernelINS0_14default_configENS1_21merge_config_selectorINS0_5tupleIJssEEENS0_10empty_typeEEEZNS1_10merge_implIS3_NS0_12zip_iteratorINS5_IJN6thrust23THRUST_200600_302600_NS6detail15normal_iteratorINSC_10device_ptrIKsEEEESI_EEEEESK_NSA_INS5_IJNSE_INSF_IsEEEESM_EEEEEPS7_SP_SP_NSC_11hip_rocprim7__merge17predicate_wrapperIssNSC_7greaterIsEEEEEE10hipError_tPvRmT0_T1_T2_T3_T4_T5_mmT6_P12ihipStream_tbEUlT_E_NS1_11comp_targetILNS1_3genE5ELNS1_11target_archE942ELNS1_3gpuE9ELNS1_3repE0EEENS1_30default_config_static_selectorELNS0_4arch9wavefront6targetE0EEEvS10_
		.amdhsa_group_segment_fixed_size 0
		.amdhsa_private_segment_fixed_size 0
		.amdhsa_kernarg_size 64
		.amdhsa_user_sgpr_count 2
		.amdhsa_user_sgpr_dispatch_ptr 0
		.amdhsa_user_sgpr_queue_ptr 0
		.amdhsa_user_sgpr_kernarg_segment_ptr 1
		.amdhsa_user_sgpr_dispatch_id 0
		.amdhsa_user_sgpr_kernarg_preload_length 0
		.amdhsa_user_sgpr_kernarg_preload_offset 0
		.amdhsa_user_sgpr_private_segment_size 0
		.amdhsa_wavefront_size32 1
		.amdhsa_uses_dynamic_stack 0
		.amdhsa_enable_private_segment 0
		.amdhsa_system_sgpr_workgroup_id_x 1
		.amdhsa_system_sgpr_workgroup_id_y 0
		.amdhsa_system_sgpr_workgroup_id_z 0
		.amdhsa_system_sgpr_workgroup_info 0
		.amdhsa_system_vgpr_workitem_id 0
		.amdhsa_next_free_vgpr 1
		.amdhsa_next_free_sgpr 1
		.amdhsa_named_barrier_count 0
		.amdhsa_reserve_vcc 0
		.amdhsa_float_round_mode_32 0
		.amdhsa_float_round_mode_16_64 0
		.amdhsa_float_denorm_mode_32 3
		.amdhsa_float_denorm_mode_16_64 3
		.amdhsa_fp16_overflow 0
		.amdhsa_memory_ordered 1
		.amdhsa_forward_progress 1
		.amdhsa_inst_pref_size 0
		.amdhsa_round_robin_scheduling 0
		.amdhsa_exception_fp_ieee_invalid_op 0
		.amdhsa_exception_fp_denorm_src 0
		.amdhsa_exception_fp_ieee_div_zero 0
		.amdhsa_exception_fp_ieee_overflow 0
		.amdhsa_exception_fp_ieee_underflow 0
		.amdhsa_exception_fp_ieee_inexact 0
		.amdhsa_exception_int_div_zero 0
	.end_amdhsa_kernel
	.section	.text._ZN7rocprim17ROCPRIM_400000_NS6detail17trampoline_kernelINS0_14default_configENS1_21merge_config_selectorINS0_5tupleIJssEEENS0_10empty_typeEEEZNS1_10merge_implIS3_NS0_12zip_iteratorINS5_IJN6thrust23THRUST_200600_302600_NS6detail15normal_iteratorINSC_10device_ptrIKsEEEESI_EEEEESK_NSA_INS5_IJNSE_INSF_IsEEEESM_EEEEEPS7_SP_SP_NSC_11hip_rocprim7__merge17predicate_wrapperIssNSC_7greaterIsEEEEEE10hipError_tPvRmT0_T1_T2_T3_T4_T5_mmT6_P12ihipStream_tbEUlT_E_NS1_11comp_targetILNS1_3genE5ELNS1_11target_archE942ELNS1_3gpuE9ELNS1_3repE0EEENS1_30default_config_static_selectorELNS0_4arch9wavefront6targetE0EEEvS10_,"axG",@progbits,_ZN7rocprim17ROCPRIM_400000_NS6detail17trampoline_kernelINS0_14default_configENS1_21merge_config_selectorINS0_5tupleIJssEEENS0_10empty_typeEEEZNS1_10merge_implIS3_NS0_12zip_iteratorINS5_IJN6thrust23THRUST_200600_302600_NS6detail15normal_iteratorINSC_10device_ptrIKsEEEESI_EEEEESK_NSA_INS5_IJNSE_INSF_IsEEEESM_EEEEEPS7_SP_SP_NSC_11hip_rocprim7__merge17predicate_wrapperIssNSC_7greaterIsEEEEEE10hipError_tPvRmT0_T1_T2_T3_T4_T5_mmT6_P12ihipStream_tbEUlT_E_NS1_11comp_targetILNS1_3genE5ELNS1_11target_archE942ELNS1_3gpuE9ELNS1_3repE0EEENS1_30default_config_static_selectorELNS0_4arch9wavefront6targetE0EEEvS10_,comdat
.Lfunc_end444:
	.size	_ZN7rocprim17ROCPRIM_400000_NS6detail17trampoline_kernelINS0_14default_configENS1_21merge_config_selectorINS0_5tupleIJssEEENS0_10empty_typeEEEZNS1_10merge_implIS3_NS0_12zip_iteratorINS5_IJN6thrust23THRUST_200600_302600_NS6detail15normal_iteratorINSC_10device_ptrIKsEEEESI_EEEEESK_NSA_INS5_IJNSE_INSF_IsEEEESM_EEEEEPS7_SP_SP_NSC_11hip_rocprim7__merge17predicate_wrapperIssNSC_7greaterIsEEEEEE10hipError_tPvRmT0_T1_T2_T3_T4_T5_mmT6_P12ihipStream_tbEUlT_E_NS1_11comp_targetILNS1_3genE5ELNS1_11target_archE942ELNS1_3gpuE9ELNS1_3repE0EEENS1_30default_config_static_selectorELNS0_4arch9wavefront6targetE0EEEvS10_, .Lfunc_end444-_ZN7rocprim17ROCPRIM_400000_NS6detail17trampoline_kernelINS0_14default_configENS1_21merge_config_selectorINS0_5tupleIJssEEENS0_10empty_typeEEEZNS1_10merge_implIS3_NS0_12zip_iteratorINS5_IJN6thrust23THRUST_200600_302600_NS6detail15normal_iteratorINSC_10device_ptrIKsEEEESI_EEEEESK_NSA_INS5_IJNSE_INSF_IsEEEESM_EEEEEPS7_SP_SP_NSC_11hip_rocprim7__merge17predicate_wrapperIssNSC_7greaterIsEEEEEE10hipError_tPvRmT0_T1_T2_T3_T4_T5_mmT6_P12ihipStream_tbEUlT_E_NS1_11comp_targetILNS1_3genE5ELNS1_11target_archE942ELNS1_3gpuE9ELNS1_3repE0EEENS1_30default_config_static_selectorELNS0_4arch9wavefront6targetE0EEEvS10_
                                        ; -- End function
	.set _ZN7rocprim17ROCPRIM_400000_NS6detail17trampoline_kernelINS0_14default_configENS1_21merge_config_selectorINS0_5tupleIJssEEENS0_10empty_typeEEEZNS1_10merge_implIS3_NS0_12zip_iteratorINS5_IJN6thrust23THRUST_200600_302600_NS6detail15normal_iteratorINSC_10device_ptrIKsEEEESI_EEEEESK_NSA_INS5_IJNSE_INSF_IsEEEESM_EEEEEPS7_SP_SP_NSC_11hip_rocprim7__merge17predicate_wrapperIssNSC_7greaterIsEEEEEE10hipError_tPvRmT0_T1_T2_T3_T4_T5_mmT6_P12ihipStream_tbEUlT_E_NS1_11comp_targetILNS1_3genE5ELNS1_11target_archE942ELNS1_3gpuE9ELNS1_3repE0EEENS1_30default_config_static_selectorELNS0_4arch9wavefront6targetE0EEEvS10_.num_vgpr, 0
	.set _ZN7rocprim17ROCPRIM_400000_NS6detail17trampoline_kernelINS0_14default_configENS1_21merge_config_selectorINS0_5tupleIJssEEENS0_10empty_typeEEEZNS1_10merge_implIS3_NS0_12zip_iteratorINS5_IJN6thrust23THRUST_200600_302600_NS6detail15normal_iteratorINSC_10device_ptrIKsEEEESI_EEEEESK_NSA_INS5_IJNSE_INSF_IsEEEESM_EEEEEPS7_SP_SP_NSC_11hip_rocprim7__merge17predicate_wrapperIssNSC_7greaterIsEEEEEE10hipError_tPvRmT0_T1_T2_T3_T4_T5_mmT6_P12ihipStream_tbEUlT_E_NS1_11comp_targetILNS1_3genE5ELNS1_11target_archE942ELNS1_3gpuE9ELNS1_3repE0EEENS1_30default_config_static_selectorELNS0_4arch9wavefront6targetE0EEEvS10_.num_agpr, 0
	.set _ZN7rocprim17ROCPRIM_400000_NS6detail17trampoline_kernelINS0_14default_configENS1_21merge_config_selectorINS0_5tupleIJssEEENS0_10empty_typeEEEZNS1_10merge_implIS3_NS0_12zip_iteratorINS5_IJN6thrust23THRUST_200600_302600_NS6detail15normal_iteratorINSC_10device_ptrIKsEEEESI_EEEEESK_NSA_INS5_IJNSE_INSF_IsEEEESM_EEEEEPS7_SP_SP_NSC_11hip_rocprim7__merge17predicate_wrapperIssNSC_7greaterIsEEEEEE10hipError_tPvRmT0_T1_T2_T3_T4_T5_mmT6_P12ihipStream_tbEUlT_E_NS1_11comp_targetILNS1_3genE5ELNS1_11target_archE942ELNS1_3gpuE9ELNS1_3repE0EEENS1_30default_config_static_selectorELNS0_4arch9wavefront6targetE0EEEvS10_.numbered_sgpr, 0
	.set _ZN7rocprim17ROCPRIM_400000_NS6detail17trampoline_kernelINS0_14default_configENS1_21merge_config_selectorINS0_5tupleIJssEEENS0_10empty_typeEEEZNS1_10merge_implIS3_NS0_12zip_iteratorINS5_IJN6thrust23THRUST_200600_302600_NS6detail15normal_iteratorINSC_10device_ptrIKsEEEESI_EEEEESK_NSA_INS5_IJNSE_INSF_IsEEEESM_EEEEEPS7_SP_SP_NSC_11hip_rocprim7__merge17predicate_wrapperIssNSC_7greaterIsEEEEEE10hipError_tPvRmT0_T1_T2_T3_T4_T5_mmT6_P12ihipStream_tbEUlT_E_NS1_11comp_targetILNS1_3genE5ELNS1_11target_archE942ELNS1_3gpuE9ELNS1_3repE0EEENS1_30default_config_static_selectorELNS0_4arch9wavefront6targetE0EEEvS10_.num_named_barrier, 0
	.set _ZN7rocprim17ROCPRIM_400000_NS6detail17trampoline_kernelINS0_14default_configENS1_21merge_config_selectorINS0_5tupleIJssEEENS0_10empty_typeEEEZNS1_10merge_implIS3_NS0_12zip_iteratorINS5_IJN6thrust23THRUST_200600_302600_NS6detail15normal_iteratorINSC_10device_ptrIKsEEEESI_EEEEESK_NSA_INS5_IJNSE_INSF_IsEEEESM_EEEEEPS7_SP_SP_NSC_11hip_rocprim7__merge17predicate_wrapperIssNSC_7greaterIsEEEEEE10hipError_tPvRmT0_T1_T2_T3_T4_T5_mmT6_P12ihipStream_tbEUlT_E_NS1_11comp_targetILNS1_3genE5ELNS1_11target_archE942ELNS1_3gpuE9ELNS1_3repE0EEENS1_30default_config_static_selectorELNS0_4arch9wavefront6targetE0EEEvS10_.private_seg_size, 0
	.set _ZN7rocprim17ROCPRIM_400000_NS6detail17trampoline_kernelINS0_14default_configENS1_21merge_config_selectorINS0_5tupleIJssEEENS0_10empty_typeEEEZNS1_10merge_implIS3_NS0_12zip_iteratorINS5_IJN6thrust23THRUST_200600_302600_NS6detail15normal_iteratorINSC_10device_ptrIKsEEEESI_EEEEESK_NSA_INS5_IJNSE_INSF_IsEEEESM_EEEEEPS7_SP_SP_NSC_11hip_rocprim7__merge17predicate_wrapperIssNSC_7greaterIsEEEEEE10hipError_tPvRmT0_T1_T2_T3_T4_T5_mmT6_P12ihipStream_tbEUlT_E_NS1_11comp_targetILNS1_3genE5ELNS1_11target_archE942ELNS1_3gpuE9ELNS1_3repE0EEENS1_30default_config_static_selectorELNS0_4arch9wavefront6targetE0EEEvS10_.uses_vcc, 0
	.set _ZN7rocprim17ROCPRIM_400000_NS6detail17trampoline_kernelINS0_14default_configENS1_21merge_config_selectorINS0_5tupleIJssEEENS0_10empty_typeEEEZNS1_10merge_implIS3_NS0_12zip_iteratorINS5_IJN6thrust23THRUST_200600_302600_NS6detail15normal_iteratorINSC_10device_ptrIKsEEEESI_EEEEESK_NSA_INS5_IJNSE_INSF_IsEEEESM_EEEEEPS7_SP_SP_NSC_11hip_rocprim7__merge17predicate_wrapperIssNSC_7greaterIsEEEEEE10hipError_tPvRmT0_T1_T2_T3_T4_T5_mmT6_P12ihipStream_tbEUlT_E_NS1_11comp_targetILNS1_3genE5ELNS1_11target_archE942ELNS1_3gpuE9ELNS1_3repE0EEENS1_30default_config_static_selectorELNS0_4arch9wavefront6targetE0EEEvS10_.uses_flat_scratch, 0
	.set _ZN7rocprim17ROCPRIM_400000_NS6detail17trampoline_kernelINS0_14default_configENS1_21merge_config_selectorINS0_5tupleIJssEEENS0_10empty_typeEEEZNS1_10merge_implIS3_NS0_12zip_iteratorINS5_IJN6thrust23THRUST_200600_302600_NS6detail15normal_iteratorINSC_10device_ptrIKsEEEESI_EEEEESK_NSA_INS5_IJNSE_INSF_IsEEEESM_EEEEEPS7_SP_SP_NSC_11hip_rocprim7__merge17predicate_wrapperIssNSC_7greaterIsEEEEEE10hipError_tPvRmT0_T1_T2_T3_T4_T5_mmT6_P12ihipStream_tbEUlT_E_NS1_11comp_targetILNS1_3genE5ELNS1_11target_archE942ELNS1_3gpuE9ELNS1_3repE0EEENS1_30default_config_static_selectorELNS0_4arch9wavefront6targetE0EEEvS10_.has_dyn_sized_stack, 0
	.set _ZN7rocprim17ROCPRIM_400000_NS6detail17trampoline_kernelINS0_14default_configENS1_21merge_config_selectorINS0_5tupleIJssEEENS0_10empty_typeEEEZNS1_10merge_implIS3_NS0_12zip_iteratorINS5_IJN6thrust23THRUST_200600_302600_NS6detail15normal_iteratorINSC_10device_ptrIKsEEEESI_EEEEESK_NSA_INS5_IJNSE_INSF_IsEEEESM_EEEEEPS7_SP_SP_NSC_11hip_rocprim7__merge17predicate_wrapperIssNSC_7greaterIsEEEEEE10hipError_tPvRmT0_T1_T2_T3_T4_T5_mmT6_P12ihipStream_tbEUlT_E_NS1_11comp_targetILNS1_3genE5ELNS1_11target_archE942ELNS1_3gpuE9ELNS1_3repE0EEENS1_30default_config_static_selectorELNS0_4arch9wavefront6targetE0EEEvS10_.has_recursion, 0
	.set _ZN7rocprim17ROCPRIM_400000_NS6detail17trampoline_kernelINS0_14default_configENS1_21merge_config_selectorINS0_5tupleIJssEEENS0_10empty_typeEEEZNS1_10merge_implIS3_NS0_12zip_iteratorINS5_IJN6thrust23THRUST_200600_302600_NS6detail15normal_iteratorINSC_10device_ptrIKsEEEESI_EEEEESK_NSA_INS5_IJNSE_INSF_IsEEEESM_EEEEEPS7_SP_SP_NSC_11hip_rocprim7__merge17predicate_wrapperIssNSC_7greaterIsEEEEEE10hipError_tPvRmT0_T1_T2_T3_T4_T5_mmT6_P12ihipStream_tbEUlT_E_NS1_11comp_targetILNS1_3genE5ELNS1_11target_archE942ELNS1_3gpuE9ELNS1_3repE0EEENS1_30default_config_static_selectorELNS0_4arch9wavefront6targetE0EEEvS10_.has_indirect_call, 0
	.section	.AMDGPU.csdata,"",@progbits
; Kernel info:
; codeLenInByte = 0
; TotalNumSgprs: 0
; NumVgprs: 0
; ScratchSize: 0
; MemoryBound: 0
; FloatMode: 240
; IeeeMode: 1
; LDSByteSize: 0 bytes/workgroup (compile time only)
; SGPRBlocks: 0
; VGPRBlocks: 0
; NumSGPRsForWavesPerEU: 1
; NumVGPRsForWavesPerEU: 1
; NamedBarCnt: 0
; Occupancy: 16
; WaveLimiterHint : 0
; COMPUTE_PGM_RSRC2:SCRATCH_EN: 0
; COMPUTE_PGM_RSRC2:USER_SGPR: 2
; COMPUTE_PGM_RSRC2:TRAP_HANDLER: 0
; COMPUTE_PGM_RSRC2:TGID_X_EN: 1
; COMPUTE_PGM_RSRC2:TGID_Y_EN: 0
; COMPUTE_PGM_RSRC2:TGID_Z_EN: 0
; COMPUTE_PGM_RSRC2:TIDIG_COMP_CNT: 0
	.section	.text._ZN7rocprim17ROCPRIM_400000_NS6detail17trampoline_kernelINS0_14default_configENS1_21merge_config_selectorINS0_5tupleIJssEEENS0_10empty_typeEEEZNS1_10merge_implIS3_NS0_12zip_iteratorINS5_IJN6thrust23THRUST_200600_302600_NS6detail15normal_iteratorINSC_10device_ptrIKsEEEESI_EEEEESK_NSA_INS5_IJNSE_INSF_IsEEEESM_EEEEEPS7_SP_SP_NSC_11hip_rocprim7__merge17predicate_wrapperIssNSC_7greaterIsEEEEEE10hipError_tPvRmT0_T1_T2_T3_T4_T5_mmT6_P12ihipStream_tbEUlT_E_NS1_11comp_targetILNS1_3genE4ELNS1_11target_archE910ELNS1_3gpuE8ELNS1_3repE0EEENS1_30default_config_static_selectorELNS0_4arch9wavefront6targetE0EEEvS10_,"axG",@progbits,_ZN7rocprim17ROCPRIM_400000_NS6detail17trampoline_kernelINS0_14default_configENS1_21merge_config_selectorINS0_5tupleIJssEEENS0_10empty_typeEEEZNS1_10merge_implIS3_NS0_12zip_iteratorINS5_IJN6thrust23THRUST_200600_302600_NS6detail15normal_iteratorINSC_10device_ptrIKsEEEESI_EEEEESK_NSA_INS5_IJNSE_INSF_IsEEEESM_EEEEEPS7_SP_SP_NSC_11hip_rocprim7__merge17predicate_wrapperIssNSC_7greaterIsEEEEEE10hipError_tPvRmT0_T1_T2_T3_T4_T5_mmT6_P12ihipStream_tbEUlT_E_NS1_11comp_targetILNS1_3genE4ELNS1_11target_archE910ELNS1_3gpuE8ELNS1_3repE0EEENS1_30default_config_static_selectorELNS0_4arch9wavefront6targetE0EEEvS10_,comdat
	.protected	_ZN7rocprim17ROCPRIM_400000_NS6detail17trampoline_kernelINS0_14default_configENS1_21merge_config_selectorINS0_5tupleIJssEEENS0_10empty_typeEEEZNS1_10merge_implIS3_NS0_12zip_iteratorINS5_IJN6thrust23THRUST_200600_302600_NS6detail15normal_iteratorINSC_10device_ptrIKsEEEESI_EEEEESK_NSA_INS5_IJNSE_INSF_IsEEEESM_EEEEEPS7_SP_SP_NSC_11hip_rocprim7__merge17predicate_wrapperIssNSC_7greaterIsEEEEEE10hipError_tPvRmT0_T1_T2_T3_T4_T5_mmT6_P12ihipStream_tbEUlT_E_NS1_11comp_targetILNS1_3genE4ELNS1_11target_archE910ELNS1_3gpuE8ELNS1_3repE0EEENS1_30default_config_static_selectorELNS0_4arch9wavefront6targetE0EEEvS10_ ; -- Begin function _ZN7rocprim17ROCPRIM_400000_NS6detail17trampoline_kernelINS0_14default_configENS1_21merge_config_selectorINS0_5tupleIJssEEENS0_10empty_typeEEEZNS1_10merge_implIS3_NS0_12zip_iteratorINS5_IJN6thrust23THRUST_200600_302600_NS6detail15normal_iteratorINSC_10device_ptrIKsEEEESI_EEEEESK_NSA_INS5_IJNSE_INSF_IsEEEESM_EEEEEPS7_SP_SP_NSC_11hip_rocprim7__merge17predicate_wrapperIssNSC_7greaterIsEEEEEE10hipError_tPvRmT0_T1_T2_T3_T4_T5_mmT6_P12ihipStream_tbEUlT_E_NS1_11comp_targetILNS1_3genE4ELNS1_11target_archE910ELNS1_3gpuE8ELNS1_3repE0EEENS1_30default_config_static_selectorELNS0_4arch9wavefront6targetE0EEEvS10_
	.globl	_ZN7rocprim17ROCPRIM_400000_NS6detail17trampoline_kernelINS0_14default_configENS1_21merge_config_selectorINS0_5tupleIJssEEENS0_10empty_typeEEEZNS1_10merge_implIS3_NS0_12zip_iteratorINS5_IJN6thrust23THRUST_200600_302600_NS6detail15normal_iteratorINSC_10device_ptrIKsEEEESI_EEEEESK_NSA_INS5_IJNSE_INSF_IsEEEESM_EEEEEPS7_SP_SP_NSC_11hip_rocprim7__merge17predicate_wrapperIssNSC_7greaterIsEEEEEE10hipError_tPvRmT0_T1_T2_T3_T4_T5_mmT6_P12ihipStream_tbEUlT_E_NS1_11comp_targetILNS1_3genE4ELNS1_11target_archE910ELNS1_3gpuE8ELNS1_3repE0EEENS1_30default_config_static_selectorELNS0_4arch9wavefront6targetE0EEEvS10_
	.p2align	8
	.type	_ZN7rocprim17ROCPRIM_400000_NS6detail17trampoline_kernelINS0_14default_configENS1_21merge_config_selectorINS0_5tupleIJssEEENS0_10empty_typeEEEZNS1_10merge_implIS3_NS0_12zip_iteratorINS5_IJN6thrust23THRUST_200600_302600_NS6detail15normal_iteratorINSC_10device_ptrIKsEEEESI_EEEEESK_NSA_INS5_IJNSE_INSF_IsEEEESM_EEEEEPS7_SP_SP_NSC_11hip_rocprim7__merge17predicate_wrapperIssNSC_7greaterIsEEEEEE10hipError_tPvRmT0_T1_T2_T3_T4_T5_mmT6_P12ihipStream_tbEUlT_E_NS1_11comp_targetILNS1_3genE4ELNS1_11target_archE910ELNS1_3gpuE8ELNS1_3repE0EEENS1_30default_config_static_selectorELNS0_4arch9wavefront6targetE0EEEvS10_,@function
_ZN7rocprim17ROCPRIM_400000_NS6detail17trampoline_kernelINS0_14default_configENS1_21merge_config_selectorINS0_5tupleIJssEEENS0_10empty_typeEEEZNS1_10merge_implIS3_NS0_12zip_iteratorINS5_IJN6thrust23THRUST_200600_302600_NS6detail15normal_iteratorINSC_10device_ptrIKsEEEESI_EEEEESK_NSA_INS5_IJNSE_INSF_IsEEEESM_EEEEEPS7_SP_SP_NSC_11hip_rocprim7__merge17predicate_wrapperIssNSC_7greaterIsEEEEEE10hipError_tPvRmT0_T1_T2_T3_T4_T5_mmT6_P12ihipStream_tbEUlT_E_NS1_11comp_targetILNS1_3genE4ELNS1_11target_archE910ELNS1_3gpuE8ELNS1_3repE0EEENS1_30default_config_static_selectorELNS0_4arch9wavefront6targetE0EEEvS10_: ; @_ZN7rocprim17ROCPRIM_400000_NS6detail17trampoline_kernelINS0_14default_configENS1_21merge_config_selectorINS0_5tupleIJssEEENS0_10empty_typeEEEZNS1_10merge_implIS3_NS0_12zip_iteratorINS5_IJN6thrust23THRUST_200600_302600_NS6detail15normal_iteratorINSC_10device_ptrIKsEEEESI_EEEEESK_NSA_INS5_IJNSE_INSF_IsEEEESM_EEEEEPS7_SP_SP_NSC_11hip_rocprim7__merge17predicate_wrapperIssNSC_7greaterIsEEEEEE10hipError_tPvRmT0_T1_T2_T3_T4_T5_mmT6_P12ihipStream_tbEUlT_E_NS1_11comp_targetILNS1_3genE4ELNS1_11target_archE910ELNS1_3gpuE8ELNS1_3repE0EEENS1_30default_config_static_selectorELNS0_4arch9wavefront6targetE0EEEvS10_
; %bb.0:
	.section	.rodata,"a",@progbits
	.p2align	6, 0x0
	.amdhsa_kernel _ZN7rocprim17ROCPRIM_400000_NS6detail17trampoline_kernelINS0_14default_configENS1_21merge_config_selectorINS0_5tupleIJssEEENS0_10empty_typeEEEZNS1_10merge_implIS3_NS0_12zip_iteratorINS5_IJN6thrust23THRUST_200600_302600_NS6detail15normal_iteratorINSC_10device_ptrIKsEEEESI_EEEEESK_NSA_INS5_IJNSE_INSF_IsEEEESM_EEEEEPS7_SP_SP_NSC_11hip_rocprim7__merge17predicate_wrapperIssNSC_7greaterIsEEEEEE10hipError_tPvRmT0_T1_T2_T3_T4_T5_mmT6_P12ihipStream_tbEUlT_E_NS1_11comp_targetILNS1_3genE4ELNS1_11target_archE910ELNS1_3gpuE8ELNS1_3repE0EEENS1_30default_config_static_selectorELNS0_4arch9wavefront6targetE0EEEvS10_
		.amdhsa_group_segment_fixed_size 0
		.amdhsa_private_segment_fixed_size 0
		.amdhsa_kernarg_size 64
		.amdhsa_user_sgpr_count 2
		.amdhsa_user_sgpr_dispatch_ptr 0
		.amdhsa_user_sgpr_queue_ptr 0
		.amdhsa_user_sgpr_kernarg_segment_ptr 1
		.amdhsa_user_sgpr_dispatch_id 0
		.amdhsa_user_sgpr_kernarg_preload_length 0
		.amdhsa_user_sgpr_kernarg_preload_offset 0
		.amdhsa_user_sgpr_private_segment_size 0
		.amdhsa_wavefront_size32 1
		.amdhsa_uses_dynamic_stack 0
		.amdhsa_enable_private_segment 0
		.amdhsa_system_sgpr_workgroup_id_x 1
		.amdhsa_system_sgpr_workgroup_id_y 0
		.amdhsa_system_sgpr_workgroup_id_z 0
		.amdhsa_system_sgpr_workgroup_info 0
		.amdhsa_system_vgpr_workitem_id 0
		.amdhsa_next_free_vgpr 1
		.amdhsa_next_free_sgpr 1
		.amdhsa_named_barrier_count 0
		.amdhsa_reserve_vcc 0
		.amdhsa_float_round_mode_32 0
		.amdhsa_float_round_mode_16_64 0
		.amdhsa_float_denorm_mode_32 3
		.amdhsa_float_denorm_mode_16_64 3
		.amdhsa_fp16_overflow 0
		.amdhsa_memory_ordered 1
		.amdhsa_forward_progress 1
		.amdhsa_inst_pref_size 0
		.amdhsa_round_robin_scheduling 0
		.amdhsa_exception_fp_ieee_invalid_op 0
		.amdhsa_exception_fp_denorm_src 0
		.amdhsa_exception_fp_ieee_div_zero 0
		.amdhsa_exception_fp_ieee_overflow 0
		.amdhsa_exception_fp_ieee_underflow 0
		.amdhsa_exception_fp_ieee_inexact 0
		.amdhsa_exception_int_div_zero 0
	.end_amdhsa_kernel
	.section	.text._ZN7rocprim17ROCPRIM_400000_NS6detail17trampoline_kernelINS0_14default_configENS1_21merge_config_selectorINS0_5tupleIJssEEENS0_10empty_typeEEEZNS1_10merge_implIS3_NS0_12zip_iteratorINS5_IJN6thrust23THRUST_200600_302600_NS6detail15normal_iteratorINSC_10device_ptrIKsEEEESI_EEEEESK_NSA_INS5_IJNSE_INSF_IsEEEESM_EEEEEPS7_SP_SP_NSC_11hip_rocprim7__merge17predicate_wrapperIssNSC_7greaterIsEEEEEE10hipError_tPvRmT0_T1_T2_T3_T4_T5_mmT6_P12ihipStream_tbEUlT_E_NS1_11comp_targetILNS1_3genE4ELNS1_11target_archE910ELNS1_3gpuE8ELNS1_3repE0EEENS1_30default_config_static_selectorELNS0_4arch9wavefront6targetE0EEEvS10_,"axG",@progbits,_ZN7rocprim17ROCPRIM_400000_NS6detail17trampoline_kernelINS0_14default_configENS1_21merge_config_selectorINS0_5tupleIJssEEENS0_10empty_typeEEEZNS1_10merge_implIS3_NS0_12zip_iteratorINS5_IJN6thrust23THRUST_200600_302600_NS6detail15normal_iteratorINSC_10device_ptrIKsEEEESI_EEEEESK_NSA_INS5_IJNSE_INSF_IsEEEESM_EEEEEPS7_SP_SP_NSC_11hip_rocprim7__merge17predicate_wrapperIssNSC_7greaterIsEEEEEE10hipError_tPvRmT0_T1_T2_T3_T4_T5_mmT6_P12ihipStream_tbEUlT_E_NS1_11comp_targetILNS1_3genE4ELNS1_11target_archE910ELNS1_3gpuE8ELNS1_3repE0EEENS1_30default_config_static_selectorELNS0_4arch9wavefront6targetE0EEEvS10_,comdat
.Lfunc_end445:
	.size	_ZN7rocprim17ROCPRIM_400000_NS6detail17trampoline_kernelINS0_14default_configENS1_21merge_config_selectorINS0_5tupleIJssEEENS0_10empty_typeEEEZNS1_10merge_implIS3_NS0_12zip_iteratorINS5_IJN6thrust23THRUST_200600_302600_NS6detail15normal_iteratorINSC_10device_ptrIKsEEEESI_EEEEESK_NSA_INS5_IJNSE_INSF_IsEEEESM_EEEEEPS7_SP_SP_NSC_11hip_rocprim7__merge17predicate_wrapperIssNSC_7greaterIsEEEEEE10hipError_tPvRmT0_T1_T2_T3_T4_T5_mmT6_P12ihipStream_tbEUlT_E_NS1_11comp_targetILNS1_3genE4ELNS1_11target_archE910ELNS1_3gpuE8ELNS1_3repE0EEENS1_30default_config_static_selectorELNS0_4arch9wavefront6targetE0EEEvS10_, .Lfunc_end445-_ZN7rocprim17ROCPRIM_400000_NS6detail17trampoline_kernelINS0_14default_configENS1_21merge_config_selectorINS0_5tupleIJssEEENS0_10empty_typeEEEZNS1_10merge_implIS3_NS0_12zip_iteratorINS5_IJN6thrust23THRUST_200600_302600_NS6detail15normal_iteratorINSC_10device_ptrIKsEEEESI_EEEEESK_NSA_INS5_IJNSE_INSF_IsEEEESM_EEEEEPS7_SP_SP_NSC_11hip_rocprim7__merge17predicate_wrapperIssNSC_7greaterIsEEEEEE10hipError_tPvRmT0_T1_T2_T3_T4_T5_mmT6_P12ihipStream_tbEUlT_E_NS1_11comp_targetILNS1_3genE4ELNS1_11target_archE910ELNS1_3gpuE8ELNS1_3repE0EEENS1_30default_config_static_selectorELNS0_4arch9wavefront6targetE0EEEvS10_
                                        ; -- End function
	.set _ZN7rocprim17ROCPRIM_400000_NS6detail17trampoline_kernelINS0_14default_configENS1_21merge_config_selectorINS0_5tupleIJssEEENS0_10empty_typeEEEZNS1_10merge_implIS3_NS0_12zip_iteratorINS5_IJN6thrust23THRUST_200600_302600_NS6detail15normal_iteratorINSC_10device_ptrIKsEEEESI_EEEEESK_NSA_INS5_IJNSE_INSF_IsEEEESM_EEEEEPS7_SP_SP_NSC_11hip_rocprim7__merge17predicate_wrapperIssNSC_7greaterIsEEEEEE10hipError_tPvRmT0_T1_T2_T3_T4_T5_mmT6_P12ihipStream_tbEUlT_E_NS1_11comp_targetILNS1_3genE4ELNS1_11target_archE910ELNS1_3gpuE8ELNS1_3repE0EEENS1_30default_config_static_selectorELNS0_4arch9wavefront6targetE0EEEvS10_.num_vgpr, 0
	.set _ZN7rocprim17ROCPRIM_400000_NS6detail17trampoline_kernelINS0_14default_configENS1_21merge_config_selectorINS0_5tupleIJssEEENS0_10empty_typeEEEZNS1_10merge_implIS3_NS0_12zip_iteratorINS5_IJN6thrust23THRUST_200600_302600_NS6detail15normal_iteratorINSC_10device_ptrIKsEEEESI_EEEEESK_NSA_INS5_IJNSE_INSF_IsEEEESM_EEEEEPS7_SP_SP_NSC_11hip_rocprim7__merge17predicate_wrapperIssNSC_7greaterIsEEEEEE10hipError_tPvRmT0_T1_T2_T3_T4_T5_mmT6_P12ihipStream_tbEUlT_E_NS1_11comp_targetILNS1_3genE4ELNS1_11target_archE910ELNS1_3gpuE8ELNS1_3repE0EEENS1_30default_config_static_selectorELNS0_4arch9wavefront6targetE0EEEvS10_.num_agpr, 0
	.set _ZN7rocprim17ROCPRIM_400000_NS6detail17trampoline_kernelINS0_14default_configENS1_21merge_config_selectorINS0_5tupleIJssEEENS0_10empty_typeEEEZNS1_10merge_implIS3_NS0_12zip_iteratorINS5_IJN6thrust23THRUST_200600_302600_NS6detail15normal_iteratorINSC_10device_ptrIKsEEEESI_EEEEESK_NSA_INS5_IJNSE_INSF_IsEEEESM_EEEEEPS7_SP_SP_NSC_11hip_rocprim7__merge17predicate_wrapperIssNSC_7greaterIsEEEEEE10hipError_tPvRmT0_T1_T2_T3_T4_T5_mmT6_P12ihipStream_tbEUlT_E_NS1_11comp_targetILNS1_3genE4ELNS1_11target_archE910ELNS1_3gpuE8ELNS1_3repE0EEENS1_30default_config_static_selectorELNS0_4arch9wavefront6targetE0EEEvS10_.numbered_sgpr, 0
	.set _ZN7rocprim17ROCPRIM_400000_NS6detail17trampoline_kernelINS0_14default_configENS1_21merge_config_selectorINS0_5tupleIJssEEENS0_10empty_typeEEEZNS1_10merge_implIS3_NS0_12zip_iteratorINS5_IJN6thrust23THRUST_200600_302600_NS6detail15normal_iteratorINSC_10device_ptrIKsEEEESI_EEEEESK_NSA_INS5_IJNSE_INSF_IsEEEESM_EEEEEPS7_SP_SP_NSC_11hip_rocprim7__merge17predicate_wrapperIssNSC_7greaterIsEEEEEE10hipError_tPvRmT0_T1_T2_T3_T4_T5_mmT6_P12ihipStream_tbEUlT_E_NS1_11comp_targetILNS1_3genE4ELNS1_11target_archE910ELNS1_3gpuE8ELNS1_3repE0EEENS1_30default_config_static_selectorELNS0_4arch9wavefront6targetE0EEEvS10_.num_named_barrier, 0
	.set _ZN7rocprim17ROCPRIM_400000_NS6detail17trampoline_kernelINS0_14default_configENS1_21merge_config_selectorINS0_5tupleIJssEEENS0_10empty_typeEEEZNS1_10merge_implIS3_NS0_12zip_iteratorINS5_IJN6thrust23THRUST_200600_302600_NS6detail15normal_iteratorINSC_10device_ptrIKsEEEESI_EEEEESK_NSA_INS5_IJNSE_INSF_IsEEEESM_EEEEEPS7_SP_SP_NSC_11hip_rocprim7__merge17predicate_wrapperIssNSC_7greaterIsEEEEEE10hipError_tPvRmT0_T1_T2_T3_T4_T5_mmT6_P12ihipStream_tbEUlT_E_NS1_11comp_targetILNS1_3genE4ELNS1_11target_archE910ELNS1_3gpuE8ELNS1_3repE0EEENS1_30default_config_static_selectorELNS0_4arch9wavefront6targetE0EEEvS10_.private_seg_size, 0
	.set _ZN7rocprim17ROCPRIM_400000_NS6detail17trampoline_kernelINS0_14default_configENS1_21merge_config_selectorINS0_5tupleIJssEEENS0_10empty_typeEEEZNS1_10merge_implIS3_NS0_12zip_iteratorINS5_IJN6thrust23THRUST_200600_302600_NS6detail15normal_iteratorINSC_10device_ptrIKsEEEESI_EEEEESK_NSA_INS5_IJNSE_INSF_IsEEEESM_EEEEEPS7_SP_SP_NSC_11hip_rocprim7__merge17predicate_wrapperIssNSC_7greaterIsEEEEEE10hipError_tPvRmT0_T1_T2_T3_T4_T5_mmT6_P12ihipStream_tbEUlT_E_NS1_11comp_targetILNS1_3genE4ELNS1_11target_archE910ELNS1_3gpuE8ELNS1_3repE0EEENS1_30default_config_static_selectorELNS0_4arch9wavefront6targetE0EEEvS10_.uses_vcc, 0
	.set _ZN7rocprim17ROCPRIM_400000_NS6detail17trampoline_kernelINS0_14default_configENS1_21merge_config_selectorINS0_5tupleIJssEEENS0_10empty_typeEEEZNS1_10merge_implIS3_NS0_12zip_iteratorINS5_IJN6thrust23THRUST_200600_302600_NS6detail15normal_iteratorINSC_10device_ptrIKsEEEESI_EEEEESK_NSA_INS5_IJNSE_INSF_IsEEEESM_EEEEEPS7_SP_SP_NSC_11hip_rocprim7__merge17predicate_wrapperIssNSC_7greaterIsEEEEEE10hipError_tPvRmT0_T1_T2_T3_T4_T5_mmT6_P12ihipStream_tbEUlT_E_NS1_11comp_targetILNS1_3genE4ELNS1_11target_archE910ELNS1_3gpuE8ELNS1_3repE0EEENS1_30default_config_static_selectorELNS0_4arch9wavefront6targetE0EEEvS10_.uses_flat_scratch, 0
	.set _ZN7rocprim17ROCPRIM_400000_NS6detail17trampoline_kernelINS0_14default_configENS1_21merge_config_selectorINS0_5tupleIJssEEENS0_10empty_typeEEEZNS1_10merge_implIS3_NS0_12zip_iteratorINS5_IJN6thrust23THRUST_200600_302600_NS6detail15normal_iteratorINSC_10device_ptrIKsEEEESI_EEEEESK_NSA_INS5_IJNSE_INSF_IsEEEESM_EEEEEPS7_SP_SP_NSC_11hip_rocprim7__merge17predicate_wrapperIssNSC_7greaterIsEEEEEE10hipError_tPvRmT0_T1_T2_T3_T4_T5_mmT6_P12ihipStream_tbEUlT_E_NS1_11comp_targetILNS1_3genE4ELNS1_11target_archE910ELNS1_3gpuE8ELNS1_3repE0EEENS1_30default_config_static_selectorELNS0_4arch9wavefront6targetE0EEEvS10_.has_dyn_sized_stack, 0
	.set _ZN7rocprim17ROCPRIM_400000_NS6detail17trampoline_kernelINS0_14default_configENS1_21merge_config_selectorINS0_5tupleIJssEEENS0_10empty_typeEEEZNS1_10merge_implIS3_NS0_12zip_iteratorINS5_IJN6thrust23THRUST_200600_302600_NS6detail15normal_iteratorINSC_10device_ptrIKsEEEESI_EEEEESK_NSA_INS5_IJNSE_INSF_IsEEEESM_EEEEEPS7_SP_SP_NSC_11hip_rocprim7__merge17predicate_wrapperIssNSC_7greaterIsEEEEEE10hipError_tPvRmT0_T1_T2_T3_T4_T5_mmT6_P12ihipStream_tbEUlT_E_NS1_11comp_targetILNS1_3genE4ELNS1_11target_archE910ELNS1_3gpuE8ELNS1_3repE0EEENS1_30default_config_static_selectorELNS0_4arch9wavefront6targetE0EEEvS10_.has_recursion, 0
	.set _ZN7rocprim17ROCPRIM_400000_NS6detail17trampoline_kernelINS0_14default_configENS1_21merge_config_selectorINS0_5tupleIJssEEENS0_10empty_typeEEEZNS1_10merge_implIS3_NS0_12zip_iteratorINS5_IJN6thrust23THRUST_200600_302600_NS6detail15normal_iteratorINSC_10device_ptrIKsEEEESI_EEEEESK_NSA_INS5_IJNSE_INSF_IsEEEESM_EEEEEPS7_SP_SP_NSC_11hip_rocprim7__merge17predicate_wrapperIssNSC_7greaterIsEEEEEE10hipError_tPvRmT0_T1_T2_T3_T4_T5_mmT6_P12ihipStream_tbEUlT_E_NS1_11comp_targetILNS1_3genE4ELNS1_11target_archE910ELNS1_3gpuE8ELNS1_3repE0EEENS1_30default_config_static_selectorELNS0_4arch9wavefront6targetE0EEEvS10_.has_indirect_call, 0
	.section	.AMDGPU.csdata,"",@progbits
; Kernel info:
; codeLenInByte = 0
; TotalNumSgprs: 0
; NumVgprs: 0
; ScratchSize: 0
; MemoryBound: 0
; FloatMode: 240
; IeeeMode: 1
; LDSByteSize: 0 bytes/workgroup (compile time only)
; SGPRBlocks: 0
; VGPRBlocks: 0
; NumSGPRsForWavesPerEU: 1
; NumVGPRsForWavesPerEU: 1
; NamedBarCnt: 0
; Occupancy: 16
; WaveLimiterHint : 0
; COMPUTE_PGM_RSRC2:SCRATCH_EN: 0
; COMPUTE_PGM_RSRC2:USER_SGPR: 2
; COMPUTE_PGM_RSRC2:TRAP_HANDLER: 0
; COMPUTE_PGM_RSRC2:TGID_X_EN: 1
; COMPUTE_PGM_RSRC2:TGID_Y_EN: 0
; COMPUTE_PGM_RSRC2:TGID_Z_EN: 0
; COMPUTE_PGM_RSRC2:TIDIG_COMP_CNT: 0
	.section	.text._ZN7rocprim17ROCPRIM_400000_NS6detail17trampoline_kernelINS0_14default_configENS1_21merge_config_selectorINS0_5tupleIJssEEENS0_10empty_typeEEEZNS1_10merge_implIS3_NS0_12zip_iteratorINS5_IJN6thrust23THRUST_200600_302600_NS6detail15normal_iteratorINSC_10device_ptrIKsEEEESI_EEEEESK_NSA_INS5_IJNSE_INSF_IsEEEESM_EEEEEPS7_SP_SP_NSC_11hip_rocprim7__merge17predicate_wrapperIssNSC_7greaterIsEEEEEE10hipError_tPvRmT0_T1_T2_T3_T4_T5_mmT6_P12ihipStream_tbEUlT_E_NS1_11comp_targetILNS1_3genE3ELNS1_11target_archE908ELNS1_3gpuE7ELNS1_3repE0EEENS1_30default_config_static_selectorELNS0_4arch9wavefront6targetE0EEEvS10_,"axG",@progbits,_ZN7rocprim17ROCPRIM_400000_NS6detail17trampoline_kernelINS0_14default_configENS1_21merge_config_selectorINS0_5tupleIJssEEENS0_10empty_typeEEEZNS1_10merge_implIS3_NS0_12zip_iteratorINS5_IJN6thrust23THRUST_200600_302600_NS6detail15normal_iteratorINSC_10device_ptrIKsEEEESI_EEEEESK_NSA_INS5_IJNSE_INSF_IsEEEESM_EEEEEPS7_SP_SP_NSC_11hip_rocprim7__merge17predicate_wrapperIssNSC_7greaterIsEEEEEE10hipError_tPvRmT0_T1_T2_T3_T4_T5_mmT6_P12ihipStream_tbEUlT_E_NS1_11comp_targetILNS1_3genE3ELNS1_11target_archE908ELNS1_3gpuE7ELNS1_3repE0EEENS1_30default_config_static_selectorELNS0_4arch9wavefront6targetE0EEEvS10_,comdat
	.protected	_ZN7rocprim17ROCPRIM_400000_NS6detail17trampoline_kernelINS0_14default_configENS1_21merge_config_selectorINS0_5tupleIJssEEENS0_10empty_typeEEEZNS1_10merge_implIS3_NS0_12zip_iteratorINS5_IJN6thrust23THRUST_200600_302600_NS6detail15normal_iteratorINSC_10device_ptrIKsEEEESI_EEEEESK_NSA_INS5_IJNSE_INSF_IsEEEESM_EEEEEPS7_SP_SP_NSC_11hip_rocprim7__merge17predicate_wrapperIssNSC_7greaterIsEEEEEE10hipError_tPvRmT0_T1_T2_T3_T4_T5_mmT6_P12ihipStream_tbEUlT_E_NS1_11comp_targetILNS1_3genE3ELNS1_11target_archE908ELNS1_3gpuE7ELNS1_3repE0EEENS1_30default_config_static_selectorELNS0_4arch9wavefront6targetE0EEEvS10_ ; -- Begin function _ZN7rocprim17ROCPRIM_400000_NS6detail17trampoline_kernelINS0_14default_configENS1_21merge_config_selectorINS0_5tupleIJssEEENS0_10empty_typeEEEZNS1_10merge_implIS3_NS0_12zip_iteratorINS5_IJN6thrust23THRUST_200600_302600_NS6detail15normal_iteratorINSC_10device_ptrIKsEEEESI_EEEEESK_NSA_INS5_IJNSE_INSF_IsEEEESM_EEEEEPS7_SP_SP_NSC_11hip_rocprim7__merge17predicate_wrapperIssNSC_7greaterIsEEEEEE10hipError_tPvRmT0_T1_T2_T3_T4_T5_mmT6_P12ihipStream_tbEUlT_E_NS1_11comp_targetILNS1_3genE3ELNS1_11target_archE908ELNS1_3gpuE7ELNS1_3repE0EEENS1_30default_config_static_selectorELNS0_4arch9wavefront6targetE0EEEvS10_
	.globl	_ZN7rocprim17ROCPRIM_400000_NS6detail17trampoline_kernelINS0_14default_configENS1_21merge_config_selectorINS0_5tupleIJssEEENS0_10empty_typeEEEZNS1_10merge_implIS3_NS0_12zip_iteratorINS5_IJN6thrust23THRUST_200600_302600_NS6detail15normal_iteratorINSC_10device_ptrIKsEEEESI_EEEEESK_NSA_INS5_IJNSE_INSF_IsEEEESM_EEEEEPS7_SP_SP_NSC_11hip_rocprim7__merge17predicate_wrapperIssNSC_7greaterIsEEEEEE10hipError_tPvRmT0_T1_T2_T3_T4_T5_mmT6_P12ihipStream_tbEUlT_E_NS1_11comp_targetILNS1_3genE3ELNS1_11target_archE908ELNS1_3gpuE7ELNS1_3repE0EEENS1_30default_config_static_selectorELNS0_4arch9wavefront6targetE0EEEvS10_
	.p2align	8
	.type	_ZN7rocprim17ROCPRIM_400000_NS6detail17trampoline_kernelINS0_14default_configENS1_21merge_config_selectorINS0_5tupleIJssEEENS0_10empty_typeEEEZNS1_10merge_implIS3_NS0_12zip_iteratorINS5_IJN6thrust23THRUST_200600_302600_NS6detail15normal_iteratorINSC_10device_ptrIKsEEEESI_EEEEESK_NSA_INS5_IJNSE_INSF_IsEEEESM_EEEEEPS7_SP_SP_NSC_11hip_rocprim7__merge17predicate_wrapperIssNSC_7greaterIsEEEEEE10hipError_tPvRmT0_T1_T2_T3_T4_T5_mmT6_P12ihipStream_tbEUlT_E_NS1_11comp_targetILNS1_3genE3ELNS1_11target_archE908ELNS1_3gpuE7ELNS1_3repE0EEENS1_30default_config_static_selectorELNS0_4arch9wavefront6targetE0EEEvS10_,@function
_ZN7rocprim17ROCPRIM_400000_NS6detail17trampoline_kernelINS0_14default_configENS1_21merge_config_selectorINS0_5tupleIJssEEENS0_10empty_typeEEEZNS1_10merge_implIS3_NS0_12zip_iteratorINS5_IJN6thrust23THRUST_200600_302600_NS6detail15normal_iteratorINSC_10device_ptrIKsEEEESI_EEEEESK_NSA_INS5_IJNSE_INSF_IsEEEESM_EEEEEPS7_SP_SP_NSC_11hip_rocprim7__merge17predicate_wrapperIssNSC_7greaterIsEEEEEE10hipError_tPvRmT0_T1_T2_T3_T4_T5_mmT6_P12ihipStream_tbEUlT_E_NS1_11comp_targetILNS1_3genE3ELNS1_11target_archE908ELNS1_3gpuE7ELNS1_3repE0EEENS1_30default_config_static_selectorELNS0_4arch9wavefront6targetE0EEEvS10_: ; @_ZN7rocprim17ROCPRIM_400000_NS6detail17trampoline_kernelINS0_14default_configENS1_21merge_config_selectorINS0_5tupleIJssEEENS0_10empty_typeEEEZNS1_10merge_implIS3_NS0_12zip_iteratorINS5_IJN6thrust23THRUST_200600_302600_NS6detail15normal_iteratorINSC_10device_ptrIKsEEEESI_EEEEESK_NSA_INS5_IJNSE_INSF_IsEEEESM_EEEEEPS7_SP_SP_NSC_11hip_rocprim7__merge17predicate_wrapperIssNSC_7greaterIsEEEEEE10hipError_tPvRmT0_T1_T2_T3_T4_T5_mmT6_P12ihipStream_tbEUlT_E_NS1_11comp_targetILNS1_3genE3ELNS1_11target_archE908ELNS1_3gpuE7ELNS1_3repE0EEENS1_30default_config_static_selectorELNS0_4arch9wavefront6targetE0EEEvS10_
; %bb.0:
	.section	.rodata,"a",@progbits
	.p2align	6, 0x0
	.amdhsa_kernel _ZN7rocprim17ROCPRIM_400000_NS6detail17trampoline_kernelINS0_14default_configENS1_21merge_config_selectorINS0_5tupleIJssEEENS0_10empty_typeEEEZNS1_10merge_implIS3_NS0_12zip_iteratorINS5_IJN6thrust23THRUST_200600_302600_NS6detail15normal_iteratorINSC_10device_ptrIKsEEEESI_EEEEESK_NSA_INS5_IJNSE_INSF_IsEEEESM_EEEEEPS7_SP_SP_NSC_11hip_rocprim7__merge17predicate_wrapperIssNSC_7greaterIsEEEEEE10hipError_tPvRmT0_T1_T2_T3_T4_T5_mmT6_P12ihipStream_tbEUlT_E_NS1_11comp_targetILNS1_3genE3ELNS1_11target_archE908ELNS1_3gpuE7ELNS1_3repE0EEENS1_30default_config_static_selectorELNS0_4arch9wavefront6targetE0EEEvS10_
		.amdhsa_group_segment_fixed_size 0
		.amdhsa_private_segment_fixed_size 0
		.amdhsa_kernarg_size 64
		.amdhsa_user_sgpr_count 2
		.amdhsa_user_sgpr_dispatch_ptr 0
		.amdhsa_user_sgpr_queue_ptr 0
		.amdhsa_user_sgpr_kernarg_segment_ptr 1
		.amdhsa_user_sgpr_dispatch_id 0
		.amdhsa_user_sgpr_kernarg_preload_length 0
		.amdhsa_user_sgpr_kernarg_preload_offset 0
		.amdhsa_user_sgpr_private_segment_size 0
		.amdhsa_wavefront_size32 1
		.amdhsa_uses_dynamic_stack 0
		.amdhsa_enable_private_segment 0
		.amdhsa_system_sgpr_workgroup_id_x 1
		.amdhsa_system_sgpr_workgroup_id_y 0
		.amdhsa_system_sgpr_workgroup_id_z 0
		.amdhsa_system_sgpr_workgroup_info 0
		.amdhsa_system_vgpr_workitem_id 0
		.amdhsa_next_free_vgpr 1
		.amdhsa_next_free_sgpr 1
		.amdhsa_named_barrier_count 0
		.amdhsa_reserve_vcc 0
		.amdhsa_float_round_mode_32 0
		.amdhsa_float_round_mode_16_64 0
		.amdhsa_float_denorm_mode_32 3
		.amdhsa_float_denorm_mode_16_64 3
		.amdhsa_fp16_overflow 0
		.amdhsa_memory_ordered 1
		.amdhsa_forward_progress 1
		.amdhsa_inst_pref_size 0
		.amdhsa_round_robin_scheduling 0
		.amdhsa_exception_fp_ieee_invalid_op 0
		.amdhsa_exception_fp_denorm_src 0
		.amdhsa_exception_fp_ieee_div_zero 0
		.amdhsa_exception_fp_ieee_overflow 0
		.amdhsa_exception_fp_ieee_underflow 0
		.amdhsa_exception_fp_ieee_inexact 0
		.amdhsa_exception_int_div_zero 0
	.end_amdhsa_kernel
	.section	.text._ZN7rocprim17ROCPRIM_400000_NS6detail17trampoline_kernelINS0_14default_configENS1_21merge_config_selectorINS0_5tupleIJssEEENS0_10empty_typeEEEZNS1_10merge_implIS3_NS0_12zip_iteratorINS5_IJN6thrust23THRUST_200600_302600_NS6detail15normal_iteratorINSC_10device_ptrIKsEEEESI_EEEEESK_NSA_INS5_IJNSE_INSF_IsEEEESM_EEEEEPS7_SP_SP_NSC_11hip_rocprim7__merge17predicate_wrapperIssNSC_7greaterIsEEEEEE10hipError_tPvRmT0_T1_T2_T3_T4_T5_mmT6_P12ihipStream_tbEUlT_E_NS1_11comp_targetILNS1_3genE3ELNS1_11target_archE908ELNS1_3gpuE7ELNS1_3repE0EEENS1_30default_config_static_selectorELNS0_4arch9wavefront6targetE0EEEvS10_,"axG",@progbits,_ZN7rocprim17ROCPRIM_400000_NS6detail17trampoline_kernelINS0_14default_configENS1_21merge_config_selectorINS0_5tupleIJssEEENS0_10empty_typeEEEZNS1_10merge_implIS3_NS0_12zip_iteratorINS5_IJN6thrust23THRUST_200600_302600_NS6detail15normal_iteratorINSC_10device_ptrIKsEEEESI_EEEEESK_NSA_INS5_IJNSE_INSF_IsEEEESM_EEEEEPS7_SP_SP_NSC_11hip_rocprim7__merge17predicate_wrapperIssNSC_7greaterIsEEEEEE10hipError_tPvRmT0_T1_T2_T3_T4_T5_mmT6_P12ihipStream_tbEUlT_E_NS1_11comp_targetILNS1_3genE3ELNS1_11target_archE908ELNS1_3gpuE7ELNS1_3repE0EEENS1_30default_config_static_selectorELNS0_4arch9wavefront6targetE0EEEvS10_,comdat
.Lfunc_end446:
	.size	_ZN7rocprim17ROCPRIM_400000_NS6detail17trampoline_kernelINS0_14default_configENS1_21merge_config_selectorINS0_5tupleIJssEEENS0_10empty_typeEEEZNS1_10merge_implIS3_NS0_12zip_iteratorINS5_IJN6thrust23THRUST_200600_302600_NS6detail15normal_iteratorINSC_10device_ptrIKsEEEESI_EEEEESK_NSA_INS5_IJNSE_INSF_IsEEEESM_EEEEEPS7_SP_SP_NSC_11hip_rocprim7__merge17predicate_wrapperIssNSC_7greaterIsEEEEEE10hipError_tPvRmT0_T1_T2_T3_T4_T5_mmT6_P12ihipStream_tbEUlT_E_NS1_11comp_targetILNS1_3genE3ELNS1_11target_archE908ELNS1_3gpuE7ELNS1_3repE0EEENS1_30default_config_static_selectorELNS0_4arch9wavefront6targetE0EEEvS10_, .Lfunc_end446-_ZN7rocprim17ROCPRIM_400000_NS6detail17trampoline_kernelINS0_14default_configENS1_21merge_config_selectorINS0_5tupleIJssEEENS0_10empty_typeEEEZNS1_10merge_implIS3_NS0_12zip_iteratorINS5_IJN6thrust23THRUST_200600_302600_NS6detail15normal_iteratorINSC_10device_ptrIKsEEEESI_EEEEESK_NSA_INS5_IJNSE_INSF_IsEEEESM_EEEEEPS7_SP_SP_NSC_11hip_rocprim7__merge17predicate_wrapperIssNSC_7greaterIsEEEEEE10hipError_tPvRmT0_T1_T2_T3_T4_T5_mmT6_P12ihipStream_tbEUlT_E_NS1_11comp_targetILNS1_3genE3ELNS1_11target_archE908ELNS1_3gpuE7ELNS1_3repE0EEENS1_30default_config_static_selectorELNS0_4arch9wavefront6targetE0EEEvS10_
                                        ; -- End function
	.set _ZN7rocprim17ROCPRIM_400000_NS6detail17trampoline_kernelINS0_14default_configENS1_21merge_config_selectorINS0_5tupleIJssEEENS0_10empty_typeEEEZNS1_10merge_implIS3_NS0_12zip_iteratorINS5_IJN6thrust23THRUST_200600_302600_NS6detail15normal_iteratorINSC_10device_ptrIKsEEEESI_EEEEESK_NSA_INS5_IJNSE_INSF_IsEEEESM_EEEEEPS7_SP_SP_NSC_11hip_rocprim7__merge17predicate_wrapperIssNSC_7greaterIsEEEEEE10hipError_tPvRmT0_T1_T2_T3_T4_T5_mmT6_P12ihipStream_tbEUlT_E_NS1_11comp_targetILNS1_3genE3ELNS1_11target_archE908ELNS1_3gpuE7ELNS1_3repE0EEENS1_30default_config_static_selectorELNS0_4arch9wavefront6targetE0EEEvS10_.num_vgpr, 0
	.set _ZN7rocprim17ROCPRIM_400000_NS6detail17trampoline_kernelINS0_14default_configENS1_21merge_config_selectorINS0_5tupleIJssEEENS0_10empty_typeEEEZNS1_10merge_implIS3_NS0_12zip_iteratorINS5_IJN6thrust23THRUST_200600_302600_NS6detail15normal_iteratorINSC_10device_ptrIKsEEEESI_EEEEESK_NSA_INS5_IJNSE_INSF_IsEEEESM_EEEEEPS7_SP_SP_NSC_11hip_rocprim7__merge17predicate_wrapperIssNSC_7greaterIsEEEEEE10hipError_tPvRmT0_T1_T2_T3_T4_T5_mmT6_P12ihipStream_tbEUlT_E_NS1_11comp_targetILNS1_3genE3ELNS1_11target_archE908ELNS1_3gpuE7ELNS1_3repE0EEENS1_30default_config_static_selectorELNS0_4arch9wavefront6targetE0EEEvS10_.num_agpr, 0
	.set _ZN7rocprim17ROCPRIM_400000_NS6detail17trampoline_kernelINS0_14default_configENS1_21merge_config_selectorINS0_5tupleIJssEEENS0_10empty_typeEEEZNS1_10merge_implIS3_NS0_12zip_iteratorINS5_IJN6thrust23THRUST_200600_302600_NS6detail15normal_iteratorINSC_10device_ptrIKsEEEESI_EEEEESK_NSA_INS5_IJNSE_INSF_IsEEEESM_EEEEEPS7_SP_SP_NSC_11hip_rocprim7__merge17predicate_wrapperIssNSC_7greaterIsEEEEEE10hipError_tPvRmT0_T1_T2_T3_T4_T5_mmT6_P12ihipStream_tbEUlT_E_NS1_11comp_targetILNS1_3genE3ELNS1_11target_archE908ELNS1_3gpuE7ELNS1_3repE0EEENS1_30default_config_static_selectorELNS0_4arch9wavefront6targetE0EEEvS10_.numbered_sgpr, 0
	.set _ZN7rocprim17ROCPRIM_400000_NS6detail17trampoline_kernelINS0_14default_configENS1_21merge_config_selectorINS0_5tupleIJssEEENS0_10empty_typeEEEZNS1_10merge_implIS3_NS0_12zip_iteratorINS5_IJN6thrust23THRUST_200600_302600_NS6detail15normal_iteratorINSC_10device_ptrIKsEEEESI_EEEEESK_NSA_INS5_IJNSE_INSF_IsEEEESM_EEEEEPS7_SP_SP_NSC_11hip_rocprim7__merge17predicate_wrapperIssNSC_7greaterIsEEEEEE10hipError_tPvRmT0_T1_T2_T3_T4_T5_mmT6_P12ihipStream_tbEUlT_E_NS1_11comp_targetILNS1_3genE3ELNS1_11target_archE908ELNS1_3gpuE7ELNS1_3repE0EEENS1_30default_config_static_selectorELNS0_4arch9wavefront6targetE0EEEvS10_.num_named_barrier, 0
	.set _ZN7rocprim17ROCPRIM_400000_NS6detail17trampoline_kernelINS0_14default_configENS1_21merge_config_selectorINS0_5tupleIJssEEENS0_10empty_typeEEEZNS1_10merge_implIS3_NS0_12zip_iteratorINS5_IJN6thrust23THRUST_200600_302600_NS6detail15normal_iteratorINSC_10device_ptrIKsEEEESI_EEEEESK_NSA_INS5_IJNSE_INSF_IsEEEESM_EEEEEPS7_SP_SP_NSC_11hip_rocprim7__merge17predicate_wrapperIssNSC_7greaterIsEEEEEE10hipError_tPvRmT0_T1_T2_T3_T4_T5_mmT6_P12ihipStream_tbEUlT_E_NS1_11comp_targetILNS1_3genE3ELNS1_11target_archE908ELNS1_3gpuE7ELNS1_3repE0EEENS1_30default_config_static_selectorELNS0_4arch9wavefront6targetE0EEEvS10_.private_seg_size, 0
	.set _ZN7rocprim17ROCPRIM_400000_NS6detail17trampoline_kernelINS0_14default_configENS1_21merge_config_selectorINS0_5tupleIJssEEENS0_10empty_typeEEEZNS1_10merge_implIS3_NS0_12zip_iteratorINS5_IJN6thrust23THRUST_200600_302600_NS6detail15normal_iteratorINSC_10device_ptrIKsEEEESI_EEEEESK_NSA_INS5_IJNSE_INSF_IsEEEESM_EEEEEPS7_SP_SP_NSC_11hip_rocprim7__merge17predicate_wrapperIssNSC_7greaterIsEEEEEE10hipError_tPvRmT0_T1_T2_T3_T4_T5_mmT6_P12ihipStream_tbEUlT_E_NS1_11comp_targetILNS1_3genE3ELNS1_11target_archE908ELNS1_3gpuE7ELNS1_3repE0EEENS1_30default_config_static_selectorELNS0_4arch9wavefront6targetE0EEEvS10_.uses_vcc, 0
	.set _ZN7rocprim17ROCPRIM_400000_NS6detail17trampoline_kernelINS0_14default_configENS1_21merge_config_selectorINS0_5tupleIJssEEENS0_10empty_typeEEEZNS1_10merge_implIS3_NS0_12zip_iteratorINS5_IJN6thrust23THRUST_200600_302600_NS6detail15normal_iteratorINSC_10device_ptrIKsEEEESI_EEEEESK_NSA_INS5_IJNSE_INSF_IsEEEESM_EEEEEPS7_SP_SP_NSC_11hip_rocprim7__merge17predicate_wrapperIssNSC_7greaterIsEEEEEE10hipError_tPvRmT0_T1_T2_T3_T4_T5_mmT6_P12ihipStream_tbEUlT_E_NS1_11comp_targetILNS1_3genE3ELNS1_11target_archE908ELNS1_3gpuE7ELNS1_3repE0EEENS1_30default_config_static_selectorELNS0_4arch9wavefront6targetE0EEEvS10_.uses_flat_scratch, 0
	.set _ZN7rocprim17ROCPRIM_400000_NS6detail17trampoline_kernelINS0_14default_configENS1_21merge_config_selectorINS0_5tupleIJssEEENS0_10empty_typeEEEZNS1_10merge_implIS3_NS0_12zip_iteratorINS5_IJN6thrust23THRUST_200600_302600_NS6detail15normal_iteratorINSC_10device_ptrIKsEEEESI_EEEEESK_NSA_INS5_IJNSE_INSF_IsEEEESM_EEEEEPS7_SP_SP_NSC_11hip_rocprim7__merge17predicate_wrapperIssNSC_7greaterIsEEEEEE10hipError_tPvRmT0_T1_T2_T3_T4_T5_mmT6_P12ihipStream_tbEUlT_E_NS1_11comp_targetILNS1_3genE3ELNS1_11target_archE908ELNS1_3gpuE7ELNS1_3repE0EEENS1_30default_config_static_selectorELNS0_4arch9wavefront6targetE0EEEvS10_.has_dyn_sized_stack, 0
	.set _ZN7rocprim17ROCPRIM_400000_NS6detail17trampoline_kernelINS0_14default_configENS1_21merge_config_selectorINS0_5tupleIJssEEENS0_10empty_typeEEEZNS1_10merge_implIS3_NS0_12zip_iteratorINS5_IJN6thrust23THRUST_200600_302600_NS6detail15normal_iteratorINSC_10device_ptrIKsEEEESI_EEEEESK_NSA_INS5_IJNSE_INSF_IsEEEESM_EEEEEPS7_SP_SP_NSC_11hip_rocprim7__merge17predicate_wrapperIssNSC_7greaterIsEEEEEE10hipError_tPvRmT0_T1_T2_T3_T4_T5_mmT6_P12ihipStream_tbEUlT_E_NS1_11comp_targetILNS1_3genE3ELNS1_11target_archE908ELNS1_3gpuE7ELNS1_3repE0EEENS1_30default_config_static_selectorELNS0_4arch9wavefront6targetE0EEEvS10_.has_recursion, 0
	.set _ZN7rocprim17ROCPRIM_400000_NS6detail17trampoline_kernelINS0_14default_configENS1_21merge_config_selectorINS0_5tupleIJssEEENS0_10empty_typeEEEZNS1_10merge_implIS3_NS0_12zip_iteratorINS5_IJN6thrust23THRUST_200600_302600_NS6detail15normal_iteratorINSC_10device_ptrIKsEEEESI_EEEEESK_NSA_INS5_IJNSE_INSF_IsEEEESM_EEEEEPS7_SP_SP_NSC_11hip_rocprim7__merge17predicate_wrapperIssNSC_7greaterIsEEEEEE10hipError_tPvRmT0_T1_T2_T3_T4_T5_mmT6_P12ihipStream_tbEUlT_E_NS1_11comp_targetILNS1_3genE3ELNS1_11target_archE908ELNS1_3gpuE7ELNS1_3repE0EEENS1_30default_config_static_selectorELNS0_4arch9wavefront6targetE0EEEvS10_.has_indirect_call, 0
	.section	.AMDGPU.csdata,"",@progbits
; Kernel info:
; codeLenInByte = 0
; TotalNumSgprs: 0
; NumVgprs: 0
; ScratchSize: 0
; MemoryBound: 0
; FloatMode: 240
; IeeeMode: 1
; LDSByteSize: 0 bytes/workgroup (compile time only)
; SGPRBlocks: 0
; VGPRBlocks: 0
; NumSGPRsForWavesPerEU: 1
; NumVGPRsForWavesPerEU: 1
; NamedBarCnt: 0
; Occupancy: 16
; WaveLimiterHint : 0
; COMPUTE_PGM_RSRC2:SCRATCH_EN: 0
; COMPUTE_PGM_RSRC2:USER_SGPR: 2
; COMPUTE_PGM_RSRC2:TRAP_HANDLER: 0
; COMPUTE_PGM_RSRC2:TGID_X_EN: 1
; COMPUTE_PGM_RSRC2:TGID_Y_EN: 0
; COMPUTE_PGM_RSRC2:TGID_Z_EN: 0
; COMPUTE_PGM_RSRC2:TIDIG_COMP_CNT: 0
	.section	.text._ZN7rocprim17ROCPRIM_400000_NS6detail17trampoline_kernelINS0_14default_configENS1_21merge_config_selectorINS0_5tupleIJssEEENS0_10empty_typeEEEZNS1_10merge_implIS3_NS0_12zip_iteratorINS5_IJN6thrust23THRUST_200600_302600_NS6detail15normal_iteratorINSC_10device_ptrIKsEEEESI_EEEEESK_NSA_INS5_IJNSE_INSF_IsEEEESM_EEEEEPS7_SP_SP_NSC_11hip_rocprim7__merge17predicate_wrapperIssNSC_7greaterIsEEEEEE10hipError_tPvRmT0_T1_T2_T3_T4_T5_mmT6_P12ihipStream_tbEUlT_E_NS1_11comp_targetILNS1_3genE2ELNS1_11target_archE906ELNS1_3gpuE6ELNS1_3repE0EEENS1_30default_config_static_selectorELNS0_4arch9wavefront6targetE0EEEvS10_,"axG",@progbits,_ZN7rocprim17ROCPRIM_400000_NS6detail17trampoline_kernelINS0_14default_configENS1_21merge_config_selectorINS0_5tupleIJssEEENS0_10empty_typeEEEZNS1_10merge_implIS3_NS0_12zip_iteratorINS5_IJN6thrust23THRUST_200600_302600_NS6detail15normal_iteratorINSC_10device_ptrIKsEEEESI_EEEEESK_NSA_INS5_IJNSE_INSF_IsEEEESM_EEEEEPS7_SP_SP_NSC_11hip_rocprim7__merge17predicate_wrapperIssNSC_7greaterIsEEEEEE10hipError_tPvRmT0_T1_T2_T3_T4_T5_mmT6_P12ihipStream_tbEUlT_E_NS1_11comp_targetILNS1_3genE2ELNS1_11target_archE906ELNS1_3gpuE6ELNS1_3repE0EEENS1_30default_config_static_selectorELNS0_4arch9wavefront6targetE0EEEvS10_,comdat
	.protected	_ZN7rocprim17ROCPRIM_400000_NS6detail17trampoline_kernelINS0_14default_configENS1_21merge_config_selectorINS0_5tupleIJssEEENS0_10empty_typeEEEZNS1_10merge_implIS3_NS0_12zip_iteratorINS5_IJN6thrust23THRUST_200600_302600_NS6detail15normal_iteratorINSC_10device_ptrIKsEEEESI_EEEEESK_NSA_INS5_IJNSE_INSF_IsEEEESM_EEEEEPS7_SP_SP_NSC_11hip_rocprim7__merge17predicate_wrapperIssNSC_7greaterIsEEEEEE10hipError_tPvRmT0_T1_T2_T3_T4_T5_mmT6_P12ihipStream_tbEUlT_E_NS1_11comp_targetILNS1_3genE2ELNS1_11target_archE906ELNS1_3gpuE6ELNS1_3repE0EEENS1_30default_config_static_selectorELNS0_4arch9wavefront6targetE0EEEvS10_ ; -- Begin function _ZN7rocprim17ROCPRIM_400000_NS6detail17trampoline_kernelINS0_14default_configENS1_21merge_config_selectorINS0_5tupleIJssEEENS0_10empty_typeEEEZNS1_10merge_implIS3_NS0_12zip_iteratorINS5_IJN6thrust23THRUST_200600_302600_NS6detail15normal_iteratorINSC_10device_ptrIKsEEEESI_EEEEESK_NSA_INS5_IJNSE_INSF_IsEEEESM_EEEEEPS7_SP_SP_NSC_11hip_rocprim7__merge17predicate_wrapperIssNSC_7greaterIsEEEEEE10hipError_tPvRmT0_T1_T2_T3_T4_T5_mmT6_P12ihipStream_tbEUlT_E_NS1_11comp_targetILNS1_3genE2ELNS1_11target_archE906ELNS1_3gpuE6ELNS1_3repE0EEENS1_30default_config_static_selectorELNS0_4arch9wavefront6targetE0EEEvS10_
	.globl	_ZN7rocprim17ROCPRIM_400000_NS6detail17trampoline_kernelINS0_14default_configENS1_21merge_config_selectorINS0_5tupleIJssEEENS0_10empty_typeEEEZNS1_10merge_implIS3_NS0_12zip_iteratorINS5_IJN6thrust23THRUST_200600_302600_NS6detail15normal_iteratorINSC_10device_ptrIKsEEEESI_EEEEESK_NSA_INS5_IJNSE_INSF_IsEEEESM_EEEEEPS7_SP_SP_NSC_11hip_rocprim7__merge17predicate_wrapperIssNSC_7greaterIsEEEEEE10hipError_tPvRmT0_T1_T2_T3_T4_T5_mmT6_P12ihipStream_tbEUlT_E_NS1_11comp_targetILNS1_3genE2ELNS1_11target_archE906ELNS1_3gpuE6ELNS1_3repE0EEENS1_30default_config_static_selectorELNS0_4arch9wavefront6targetE0EEEvS10_
	.p2align	8
	.type	_ZN7rocprim17ROCPRIM_400000_NS6detail17trampoline_kernelINS0_14default_configENS1_21merge_config_selectorINS0_5tupleIJssEEENS0_10empty_typeEEEZNS1_10merge_implIS3_NS0_12zip_iteratorINS5_IJN6thrust23THRUST_200600_302600_NS6detail15normal_iteratorINSC_10device_ptrIKsEEEESI_EEEEESK_NSA_INS5_IJNSE_INSF_IsEEEESM_EEEEEPS7_SP_SP_NSC_11hip_rocprim7__merge17predicate_wrapperIssNSC_7greaterIsEEEEEE10hipError_tPvRmT0_T1_T2_T3_T4_T5_mmT6_P12ihipStream_tbEUlT_E_NS1_11comp_targetILNS1_3genE2ELNS1_11target_archE906ELNS1_3gpuE6ELNS1_3repE0EEENS1_30default_config_static_selectorELNS0_4arch9wavefront6targetE0EEEvS10_,@function
_ZN7rocprim17ROCPRIM_400000_NS6detail17trampoline_kernelINS0_14default_configENS1_21merge_config_selectorINS0_5tupleIJssEEENS0_10empty_typeEEEZNS1_10merge_implIS3_NS0_12zip_iteratorINS5_IJN6thrust23THRUST_200600_302600_NS6detail15normal_iteratorINSC_10device_ptrIKsEEEESI_EEEEESK_NSA_INS5_IJNSE_INSF_IsEEEESM_EEEEEPS7_SP_SP_NSC_11hip_rocprim7__merge17predicate_wrapperIssNSC_7greaterIsEEEEEE10hipError_tPvRmT0_T1_T2_T3_T4_T5_mmT6_P12ihipStream_tbEUlT_E_NS1_11comp_targetILNS1_3genE2ELNS1_11target_archE906ELNS1_3gpuE6ELNS1_3repE0EEENS1_30default_config_static_selectorELNS0_4arch9wavefront6targetE0EEEvS10_: ; @_ZN7rocprim17ROCPRIM_400000_NS6detail17trampoline_kernelINS0_14default_configENS1_21merge_config_selectorINS0_5tupleIJssEEENS0_10empty_typeEEEZNS1_10merge_implIS3_NS0_12zip_iteratorINS5_IJN6thrust23THRUST_200600_302600_NS6detail15normal_iteratorINSC_10device_ptrIKsEEEESI_EEEEESK_NSA_INS5_IJNSE_INSF_IsEEEESM_EEEEEPS7_SP_SP_NSC_11hip_rocprim7__merge17predicate_wrapperIssNSC_7greaterIsEEEEEE10hipError_tPvRmT0_T1_T2_T3_T4_T5_mmT6_P12ihipStream_tbEUlT_E_NS1_11comp_targetILNS1_3genE2ELNS1_11target_archE906ELNS1_3gpuE6ELNS1_3repE0EEENS1_30default_config_static_selectorELNS0_4arch9wavefront6targetE0EEEvS10_
; %bb.0:
	.section	.rodata,"a",@progbits
	.p2align	6, 0x0
	.amdhsa_kernel _ZN7rocprim17ROCPRIM_400000_NS6detail17trampoline_kernelINS0_14default_configENS1_21merge_config_selectorINS0_5tupleIJssEEENS0_10empty_typeEEEZNS1_10merge_implIS3_NS0_12zip_iteratorINS5_IJN6thrust23THRUST_200600_302600_NS6detail15normal_iteratorINSC_10device_ptrIKsEEEESI_EEEEESK_NSA_INS5_IJNSE_INSF_IsEEEESM_EEEEEPS7_SP_SP_NSC_11hip_rocprim7__merge17predicate_wrapperIssNSC_7greaterIsEEEEEE10hipError_tPvRmT0_T1_T2_T3_T4_T5_mmT6_P12ihipStream_tbEUlT_E_NS1_11comp_targetILNS1_3genE2ELNS1_11target_archE906ELNS1_3gpuE6ELNS1_3repE0EEENS1_30default_config_static_selectorELNS0_4arch9wavefront6targetE0EEEvS10_
		.amdhsa_group_segment_fixed_size 0
		.amdhsa_private_segment_fixed_size 0
		.amdhsa_kernarg_size 64
		.amdhsa_user_sgpr_count 2
		.amdhsa_user_sgpr_dispatch_ptr 0
		.amdhsa_user_sgpr_queue_ptr 0
		.amdhsa_user_sgpr_kernarg_segment_ptr 1
		.amdhsa_user_sgpr_dispatch_id 0
		.amdhsa_user_sgpr_kernarg_preload_length 0
		.amdhsa_user_sgpr_kernarg_preload_offset 0
		.amdhsa_user_sgpr_private_segment_size 0
		.amdhsa_wavefront_size32 1
		.amdhsa_uses_dynamic_stack 0
		.amdhsa_enable_private_segment 0
		.amdhsa_system_sgpr_workgroup_id_x 1
		.amdhsa_system_sgpr_workgroup_id_y 0
		.amdhsa_system_sgpr_workgroup_id_z 0
		.amdhsa_system_sgpr_workgroup_info 0
		.amdhsa_system_vgpr_workitem_id 0
		.amdhsa_next_free_vgpr 1
		.amdhsa_next_free_sgpr 1
		.amdhsa_named_barrier_count 0
		.amdhsa_reserve_vcc 0
		.amdhsa_float_round_mode_32 0
		.amdhsa_float_round_mode_16_64 0
		.amdhsa_float_denorm_mode_32 3
		.amdhsa_float_denorm_mode_16_64 3
		.amdhsa_fp16_overflow 0
		.amdhsa_memory_ordered 1
		.amdhsa_forward_progress 1
		.amdhsa_inst_pref_size 0
		.amdhsa_round_robin_scheduling 0
		.amdhsa_exception_fp_ieee_invalid_op 0
		.amdhsa_exception_fp_denorm_src 0
		.amdhsa_exception_fp_ieee_div_zero 0
		.amdhsa_exception_fp_ieee_overflow 0
		.amdhsa_exception_fp_ieee_underflow 0
		.amdhsa_exception_fp_ieee_inexact 0
		.amdhsa_exception_int_div_zero 0
	.end_amdhsa_kernel
	.section	.text._ZN7rocprim17ROCPRIM_400000_NS6detail17trampoline_kernelINS0_14default_configENS1_21merge_config_selectorINS0_5tupleIJssEEENS0_10empty_typeEEEZNS1_10merge_implIS3_NS0_12zip_iteratorINS5_IJN6thrust23THRUST_200600_302600_NS6detail15normal_iteratorINSC_10device_ptrIKsEEEESI_EEEEESK_NSA_INS5_IJNSE_INSF_IsEEEESM_EEEEEPS7_SP_SP_NSC_11hip_rocprim7__merge17predicate_wrapperIssNSC_7greaterIsEEEEEE10hipError_tPvRmT0_T1_T2_T3_T4_T5_mmT6_P12ihipStream_tbEUlT_E_NS1_11comp_targetILNS1_3genE2ELNS1_11target_archE906ELNS1_3gpuE6ELNS1_3repE0EEENS1_30default_config_static_selectorELNS0_4arch9wavefront6targetE0EEEvS10_,"axG",@progbits,_ZN7rocprim17ROCPRIM_400000_NS6detail17trampoline_kernelINS0_14default_configENS1_21merge_config_selectorINS0_5tupleIJssEEENS0_10empty_typeEEEZNS1_10merge_implIS3_NS0_12zip_iteratorINS5_IJN6thrust23THRUST_200600_302600_NS6detail15normal_iteratorINSC_10device_ptrIKsEEEESI_EEEEESK_NSA_INS5_IJNSE_INSF_IsEEEESM_EEEEEPS7_SP_SP_NSC_11hip_rocprim7__merge17predicate_wrapperIssNSC_7greaterIsEEEEEE10hipError_tPvRmT0_T1_T2_T3_T4_T5_mmT6_P12ihipStream_tbEUlT_E_NS1_11comp_targetILNS1_3genE2ELNS1_11target_archE906ELNS1_3gpuE6ELNS1_3repE0EEENS1_30default_config_static_selectorELNS0_4arch9wavefront6targetE0EEEvS10_,comdat
.Lfunc_end447:
	.size	_ZN7rocprim17ROCPRIM_400000_NS6detail17trampoline_kernelINS0_14default_configENS1_21merge_config_selectorINS0_5tupleIJssEEENS0_10empty_typeEEEZNS1_10merge_implIS3_NS0_12zip_iteratorINS5_IJN6thrust23THRUST_200600_302600_NS6detail15normal_iteratorINSC_10device_ptrIKsEEEESI_EEEEESK_NSA_INS5_IJNSE_INSF_IsEEEESM_EEEEEPS7_SP_SP_NSC_11hip_rocprim7__merge17predicate_wrapperIssNSC_7greaterIsEEEEEE10hipError_tPvRmT0_T1_T2_T3_T4_T5_mmT6_P12ihipStream_tbEUlT_E_NS1_11comp_targetILNS1_3genE2ELNS1_11target_archE906ELNS1_3gpuE6ELNS1_3repE0EEENS1_30default_config_static_selectorELNS0_4arch9wavefront6targetE0EEEvS10_, .Lfunc_end447-_ZN7rocprim17ROCPRIM_400000_NS6detail17trampoline_kernelINS0_14default_configENS1_21merge_config_selectorINS0_5tupleIJssEEENS0_10empty_typeEEEZNS1_10merge_implIS3_NS0_12zip_iteratorINS5_IJN6thrust23THRUST_200600_302600_NS6detail15normal_iteratorINSC_10device_ptrIKsEEEESI_EEEEESK_NSA_INS5_IJNSE_INSF_IsEEEESM_EEEEEPS7_SP_SP_NSC_11hip_rocprim7__merge17predicate_wrapperIssNSC_7greaterIsEEEEEE10hipError_tPvRmT0_T1_T2_T3_T4_T5_mmT6_P12ihipStream_tbEUlT_E_NS1_11comp_targetILNS1_3genE2ELNS1_11target_archE906ELNS1_3gpuE6ELNS1_3repE0EEENS1_30default_config_static_selectorELNS0_4arch9wavefront6targetE0EEEvS10_
                                        ; -- End function
	.set _ZN7rocprim17ROCPRIM_400000_NS6detail17trampoline_kernelINS0_14default_configENS1_21merge_config_selectorINS0_5tupleIJssEEENS0_10empty_typeEEEZNS1_10merge_implIS3_NS0_12zip_iteratorINS5_IJN6thrust23THRUST_200600_302600_NS6detail15normal_iteratorINSC_10device_ptrIKsEEEESI_EEEEESK_NSA_INS5_IJNSE_INSF_IsEEEESM_EEEEEPS7_SP_SP_NSC_11hip_rocprim7__merge17predicate_wrapperIssNSC_7greaterIsEEEEEE10hipError_tPvRmT0_T1_T2_T3_T4_T5_mmT6_P12ihipStream_tbEUlT_E_NS1_11comp_targetILNS1_3genE2ELNS1_11target_archE906ELNS1_3gpuE6ELNS1_3repE0EEENS1_30default_config_static_selectorELNS0_4arch9wavefront6targetE0EEEvS10_.num_vgpr, 0
	.set _ZN7rocprim17ROCPRIM_400000_NS6detail17trampoline_kernelINS0_14default_configENS1_21merge_config_selectorINS0_5tupleIJssEEENS0_10empty_typeEEEZNS1_10merge_implIS3_NS0_12zip_iteratorINS5_IJN6thrust23THRUST_200600_302600_NS6detail15normal_iteratorINSC_10device_ptrIKsEEEESI_EEEEESK_NSA_INS5_IJNSE_INSF_IsEEEESM_EEEEEPS7_SP_SP_NSC_11hip_rocprim7__merge17predicate_wrapperIssNSC_7greaterIsEEEEEE10hipError_tPvRmT0_T1_T2_T3_T4_T5_mmT6_P12ihipStream_tbEUlT_E_NS1_11comp_targetILNS1_3genE2ELNS1_11target_archE906ELNS1_3gpuE6ELNS1_3repE0EEENS1_30default_config_static_selectorELNS0_4arch9wavefront6targetE0EEEvS10_.num_agpr, 0
	.set _ZN7rocprim17ROCPRIM_400000_NS6detail17trampoline_kernelINS0_14default_configENS1_21merge_config_selectorINS0_5tupleIJssEEENS0_10empty_typeEEEZNS1_10merge_implIS3_NS0_12zip_iteratorINS5_IJN6thrust23THRUST_200600_302600_NS6detail15normal_iteratorINSC_10device_ptrIKsEEEESI_EEEEESK_NSA_INS5_IJNSE_INSF_IsEEEESM_EEEEEPS7_SP_SP_NSC_11hip_rocprim7__merge17predicate_wrapperIssNSC_7greaterIsEEEEEE10hipError_tPvRmT0_T1_T2_T3_T4_T5_mmT6_P12ihipStream_tbEUlT_E_NS1_11comp_targetILNS1_3genE2ELNS1_11target_archE906ELNS1_3gpuE6ELNS1_3repE0EEENS1_30default_config_static_selectorELNS0_4arch9wavefront6targetE0EEEvS10_.numbered_sgpr, 0
	.set _ZN7rocprim17ROCPRIM_400000_NS6detail17trampoline_kernelINS0_14default_configENS1_21merge_config_selectorINS0_5tupleIJssEEENS0_10empty_typeEEEZNS1_10merge_implIS3_NS0_12zip_iteratorINS5_IJN6thrust23THRUST_200600_302600_NS6detail15normal_iteratorINSC_10device_ptrIKsEEEESI_EEEEESK_NSA_INS5_IJNSE_INSF_IsEEEESM_EEEEEPS7_SP_SP_NSC_11hip_rocprim7__merge17predicate_wrapperIssNSC_7greaterIsEEEEEE10hipError_tPvRmT0_T1_T2_T3_T4_T5_mmT6_P12ihipStream_tbEUlT_E_NS1_11comp_targetILNS1_3genE2ELNS1_11target_archE906ELNS1_3gpuE6ELNS1_3repE0EEENS1_30default_config_static_selectorELNS0_4arch9wavefront6targetE0EEEvS10_.num_named_barrier, 0
	.set _ZN7rocprim17ROCPRIM_400000_NS6detail17trampoline_kernelINS0_14default_configENS1_21merge_config_selectorINS0_5tupleIJssEEENS0_10empty_typeEEEZNS1_10merge_implIS3_NS0_12zip_iteratorINS5_IJN6thrust23THRUST_200600_302600_NS6detail15normal_iteratorINSC_10device_ptrIKsEEEESI_EEEEESK_NSA_INS5_IJNSE_INSF_IsEEEESM_EEEEEPS7_SP_SP_NSC_11hip_rocprim7__merge17predicate_wrapperIssNSC_7greaterIsEEEEEE10hipError_tPvRmT0_T1_T2_T3_T4_T5_mmT6_P12ihipStream_tbEUlT_E_NS1_11comp_targetILNS1_3genE2ELNS1_11target_archE906ELNS1_3gpuE6ELNS1_3repE0EEENS1_30default_config_static_selectorELNS0_4arch9wavefront6targetE0EEEvS10_.private_seg_size, 0
	.set _ZN7rocprim17ROCPRIM_400000_NS6detail17trampoline_kernelINS0_14default_configENS1_21merge_config_selectorINS0_5tupleIJssEEENS0_10empty_typeEEEZNS1_10merge_implIS3_NS0_12zip_iteratorINS5_IJN6thrust23THRUST_200600_302600_NS6detail15normal_iteratorINSC_10device_ptrIKsEEEESI_EEEEESK_NSA_INS5_IJNSE_INSF_IsEEEESM_EEEEEPS7_SP_SP_NSC_11hip_rocprim7__merge17predicate_wrapperIssNSC_7greaterIsEEEEEE10hipError_tPvRmT0_T1_T2_T3_T4_T5_mmT6_P12ihipStream_tbEUlT_E_NS1_11comp_targetILNS1_3genE2ELNS1_11target_archE906ELNS1_3gpuE6ELNS1_3repE0EEENS1_30default_config_static_selectorELNS0_4arch9wavefront6targetE0EEEvS10_.uses_vcc, 0
	.set _ZN7rocprim17ROCPRIM_400000_NS6detail17trampoline_kernelINS0_14default_configENS1_21merge_config_selectorINS0_5tupleIJssEEENS0_10empty_typeEEEZNS1_10merge_implIS3_NS0_12zip_iteratorINS5_IJN6thrust23THRUST_200600_302600_NS6detail15normal_iteratorINSC_10device_ptrIKsEEEESI_EEEEESK_NSA_INS5_IJNSE_INSF_IsEEEESM_EEEEEPS7_SP_SP_NSC_11hip_rocprim7__merge17predicate_wrapperIssNSC_7greaterIsEEEEEE10hipError_tPvRmT0_T1_T2_T3_T4_T5_mmT6_P12ihipStream_tbEUlT_E_NS1_11comp_targetILNS1_3genE2ELNS1_11target_archE906ELNS1_3gpuE6ELNS1_3repE0EEENS1_30default_config_static_selectorELNS0_4arch9wavefront6targetE0EEEvS10_.uses_flat_scratch, 0
	.set _ZN7rocprim17ROCPRIM_400000_NS6detail17trampoline_kernelINS0_14default_configENS1_21merge_config_selectorINS0_5tupleIJssEEENS0_10empty_typeEEEZNS1_10merge_implIS3_NS0_12zip_iteratorINS5_IJN6thrust23THRUST_200600_302600_NS6detail15normal_iteratorINSC_10device_ptrIKsEEEESI_EEEEESK_NSA_INS5_IJNSE_INSF_IsEEEESM_EEEEEPS7_SP_SP_NSC_11hip_rocprim7__merge17predicate_wrapperIssNSC_7greaterIsEEEEEE10hipError_tPvRmT0_T1_T2_T3_T4_T5_mmT6_P12ihipStream_tbEUlT_E_NS1_11comp_targetILNS1_3genE2ELNS1_11target_archE906ELNS1_3gpuE6ELNS1_3repE0EEENS1_30default_config_static_selectorELNS0_4arch9wavefront6targetE0EEEvS10_.has_dyn_sized_stack, 0
	.set _ZN7rocprim17ROCPRIM_400000_NS6detail17trampoline_kernelINS0_14default_configENS1_21merge_config_selectorINS0_5tupleIJssEEENS0_10empty_typeEEEZNS1_10merge_implIS3_NS0_12zip_iteratorINS5_IJN6thrust23THRUST_200600_302600_NS6detail15normal_iteratorINSC_10device_ptrIKsEEEESI_EEEEESK_NSA_INS5_IJNSE_INSF_IsEEEESM_EEEEEPS7_SP_SP_NSC_11hip_rocprim7__merge17predicate_wrapperIssNSC_7greaterIsEEEEEE10hipError_tPvRmT0_T1_T2_T3_T4_T5_mmT6_P12ihipStream_tbEUlT_E_NS1_11comp_targetILNS1_3genE2ELNS1_11target_archE906ELNS1_3gpuE6ELNS1_3repE0EEENS1_30default_config_static_selectorELNS0_4arch9wavefront6targetE0EEEvS10_.has_recursion, 0
	.set _ZN7rocprim17ROCPRIM_400000_NS6detail17trampoline_kernelINS0_14default_configENS1_21merge_config_selectorINS0_5tupleIJssEEENS0_10empty_typeEEEZNS1_10merge_implIS3_NS0_12zip_iteratorINS5_IJN6thrust23THRUST_200600_302600_NS6detail15normal_iteratorINSC_10device_ptrIKsEEEESI_EEEEESK_NSA_INS5_IJNSE_INSF_IsEEEESM_EEEEEPS7_SP_SP_NSC_11hip_rocprim7__merge17predicate_wrapperIssNSC_7greaterIsEEEEEE10hipError_tPvRmT0_T1_T2_T3_T4_T5_mmT6_P12ihipStream_tbEUlT_E_NS1_11comp_targetILNS1_3genE2ELNS1_11target_archE906ELNS1_3gpuE6ELNS1_3repE0EEENS1_30default_config_static_selectorELNS0_4arch9wavefront6targetE0EEEvS10_.has_indirect_call, 0
	.section	.AMDGPU.csdata,"",@progbits
; Kernel info:
; codeLenInByte = 0
; TotalNumSgprs: 0
; NumVgprs: 0
; ScratchSize: 0
; MemoryBound: 0
; FloatMode: 240
; IeeeMode: 1
; LDSByteSize: 0 bytes/workgroup (compile time only)
; SGPRBlocks: 0
; VGPRBlocks: 0
; NumSGPRsForWavesPerEU: 1
; NumVGPRsForWavesPerEU: 1
; NamedBarCnt: 0
; Occupancy: 16
; WaveLimiterHint : 0
; COMPUTE_PGM_RSRC2:SCRATCH_EN: 0
; COMPUTE_PGM_RSRC2:USER_SGPR: 2
; COMPUTE_PGM_RSRC2:TRAP_HANDLER: 0
; COMPUTE_PGM_RSRC2:TGID_X_EN: 1
; COMPUTE_PGM_RSRC2:TGID_Y_EN: 0
; COMPUTE_PGM_RSRC2:TGID_Z_EN: 0
; COMPUTE_PGM_RSRC2:TIDIG_COMP_CNT: 0
	.section	.text._ZN7rocprim17ROCPRIM_400000_NS6detail17trampoline_kernelINS0_14default_configENS1_21merge_config_selectorINS0_5tupleIJssEEENS0_10empty_typeEEEZNS1_10merge_implIS3_NS0_12zip_iteratorINS5_IJN6thrust23THRUST_200600_302600_NS6detail15normal_iteratorINSC_10device_ptrIKsEEEESI_EEEEESK_NSA_INS5_IJNSE_INSF_IsEEEESM_EEEEEPS7_SP_SP_NSC_11hip_rocprim7__merge17predicate_wrapperIssNSC_7greaterIsEEEEEE10hipError_tPvRmT0_T1_T2_T3_T4_T5_mmT6_P12ihipStream_tbEUlT_E_NS1_11comp_targetILNS1_3genE10ELNS1_11target_archE1201ELNS1_3gpuE5ELNS1_3repE0EEENS1_30default_config_static_selectorELNS0_4arch9wavefront6targetE0EEEvS10_,"axG",@progbits,_ZN7rocprim17ROCPRIM_400000_NS6detail17trampoline_kernelINS0_14default_configENS1_21merge_config_selectorINS0_5tupleIJssEEENS0_10empty_typeEEEZNS1_10merge_implIS3_NS0_12zip_iteratorINS5_IJN6thrust23THRUST_200600_302600_NS6detail15normal_iteratorINSC_10device_ptrIKsEEEESI_EEEEESK_NSA_INS5_IJNSE_INSF_IsEEEESM_EEEEEPS7_SP_SP_NSC_11hip_rocprim7__merge17predicate_wrapperIssNSC_7greaterIsEEEEEE10hipError_tPvRmT0_T1_T2_T3_T4_T5_mmT6_P12ihipStream_tbEUlT_E_NS1_11comp_targetILNS1_3genE10ELNS1_11target_archE1201ELNS1_3gpuE5ELNS1_3repE0EEENS1_30default_config_static_selectorELNS0_4arch9wavefront6targetE0EEEvS10_,comdat
	.protected	_ZN7rocprim17ROCPRIM_400000_NS6detail17trampoline_kernelINS0_14default_configENS1_21merge_config_selectorINS0_5tupleIJssEEENS0_10empty_typeEEEZNS1_10merge_implIS3_NS0_12zip_iteratorINS5_IJN6thrust23THRUST_200600_302600_NS6detail15normal_iteratorINSC_10device_ptrIKsEEEESI_EEEEESK_NSA_INS5_IJNSE_INSF_IsEEEESM_EEEEEPS7_SP_SP_NSC_11hip_rocprim7__merge17predicate_wrapperIssNSC_7greaterIsEEEEEE10hipError_tPvRmT0_T1_T2_T3_T4_T5_mmT6_P12ihipStream_tbEUlT_E_NS1_11comp_targetILNS1_3genE10ELNS1_11target_archE1201ELNS1_3gpuE5ELNS1_3repE0EEENS1_30default_config_static_selectorELNS0_4arch9wavefront6targetE0EEEvS10_ ; -- Begin function _ZN7rocprim17ROCPRIM_400000_NS6detail17trampoline_kernelINS0_14default_configENS1_21merge_config_selectorINS0_5tupleIJssEEENS0_10empty_typeEEEZNS1_10merge_implIS3_NS0_12zip_iteratorINS5_IJN6thrust23THRUST_200600_302600_NS6detail15normal_iteratorINSC_10device_ptrIKsEEEESI_EEEEESK_NSA_INS5_IJNSE_INSF_IsEEEESM_EEEEEPS7_SP_SP_NSC_11hip_rocprim7__merge17predicate_wrapperIssNSC_7greaterIsEEEEEE10hipError_tPvRmT0_T1_T2_T3_T4_T5_mmT6_P12ihipStream_tbEUlT_E_NS1_11comp_targetILNS1_3genE10ELNS1_11target_archE1201ELNS1_3gpuE5ELNS1_3repE0EEENS1_30default_config_static_selectorELNS0_4arch9wavefront6targetE0EEEvS10_
	.globl	_ZN7rocprim17ROCPRIM_400000_NS6detail17trampoline_kernelINS0_14default_configENS1_21merge_config_selectorINS0_5tupleIJssEEENS0_10empty_typeEEEZNS1_10merge_implIS3_NS0_12zip_iteratorINS5_IJN6thrust23THRUST_200600_302600_NS6detail15normal_iteratorINSC_10device_ptrIKsEEEESI_EEEEESK_NSA_INS5_IJNSE_INSF_IsEEEESM_EEEEEPS7_SP_SP_NSC_11hip_rocprim7__merge17predicate_wrapperIssNSC_7greaterIsEEEEEE10hipError_tPvRmT0_T1_T2_T3_T4_T5_mmT6_P12ihipStream_tbEUlT_E_NS1_11comp_targetILNS1_3genE10ELNS1_11target_archE1201ELNS1_3gpuE5ELNS1_3repE0EEENS1_30default_config_static_selectorELNS0_4arch9wavefront6targetE0EEEvS10_
	.p2align	8
	.type	_ZN7rocprim17ROCPRIM_400000_NS6detail17trampoline_kernelINS0_14default_configENS1_21merge_config_selectorINS0_5tupleIJssEEENS0_10empty_typeEEEZNS1_10merge_implIS3_NS0_12zip_iteratorINS5_IJN6thrust23THRUST_200600_302600_NS6detail15normal_iteratorINSC_10device_ptrIKsEEEESI_EEEEESK_NSA_INS5_IJNSE_INSF_IsEEEESM_EEEEEPS7_SP_SP_NSC_11hip_rocprim7__merge17predicate_wrapperIssNSC_7greaterIsEEEEEE10hipError_tPvRmT0_T1_T2_T3_T4_T5_mmT6_P12ihipStream_tbEUlT_E_NS1_11comp_targetILNS1_3genE10ELNS1_11target_archE1201ELNS1_3gpuE5ELNS1_3repE0EEENS1_30default_config_static_selectorELNS0_4arch9wavefront6targetE0EEEvS10_,@function
_ZN7rocprim17ROCPRIM_400000_NS6detail17trampoline_kernelINS0_14default_configENS1_21merge_config_selectorINS0_5tupleIJssEEENS0_10empty_typeEEEZNS1_10merge_implIS3_NS0_12zip_iteratorINS5_IJN6thrust23THRUST_200600_302600_NS6detail15normal_iteratorINSC_10device_ptrIKsEEEESI_EEEEESK_NSA_INS5_IJNSE_INSF_IsEEEESM_EEEEEPS7_SP_SP_NSC_11hip_rocprim7__merge17predicate_wrapperIssNSC_7greaterIsEEEEEE10hipError_tPvRmT0_T1_T2_T3_T4_T5_mmT6_P12ihipStream_tbEUlT_E_NS1_11comp_targetILNS1_3genE10ELNS1_11target_archE1201ELNS1_3gpuE5ELNS1_3repE0EEENS1_30default_config_static_selectorELNS0_4arch9wavefront6targetE0EEEvS10_: ; @_ZN7rocprim17ROCPRIM_400000_NS6detail17trampoline_kernelINS0_14default_configENS1_21merge_config_selectorINS0_5tupleIJssEEENS0_10empty_typeEEEZNS1_10merge_implIS3_NS0_12zip_iteratorINS5_IJN6thrust23THRUST_200600_302600_NS6detail15normal_iteratorINSC_10device_ptrIKsEEEESI_EEEEESK_NSA_INS5_IJNSE_INSF_IsEEEESM_EEEEEPS7_SP_SP_NSC_11hip_rocprim7__merge17predicate_wrapperIssNSC_7greaterIsEEEEEE10hipError_tPvRmT0_T1_T2_T3_T4_T5_mmT6_P12ihipStream_tbEUlT_E_NS1_11comp_targetILNS1_3genE10ELNS1_11target_archE1201ELNS1_3gpuE5ELNS1_3repE0EEENS1_30default_config_static_selectorELNS0_4arch9wavefront6targetE0EEEvS10_
; %bb.0:
	.section	.rodata,"a",@progbits
	.p2align	6, 0x0
	.amdhsa_kernel _ZN7rocprim17ROCPRIM_400000_NS6detail17trampoline_kernelINS0_14default_configENS1_21merge_config_selectorINS0_5tupleIJssEEENS0_10empty_typeEEEZNS1_10merge_implIS3_NS0_12zip_iteratorINS5_IJN6thrust23THRUST_200600_302600_NS6detail15normal_iteratorINSC_10device_ptrIKsEEEESI_EEEEESK_NSA_INS5_IJNSE_INSF_IsEEEESM_EEEEEPS7_SP_SP_NSC_11hip_rocprim7__merge17predicate_wrapperIssNSC_7greaterIsEEEEEE10hipError_tPvRmT0_T1_T2_T3_T4_T5_mmT6_P12ihipStream_tbEUlT_E_NS1_11comp_targetILNS1_3genE10ELNS1_11target_archE1201ELNS1_3gpuE5ELNS1_3repE0EEENS1_30default_config_static_selectorELNS0_4arch9wavefront6targetE0EEEvS10_
		.amdhsa_group_segment_fixed_size 0
		.amdhsa_private_segment_fixed_size 0
		.amdhsa_kernarg_size 64
		.amdhsa_user_sgpr_count 2
		.amdhsa_user_sgpr_dispatch_ptr 0
		.amdhsa_user_sgpr_queue_ptr 0
		.amdhsa_user_sgpr_kernarg_segment_ptr 1
		.amdhsa_user_sgpr_dispatch_id 0
		.amdhsa_user_sgpr_kernarg_preload_length 0
		.amdhsa_user_sgpr_kernarg_preload_offset 0
		.amdhsa_user_sgpr_private_segment_size 0
		.amdhsa_wavefront_size32 1
		.amdhsa_uses_dynamic_stack 0
		.amdhsa_enable_private_segment 0
		.amdhsa_system_sgpr_workgroup_id_x 1
		.amdhsa_system_sgpr_workgroup_id_y 0
		.amdhsa_system_sgpr_workgroup_id_z 0
		.amdhsa_system_sgpr_workgroup_info 0
		.amdhsa_system_vgpr_workitem_id 0
		.amdhsa_next_free_vgpr 1
		.amdhsa_next_free_sgpr 1
		.amdhsa_named_barrier_count 0
		.amdhsa_reserve_vcc 0
		.amdhsa_float_round_mode_32 0
		.amdhsa_float_round_mode_16_64 0
		.amdhsa_float_denorm_mode_32 3
		.amdhsa_float_denorm_mode_16_64 3
		.amdhsa_fp16_overflow 0
		.amdhsa_memory_ordered 1
		.amdhsa_forward_progress 1
		.amdhsa_inst_pref_size 0
		.amdhsa_round_robin_scheduling 0
		.amdhsa_exception_fp_ieee_invalid_op 0
		.amdhsa_exception_fp_denorm_src 0
		.amdhsa_exception_fp_ieee_div_zero 0
		.amdhsa_exception_fp_ieee_overflow 0
		.amdhsa_exception_fp_ieee_underflow 0
		.amdhsa_exception_fp_ieee_inexact 0
		.amdhsa_exception_int_div_zero 0
	.end_amdhsa_kernel
	.section	.text._ZN7rocprim17ROCPRIM_400000_NS6detail17trampoline_kernelINS0_14default_configENS1_21merge_config_selectorINS0_5tupleIJssEEENS0_10empty_typeEEEZNS1_10merge_implIS3_NS0_12zip_iteratorINS5_IJN6thrust23THRUST_200600_302600_NS6detail15normal_iteratorINSC_10device_ptrIKsEEEESI_EEEEESK_NSA_INS5_IJNSE_INSF_IsEEEESM_EEEEEPS7_SP_SP_NSC_11hip_rocprim7__merge17predicate_wrapperIssNSC_7greaterIsEEEEEE10hipError_tPvRmT0_T1_T2_T3_T4_T5_mmT6_P12ihipStream_tbEUlT_E_NS1_11comp_targetILNS1_3genE10ELNS1_11target_archE1201ELNS1_3gpuE5ELNS1_3repE0EEENS1_30default_config_static_selectorELNS0_4arch9wavefront6targetE0EEEvS10_,"axG",@progbits,_ZN7rocprim17ROCPRIM_400000_NS6detail17trampoline_kernelINS0_14default_configENS1_21merge_config_selectorINS0_5tupleIJssEEENS0_10empty_typeEEEZNS1_10merge_implIS3_NS0_12zip_iteratorINS5_IJN6thrust23THRUST_200600_302600_NS6detail15normal_iteratorINSC_10device_ptrIKsEEEESI_EEEEESK_NSA_INS5_IJNSE_INSF_IsEEEESM_EEEEEPS7_SP_SP_NSC_11hip_rocprim7__merge17predicate_wrapperIssNSC_7greaterIsEEEEEE10hipError_tPvRmT0_T1_T2_T3_T4_T5_mmT6_P12ihipStream_tbEUlT_E_NS1_11comp_targetILNS1_3genE10ELNS1_11target_archE1201ELNS1_3gpuE5ELNS1_3repE0EEENS1_30default_config_static_selectorELNS0_4arch9wavefront6targetE0EEEvS10_,comdat
.Lfunc_end448:
	.size	_ZN7rocprim17ROCPRIM_400000_NS6detail17trampoline_kernelINS0_14default_configENS1_21merge_config_selectorINS0_5tupleIJssEEENS0_10empty_typeEEEZNS1_10merge_implIS3_NS0_12zip_iteratorINS5_IJN6thrust23THRUST_200600_302600_NS6detail15normal_iteratorINSC_10device_ptrIKsEEEESI_EEEEESK_NSA_INS5_IJNSE_INSF_IsEEEESM_EEEEEPS7_SP_SP_NSC_11hip_rocprim7__merge17predicate_wrapperIssNSC_7greaterIsEEEEEE10hipError_tPvRmT0_T1_T2_T3_T4_T5_mmT6_P12ihipStream_tbEUlT_E_NS1_11comp_targetILNS1_3genE10ELNS1_11target_archE1201ELNS1_3gpuE5ELNS1_3repE0EEENS1_30default_config_static_selectorELNS0_4arch9wavefront6targetE0EEEvS10_, .Lfunc_end448-_ZN7rocprim17ROCPRIM_400000_NS6detail17trampoline_kernelINS0_14default_configENS1_21merge_config_selectorINS0_5tupleIJssEEENS0_10empty_typeEEEZNS1_10merge_implIS3_NS0_12zip_iteratorINS5_IJN6thrust23THRUST_200600_302600_NS6detail15normal_iteratorINSC_10device_ptrIKsEEEESI_EEEEESK_NSA_INS5_IJNSE_INSF_IsEEEESM_EEEEEPS7_SP_SP_NSC_11hip_rocprim7__merge17predicate_wrapperIssNSC_7greaterIsEEEEEE10hipError_tPvRmT0_T1_T2_T3_T4_T5_mmT6_P12ihipStream_tbEUlT_E_NS1_11comp_targetILNS1_3genE10ELNS1_11target_archE1201ELNS1_3gpuE5ELNS1_3repE0EEENS1_30default_config_static_selectorELNS0_4arch9wavefront6targetE0EEEvS10_
                                        ; -- End function
	.set _ZN7rocprim17ROCPRIM_400000_NS6detail17trampoline_kernelINS0_14default_configENS1_21merge_config_selectorINS0_5tupleIJssEEENS0_10empty_typeEEEZNS1_10merge_implIS3_NS0_12zip_iteratorINS5_IJN6thrust23THRUST_200600_302600_NS6detail15normal_iteratorINSC_10device_ptrIKsEEEESI_EEEEESK_NSA_INS5_IJNSE_INSF_IsEEEESM_EEEEEPS7_SP_SP_NSC_11hip_rocprim7__merge17predicate_wrapperIssNSC_7greaterIsEEEEEE10hipError_tPvRmT0_T1_T2_T3_T4_T5_mmT6_P12ihipStream_tbEUlT_E_NS1_11comp_targetILNS1_3genE10ELNS1_11target_archE1201ELNS1_3gpuE5ELNS1_3repE0EEENS1_30default_config_static_selectorELNS0_4arch9wavefront6targetE0EEEvS10_.num_vgpr, 0
	.set _ZN7rocprim17ROCPRIM_400000_NS6detail17trampoline_kernelINS0_14default_configENS1_21merge_config_selectorINS0_5tupleIJssEEENS0_10empty_typeEEEZNS1_10merge_implIS3_NS0_12zip_iteratorINS5_IJN6thrust23THRUST_200600_302600_NS6detail15normal_iteratorINSC_10device_ptrIKsEEEESI_EEEEESK_NSA_INS5_IJNSE_INSF_IsEEEESM_EEEEEPS7_SP_SP_NSC_11hip_rocprim7__merge17predicate_wrapperIssNSC_7greaterIsEEEEEE10hipError_tPvRmT0_T1_T2_T3_T4_T5_mmT6_P12ihipStream_tbEUlT_E_NS1_11comp_targetILNS1_3genE10ELNS1_11target_archE1201ELNS1_3gpuE5ELNS1_3repE0EEENS1_30default_config_static_selectorELNS0_4arch9wavefront6targetE0EEEvS10_.num_agpr, 0
	.set _ZN7rocprim17ROCPRIM_400000_NS6detail17trampoline_kernelINS0_14default_configENS1_21merge_config_selectorINS0_5tupleIJssEEENS0_10empty_typeEEEZNS1_10merge_implIS3_NS0_12zip_iteratorINS5_IJN6thrust23THRUST_200600_302600_NS6detail15normal_iteratorINSC_10device_ptrIKsEEEESI_EEEEESK_NSA_INS5_IJNSE_INSF_IsEEEESM_EEEEEPS7_SP_SP_NSC_11hip_rocprim7__merge17predicate_wrapperIssNSC_7greaterIsEEEEEE10hipError_tPvRmT0_T1_T2_T3_T4_T5_mmT6_P12ihipStream_tbEUlT_E_NS1_11comp_targetILNS1_3genE10ELNS1_11target_archE1201ELNS1_3gpuE5ELNS1_3repE0EEENS1_30default_config_static_selectorELNS0_4arch9wavefront6targetE0EEEvS10_.numbered_sgpr, 0
	.set _ZN7rocprim17ROCPRIM_400000_NS6detail17trampoline_kernelINS0_14default_configENS1_21merge_config_selectorINS0_5tupleIJssEEENS0_10empty_typeEEEZNS1_10merge_implIS3_NS0_12zip_iteratorINS5_IJN6thrust23THRUST_200600_302600_NS6detail15normal_iteratorINSC_10device_ptrIKsEEEESI_EEEEESK_NSA_INS5_IJNSE_INSF_IsEEEESM_EEEEEPS7_SP_SP_NSC_11hip_rocprim7__merge17predicate_wrapperIssNSC_7greaterIsEEEEEE10hipError_tPvRmT0_T1_T2_T3_T4_T5_mmT6_P12ihipStream_tbEUlT_E_NS1_11comp_targetILNS1_3genE10ELNS1_11target_archE1201ELNS1_3gpuE5ELNS1_3repE0EEENS1_30default_config_static_selectorELNS0_4arch9wavefront6targetE0EEEvS10_.num_named_barrier, 0
	.set _ZN7rocprim17ROCPRIM_400000_NS6detail17trampoline_kernelINS0_14default_configENS1_21merge_config_selectorINS0_5tupleIJssEEENS0_10empty_typeEEEZNS1_10merge_implIS3_NS0_12zip_iteratorINS5_IJN6thrust23THRUST_200600_302600_NS6detail15normal_iteratorINSC_10device_ptrIKsEEEESI_EEEEESK_NSA_INS5_IJNSE_INSF_IsEEEESM_EEEEEPS7_SP_SP_NSC_11hip_rocprim7__merge17predicate_wrapperIssNSC_7greaterIsEEEEEE10hipError_tPvRmT0_T1_T2_T3_T4_T5_mmT6_P12ihipStream_tbEUlT_E_NS1_11comp_targetILNS1_3genE10ELNS1_11target_archE1201ELNS1_3gpuE5ELNS1_3repE0EEENS1_30default_config_static_selectorELNS0_4arch9wavefront6targetE0EEEvS10_.private_seg_size, 0
	.set _ZN7rocprim17ROCPRIM_400000_NS6detail17trampoline_kernelINS0_14default_configENS1_21merge_config_selectorINS0_5tupleIJssEEENS0_10empty_typeEEEZNS1_10merge_implIS3_NS0_12zip_iteratorINS5_IJN6thrust23THRUST_200600_302600_NS6detail15normal_iteratorINSC_10device_ptrIKsEEEESI_EEEEESK_NSA_INS5_IJNSE_INSF_IsEEEESM_EEEEEPS7_SP_SP_NSC_11hip_rocprim7__merge17predicate_wrapperIssNSC_7greaterIsEEEEEE10hipError_tPvRmT0_T1_T2_T3_T4_T5_mmT6_P12ihipStream_tbEUlT_E_NS1_11comp_targetILNS1_3genE10ELNS1_11target_archE1201ELNS1_3gpuE5ELNS1_3repE0EEENS1_30default_config_static_selectorELNS0_4arch9wavefront6targetE0EEEvS10_.uses_vcc, 0
	.set _ZN7rocprim17ROCPRIM_400000_NS6detail17trampoline_kernelINS0_14default_configENS1_21merge_config_selectorINS0_5tupleIJssEEENS0_10empty_typeEEEZNS1_10merge_implIS3_NS0_12zip_iteratorINS5_IJN6thrust23THRUST_200600_302600_NS6detail15normal_iteratorINSC_10device_ptrIKsEEEESI_EEEEESK_NSA_INS5_IJNSE_INSF_IsEEEESM_EEEEEPS7_SP_SP_NSC_11hip_rocprim7__merge17predicate_wrapperIssNSC_7greaterIsEEEEEE10hipError_tPvRmT0_T1_T2_T3_T4_T5_mmT6_P12ihipStream_tbEUlT_E_NS1_11comp_targetILNS1_3genE10ELNS1_11target_archE1201ELNS1_3gpuE5ELNS1_3repE0EEENS1_30default_config_static_selectorELNS0_4arch9wavefront6targetE0EEEvS10_.uses_flat_scratch, 0
	.set _ZN7rocprim17ROCPRIM_400000_NS6detail17trampoline_kernelINS0_14default_configENS1_21merge_config_selectorINS0_5tupleIJssEEENS0_10empty_typeEEEZNS1_10merge_implIS3_NS0_12zip_iteratorINS5_IJN6thrust23THRUST_200600_302600_NS6detail15normal_iteratorINSC_10device_ptrIKsEEEESI_EEEEESK_NSA_INS5_IJNSE_INSF_IsEEEESM_EEEEEPS7_SP_SP_NSC_11hip_rocprim7__merge17predicate_wrapperIssNSC_7greaterIsEEEEEE10hipError_tPvRmT0_T1_T2_T3_T4_T5_mmT6_P12ihipStream_tbEUlT_E_NS1_11comp_targetILNS1_3genE10ELNS1_11target_archE1201ELNS1_3gpuE5ELNS1_3repE0EEENS1_30default_config_static_selectorELNS0_4arch9wavefront6targetE0EEEvS10_.has_dyn_sized_stack, 0
	.set _ZN7rocprim17ROCPRIM_400000_NS6detail17trampoline_kernelINS0_14default_configENS1_21merge_config_selectorINS0_5tupleIJssEEENS0_10empty_typeEEEZNS1_10merge_implIS3_NS0_12zip_iteratorINS5_IJN6thrust23THRUST_200600_302600_NS6detail15normal_iteratorINSC_10device_ptrIKsEEEESI_EEEEESK_NSA_INS5_IJNSE_INSF_IsEEEESM_EEEEEPS7_SP_SP_NSC_11hip_rocprim7__merge17predicate_wrapperIssNSC_7greaterIsEEEEEE10hipError_tPvRmT0_T1_T2_T3_T4_T5_mmT6_P12ihipStream_tbEUlT_E_NS1_11comp_targetILNS1_3genE10ELNS1_11target_archE1201ELNS1_3gpuE5ELNS1_3repE0EEENS1_30default_config_static_selectorELNS0_4arch9wavefront6targetE0EEEvS10_.has_recursion, 0
	.set _ZN7rocprim17ROCPRIM_400000_NS6detail17trampoline_kernelINS0_14default_configENS1_21merge_config_selectorINS0_5tupleIJssEEENS0_10empty_typeEEEZNS1_10merge_implIS3_NS0_12zip_iteratorINS5_IJN6thrust23THRUST_200600_302600_NS6detail15normal_iteratorINSC_10device_ptrIKsEEEESI_EEEEESK_NSA_INS5_IJNSE_INSF_IsEEEESM_EEEEEPS7_SP_SP_NSC_11hip_rocprim7__merge17predicate_wrapperIssNSC_7greaterIsEEEEEE10hipError_tPvRmT0_T1_T2_T3_T4_T5_mmT6_P12ihipStream_tbEUlT_E_NS1_11comp_targetILNS1_3genE10ELNS1_11target_archE1201ELNS1_3gpuE5ELNS1_3repE0EEENS1_30default_config_static_selectorELNS0_4arch9wavefront6targetE0EEEvS10_.has_indirect_call, 0
	.section	.AMDGPU.csdata,"",@progbits
; Kernel info:
; codeLenInByte = 0
; TotalNumSgprs: 0
; NumVgprs: 0
; ScratchSize: 0
; MemoryBound: 0
; FloatMode: 240
; IeeeMode: 1
; LDSByteSize: 0 bytes/workgroup (compile time only)
; SGPRBlocks: 0
; VGPRBlocks: 0
; NumSGPRsForWavesPerEU: 1
; NumVGPRsForWavesPerEU: 1
; NamedBarCnt: 0
; Occupancy: 16
; WaveLimiterHint : 0
; COMPUTE_PGM_RSRC2:SCRATCH_EN: 0
; COMPUTE_PGM_RSRC2:USER_SGPR: 2
; COMPUTE_PGM_RSRC2:TRAP_HANDLER: 0
; COMPUTE_PGM_RSRC2:TGID_X_EN: 1
; COMPUTE_PGM_RSRC2:TGID_Y_EN: 0
; COMPUTE_PGM_RSRC2:TGID_Z_EN: 0
; COMPUTE_PGM_RSRC2:TIDIG_COMP_CNT: 0
	.section	.text._ZN7rocprim17ROCPRIM_400000_NS6detail17trampoline_kernelINS0_14default_configENS1_21merge_config_selectorINS0_5tupleIJssEEENS0_10empty_typeEEEZNS1_10merge_implIS3_NS0_12zip_iteratorINS5_IJN6thrust23THRUST_200600_302600_NS6detail15normal_iteratorINSC_10device_ptrIKsEEEESI_EEEEESK_NSA_INS5_IJNSE_INSF_IsEEEESM_EEEEEPS7_SP_SP_NSC_11hip_rocprim7__merge17predicate_wrapperIssNSC_7greaterIsEEEEEE10hipError_tPvRmT0_T1_T2_T3_T4_T5_mmT6_P12ihipStream_tbEUlT_E_NS1_11comp_targetILNS1_3genE10ELNS1_11target_archE1200ELNS1_3gpuE4ELNS1_3repE0EEENS1_30default_config_static_selectorELNS0_4arch9wavefront6targetE0EEEvS10_,"axG",@progbits,_ZN7rocprim17ROCPRIM_400000_NS6detail17trampoline_kernelINS0_14default_configENS1_21merge_config_selectorINS0_5tupleIJssEEENS0_10empty_typeEEEZNS1_10merge_implIS3_NS0_12zip_iteratorINS5_IJN6thrust23THRUST_200600_302600_NS6detail15normal_iteratorINSC_10device_ptrIKsEEEESI_EEEEESK_NSA_INS5_IJNSE_INSF_IsEEEESM_EEEEEPS7_SP_SP_NSC_11hip_rocprim7__merge17predicate_wrapperIssNSC_7greaterIsEEEEEE10hipError_tPvRmT0_T1_T2_T3_T4_T5_mmT6_P12ihipStream_tbEUlT_E_NS1_11comp_targetILNS1_3genE10ELNS1_11target_archE1200ELNS1_3gpuE4ELNS1_3repE0EEENS1_30default_config_static_selectorELNS0_4arch9wavefront6targetE0EEEvS10_,comdat
	.protected	_ZN7rocprim17ROCPRIM_400000_NS6detail17trampoline_kernelINS0_14default_configENS1_21merge_config_selectorINS0_5tupleIJssEEENS0_10empty_typeEEEZNS1_10merge_implIS3_NS0_12zip_iteratorINS5_IJN6thrust23THRUST_200600_302600_NS6detail15normal_iteratorINSC_10device_ptrIKsEEEESI_EEEEESK_NSA_INS5_IJNSE_INSF_IsEEEESM_EEEEEPS7_SP_SP_NSC_11hip_rocprim7__merge17predicate_wrapperIssNSC_7greaterIsEEEEEE10hipError_tPvRmT0_T1_T2_T3_T4_T5_mmT6_P12ihipStream_tbEUlT_E_NS1_11comp_targetILNS1_3genE10ELNS1_11target_archE1200ELNS1_3gpuE4ELNS1_3repE0EEENS1_30default_config_static_selectorELNS0_4arch9wavefront6targetE0EEEvS10_ ; -- Begin function _ZN7rocprim17ROCPRIM_400000_NS6detail17trampoline_kernelINS0_14default_configENS1_21merge_config_selectorINS0_5tupleIJssEEENS0_10empty_typeEEEZNS1_10merge_implIS3_NS0_12zip_iteratorINS5_IJN6thrust23THRUST_200600_302600_NS6detail15normal_iteratorINSC_10device_ptrIKsEEEESI_EEEEESK_NSA_INS5_IJNSE_INSF_IsEEEESM_EEEEEPS7_SP_SP_NSC_11hip_rocprim7__merge17predicate_wrapperIssNSC_7greaterIsEEEEEE10hipError_tPvRmT0_T1_T2_T3_T4_T5_mmT6_P12ihipStream_tbEUlT_E_NS1_11comp_targetILNS1_3genE10ELNS1_11target_archE1200ELNS1_3gpuE4ELNS1_3repE0EEENS1_30default_config_static_selectorELNS0_4arch9wavefront6targetE0EEEvS10_
	.globl	_ZN7rocprim17ROCPRIM_400000_NS6detail17trampoline_kernelINS0_14default_configENS1_21merge_config_selectorINS0_5tupleIJssEEENS0_10empty_typeEEEZNS1_10merge_implIS3_NS0_12zip_iteratorINS5_IJN6thrust23THRUST_200600_302600_NS6detail15normal_iteratorINSC_10device_ptrIKsEEEESI_EEEEESK_NSA_INS5_IJNSE_INSF_IsEEEESM_EEEEEPS7_SP_SP_NSC_11hip_rocprim7__merge17predicate_wrapperIssNSC_7greaterIsEEEEEE10hipError_tPvRmT0_T1_T2_T3_T4_T5_mmT6_P12ihipStream_tbEUlT_E_NS1_11comp_targetILNS1_3genE10ELNS1_11target_archE1200ELNS1_3gpuE4ELNS1_3repE0EEENS1_30default_config_static_selectorELNS0_4arch9wavefront6targetE0EEEvS10_
	.p2align	8
	.type	_ZN7rocprim17ROCPRIM_400000_NS6detail17trampoline_kernelINS0_14default_configENS1_21merge_config_selectorINS0_5tupleIJssEEENS0_10empty_typeEEEZNS1_10merge_implIS3_NS0_12zip_iteratorINS5_IJN6thrust23THRUST_200600_302600_NS6detail15normal_iteratorINSC_10device_ptrIKsEEEESI_EEEEESK_NSA_INS5_IJNSE_INSF_IsEEEESM_EEEEEPS7_SP_SP_NSC_11hip_rocprim7__merge17predicate_wrapperIssNSC_7greaterIsEEEEEE10hipError_tPvRmT0_T1_T2_T3_T4_T5_mmT6_P12ihipStream_tbEUlT_E_NS1_11comp_targetILNS1_3genE10ELNS1_11target_archE1200ELNS1_3gpuE4ELNS1_3repE0EEENS1_30default_config_static_selectorELNS0_4arch9wavefront6targetE0EEEvS10_,@function
_ZN7rocprim17ROCPRIM_400000_NS6detail17trampoline_kernelINS0_14default_configENS1_21merge_config_selectorINS0_5tupleIJssEEENS0_10empty_typeEEEZNS1_10merge_implIS3_NS0_12zip_iteratorINS5_IJN6thrust23THRUST_200600_302600_NS6detail15normal_iteratorINSC_10device_ptrIKsEEEESI_EEEEESK_NSA_INS5_IJNSE_INSF_IsEEEESM_EEEEEPS7_SP_SP_NSC_11hip_rocprim7__merge17predicate_wrapperIssNSC_7greaterIsEEEEEE10hipError_tPvRmT0_T1_T2_T3_T4_T5_mmT6_P12ihipStream_tbEUlT_E_NS1_11comp_targetILNS1_3genE10ELNS1_11target_archE1200ELNS1_3gpuE4ELNS1_3repE0EEENS1_30default_config_static_selectorELNS0_4arch9wavefront6targetE0EEEvS10_: ; @_ZN7rocprim17ROCPRIM_400000_NS6detail17trampoline_kernelINS0_14default_configENS1_21merge_config_selectorINS0_5tupleIJssEEENS0_10empty_typeEEEZNS1_10merge_implIS3_NS0_12zip_iteratorINS5_IJN6thrust23THRUST_200600_302600_NS6detail15normal_iteratorINSC_10device_ptrIKsEEEESI_EEEEESK_NSA_INS5_IJNSE_INSF_IsEEEESM_EEEEEPS7_SP_SP_NSC_11hip_rocprim7__merge17predicate_wrapperIssNSC_7greaterIsEEEEEE10hipError_tPvRmT0_T1_T2_T3_T4_T5_mmT6_P12ihipStream_tbEUlT_E_NS1_11comp_targetILNS1_3genE10ELNS1_11target_archE1200ELNS1_3gpuE4ELNS1_3repE0EEENS1_30default_config_static_selectorELNS0_4arch9wavefront6targetE0EEEvS10_
; %bb.0:
	.section	.rodata,"a",@progbits
	.p2align	6, 0x0
	.amdhsa_kernel _ZN7rocprim17ROCPRIM_400000_NS6detail17trampoline_kernelINS0_14default_configENS1_21merge_config_selectorINS0_5tupleIJssEEENS0_10empty_typeEEEZNS1_10merge_implIS3_NS0_12zip_iteratorINS5_IJN6thrust23THRUST_200600_302600_NS6detail15normal_iteratorINSC_10device_ptrIKsEEEESI_EEEEESK_NSA_INS5_IJNSE_INSF_IsEEEESM_EEEEEPS7_SP_SP_NSC_11hip_rocprim7__merge17predicate_wrapperIssNSC_7greaterIsEEEEEE10hipError_tPvRmT0_T1_T2_T3_T4_T5_mmT6_P12ihipStream_tbEUlT_E_NS1_11comp_targetILNS1_3genE10ELNS1_11target_archE1200ELNS1_3gpuE4ELNS1_3repE0EEENS1_30default_config_static_selectorELNS0_4arch9wavefront6targetE0EEEvS10_
		.amdhsa_group_segment_fixed_size 0
		.amdhsa_private_segment_fixed_size 0
		.amdhsa_kernarg_size 64
		.amdhsa_user_sgpr_count 2
		.amdhsa_user_sgpr_dispatch_ptr 0
		.amdhsa_user_sgpr_queue_ptr 0
		.amdhsa_user_sgpr_kernarg_segment_ptr 1
		.amdhsa_user_sgpr_dispatch_id 0
		.amdhsa_user_sgpr_kernarg_preload_length 0
		.amdhsa_user_sgpr_kernarg_preload_offset 0
		.amdhsa_user_sgpr_private_segment_size 0
		.amdhsa_wavefront_size32 1
		.amdhsa_uses_dynamic_stack 0
		.amdhsa_enable_private_segment 0
		.amdhsa_system_sgpr_workgroup_id_x 1
		.amdhsa_system_sgpr_workgroup_id_y 0
		.amdhsa_system_sgpr_workgroup_id_z 0
		.amdhsa_system_sgpr_workgroup_info 0
		.amdhsa_system_vgpr_workitem_id 0
		.amdhsa_next_free_vgpr 1
		.amdhsa_next_free_sgpr 1
		.amdhsa_named_barrier_count 0
		.amdhsa_reserve_vcc 0
		.amdhsa_float_round_mode_32 0
		.amdhsa_float_round_mode_16_64 0
		.amdhsa_float_denorm_mode_32 3
		.amdhsa_float_denorm_mode_16_64 3
		.amdhsa_fp16_overflow 0
		.amdhsa_memory_ordered 1
		.amdhsa_forward_progress 1
		.amdhsa_inst_pref_size 0
		.amdhsa_round_robin_scheduling 0
		.amdhsa_exception_fp_ieee_invalid_op 0
		.amdhsa_exception_fp_denorm_src 0
		.amdhsa_exception_fp_ieee_div_zero 0
		.amdhsa_exception_fp_ieee_overflow 0
		.amdhsa_exception_fp_ieee_underflow 0
		.amdhsa_exception_fp_ieee_inexact 0
		.amdhsa_exception_int_div_zero 0
	.end_amdhsa_kernel
	.section	.text._ZN7rocprim17ROCPRIM_400000_NS6detail17trampoline_kernelINS0_14default_configENS1_21merge_config_selectorINS0_5tupleIJssEEENS0_10empty_typeEEEZNS1_10merge_implIS3_NS0_12zip_iteratorINS5_IJN6thrust23THRUST_200600_302600_NS6detail15normal_iteratorINSC_10device_ptrIKsEEEESI_EEEEESK_NSA_INS5_IJNSE_INSF_IsEEEESM_EEEEEPS7_SP_SP_NSC_11hip_rocprim7__merge17predicate_wrapperIssNSC_7greaterIsEEEEEE10hipError_tPvRmT0_T1_T2_T3_T4_T5_mmT6_P12ihipStream_tbEUlT_E_NS1_11comp_targetILNS1_3genE10ELNS1_11target_archE1200ELNS1_3gpuE4ELNS1_3repE0EEENS1_30default_config_static_selectorELNS0_4arch9wavefront6targetE0EEEvS10_,"axG",@progbits,_ZN7rocprim17ROCPRIM_400000_NS6detail17trampoline_kernelINS0_14default_configENS1_21merge_config_selectorINS0_5tupleIJssEEENS0_10empty_typeEEEZNS1_10merge_implIS3_NS0_12zip_iteratorINS5_IJN6thrust23THRUST_200600_302600_NS6detail15normal_iteratorINSC_10device_ptrIKsEEEESI_EEEEESK_NSA_INS5_IJNSE_INSF_IsEEEESM_EEEEEPS7_SP_SP_NSC_11hip_rocprim7__merge17predicate_wrapperIssNSC_7greaterIsEEEEEE10hipError_tPvRmT0_T1_T2_T3_T4_T5_mmT6_P12ihipStream_tbEUlT_E_NS1_11comp_targetILNS1_3genE10ELNS1_11target_archE1200ELNS1_3gpuE4ELNS1_3repE0EEENS1_30default_config_static_selectorELNS0_4arch9wavefront6targetE0EEEvS10_,comdat
.Lfunc_end449:
	.size	_ZN7rocprim17ROCPRIM_400000_NS6detail17trampoline_kernelINS0_14default_configENS1_21merge_config_selectorINS0_5tupleIJssEEENS0_10empty_typeEEEZNS1_10merge_implIS3_NS0_12zip_iteratorINS5_IJN6thrust23THRUST_200600_302600_NS6detail15normal_iteratorINSC_10device_ptrIKsEEEESI_EEEEESK_NSA_INS5_IJNSE_INSF_IsEEEESM_EEEEEPS7_SP_SP_NSC_11hip_rocprim7__merge17predicate_wrapperIssNSC_7greaterIsEEEEEE10hipError_tPvRmT0_T1_T2_T3_T4_T5_mmT6_P12ihipStream_tbEUlT_E_NS1_11comp_targetILNS1_3genE10ELNS1_11target_archE1200ELNS1_3gpuE4ELNS1_3repE0EEENS1_30default_config_static_selectorELNS0_4arch9wavefront6targetE0EEEvS10_, .Lfunc_end449-_ZN7rocprim17ROCPRIM_400000_NS6detail17trampoline_kernelINS0_14default_configENS1_21merge_config_selectorINS0_5tupleIJssEEENS0_10empty_typeEEEZNS1_10merge_implIS3_NS0_12zip_iteratorINS5_IJN6thrust23THRUST_200600_302600_NS6detail15normal_iteratorINSC_10device_ptrIKsEEEESI_EEEEESK_NSA_INS5_IJNSE_INSF_IsEEEESM_EEEEEPS7_SP_SP_NSC_11hip_rocprim7__merge17predicate_wrapperIssNSC_7greaterIsEEEEEE10hipError_tPvRmT0_T1_T2_T3_T4_T5_mmT6_P12ihipStream_tbEUlT_E_NS1_11comp_targetILNS1_3genE10ELNS1_11target_archE1200ELNS1_3gpuE4ELNS1_3repE0EEENS1_30default_config_static_selectorELNS0_4arch9wavefront6targetE0EEEvS10_
                                        ; -- End function
	.set _ZN7rocprim17ROCPRIM_400000_NS6detail17trampoline_kernelINS0_14default_configENS1_21merge_config_selectorINS0_5tupleIJssEEENS0_10empty_typeEEEZNS1_10merge_implIS3_NS0_12zip_iteratorINS5_IJN6thrust23THRUST_200600_302600_NS6detail15normal_iteratorINSC_10device_ptrIKsEEEESI_EEEEESK_NSA_INS5_IJNSE_INSF_IsEEEESM_EEEEEPS7_SP_SP_NSC_11hip_rocprim7__merge17predicate_wrapperIssNSC_7greaterIsEEEEEE10hipError_tPvRmT0_T1_T2_T3_T4_T5_mmT6_P12ihipStream_tbEUlT_E_NS1_11comp_targetILNS1_3genE10ELNS1_11target_archE1200ELNS1_3gpuE4ELNS1_3repE0EEENS1_30default_config_static_selectorELNS0_4arch9wavefront6targetE0EEEvS10_.num_vgpr, 0
	.set _ZN7rocprim17ROCPRIM_400000_NS6detail17trampoline_kernelINS0_14default_configENS1_21merge_config_selectorINS0_5tupleIJssEEENS0_10empty_typeEEEZNS1_10merge_implIS3_NS0_12zip_iteratorINS5_IJN6thrust23THRUST_200600_302600_NS6detail15normal_iteratorINSC_10device_ptrIKsEEEESI_EEEEESK_NSA_INS5_IJNSE_INSF_IsEEEESM_EEEEEPS7_SP_SP_NSC_11hip_rocprim7__merge17predicate_wrapperIssNSC_7greaterIsEEEEEE10hipError_tPvRmT0_T1_T2_T3_T4_T5_mmT6_P12ihipStream_tbEUlT_E_NS1_11comp_targetILNS1_3genE10ELNS1_11target_archE1200ELNS1_3gpuE4ELNS1_3repE0EEENS1_30default_config_static_selectorELNS0_4arch9wavefront6targetE0EEEvS10_.num_agpr, 0
	.set _ZN7rocprim17ROCPRIM_400000_NS6detail17trampoline_kernelINS0_14default_configENS1_21merge_config_selectorINS0_5tupleIJssEEENS0_10empty_typeEEEZNS1_10merge_implIS3_NS0_12zip_iteratorINS5_IJN6thrust23THRUST_200600_302600_NS6detail15normal_iteratorINSC_10device_ptrIKsEEEESI_EEEEESK_NSA_INS5_IJNSE_INSF_IsEEEESM_EEEEEPS7_SP_SP_NSC_11hip_rocprim7__merge17predicate_wrapperIssNSC_7greaterIsEEEEEE10hipError_tPvRmT0_T1_T2_T3_T4_T5_mmT6_P12ihipStream_tbEUlT_E_NS1_11comp_targetILNS1_3genE10ELNS1_11target_archE1200ELNS1_3gpuE4ELNS1_3repE0EEENS1_30default_config_static_selectorELNS0_4arch9wavefront6targetE0EEEvS10_.numbered_sgpr, 0
	.set _ZN7rocprim17ROCPRIM_400000_NS6detail17trampoline_kernelINS0_14default_configENS1_21merge_config_selectorINS0_5tupleIJssEEENS0_10empty_typeEEEZNS1_10merge_implIS3_NS0_12zip_iteratorINS5_IJN6thrust23THRUST_200600_302600_NS6detail15normal_iteratorINSC_10device_ptrIKsEEEESI_EEEEESK_NSA_INS5_IJNSE_INSF_IsEEEESM_EEEEEPS7_SP_SP_NSC_11hip_rocprim7__merge17predicate_wrapperIssNSC_7greaterIsEEEEEE10hipError_tPvRmT0_T1_T2_T3_T4_T5_mmT6_P12ihipStream_tbEUlT_E_NS1_11comp_targetILNS1_3genE10ELNS1_11target_archE1200ELNS1_3gpuE4ELNS1_3repE0EEENS1_30default_config_static_selectorELNS0_4arch9wavefront6targetE0EEEvS10_.num_named_barrier, 0
	.set _ZN7rocprim17ROCPRIM_400000_NS6detail17trampoline_kernelINS0_14default_configENS1_21merge_config_selectorINS0_5tupleIJssEEENS0_10empty_typeEEEZNS1_10merge_implIS3_NS0_12zip_iteratorINS5_IJN6thrust23THRUST_200600_302600_NS6detail15normal_iteratorINSC_10device_ptrIKsEEEESI_EEEEESK_NSA_INS5_IJNSE_INSF_IsEEEESM_EEEEEPS7_SP_SP_NSC_11hip_rocprim7__merge17predicate_wrapperIssNSC_7greaterIsEEEEEE10hipError_tPvRmT0_T1_T2_T3_T4_T5_mmT6_P12ihipStream_tbEUlT_E_NS1_11comp_targetILNS1_3genE10ELNS1_11target_archE1200ELNS1_3gpuE4ELNS1_3repE0EEENS1_30default_config_static_selectorELNS0_4arch9wavefront6targetE0EEEvS10_.private_seg_size, 0
	.set _ZN7rocprim17ROCPRIM_400000_NS6detail17trampoline_kernelINS0_14default_configENS1_21merge_config_selectorINS0_5tupleIJssEEENS0_10empty_typeEEEZNS1_10merge_implIS3_NS0_12zip_iteratorINS5_IJN6thrust23THRUST_200600_302600_NS6detail15normal_iteratorINSC_10device_ptrIKsEEEESI_EEEEESK_NSA_INS5_IJNSE_INSF_IsEEEESM_EEEEEPS7_SP_SP_NSC_11hip_rocprim7__merge17predicate_wrapperIssNSC_7greaterIsEEEEEE10hipError_tPvRmT0_T1_T2_T3_T4_T5_mmT6_P12ihipStream_tbEUlT_E_NS1_11comp_targetILNS1_3genE10ELNS1_11target_archE1200ELNS1_3gpuE4ELNS1_3repE0EEENS1_30default_config_static_selectorELNS0_4arch9wavefront6targetE0EEEvS10_.uses_vcc, 0
	.set _ZN7rocprim17ROCPRIM_400000_NS6detail17trampoline_kernelINS0_14default_configENS1_21merge_config_selectorINS0_5tupleIJssEEENS0_10empty_typeEEEZNS1_10merge_implIS3_NS0_12zip_iteratorINS5_IJN6thrust23THRUST_200600_302600_NS6detail15normal_iteratorINSC_10device_ptrIKsEEEESI_EEEEESK_NSA_INS5_IJNSE_INSF_IsEEEESM_EEEEEPS7_SP_SP_NSC_11hip_rocprim7__merge17predicate_wrapperIssNSC_7greaterIsEEEEEE10hipError_tPvRmT0_T1_T2_T3_T4_T5_mmT6_P12ihipStream_tbEUlT_E_NS1_11comp_targetILNS1_3genE10ELNS1_11target_archE1200ELNS1_3gpuE4ELNS1_3repE0EEENS1_30default_config_static_selectorELNS0_4arch9wavefront6targetE0EEEvS10_.uses_flat_scratch, 0
	.set _ZN7rocprim17ROCPRIM_400000_NS6detail17trampoline_kernelINS0_14default_configENS1_21merge_config_selectorINS0_5tupleIJssEEENS0_10empty_typeEEEZNS1_10merge_implIS3_NS0_12zip_iteratorINS5_IJN6thrust23THRUST_200600_302600_NS6detail15normal_iteratorINSC_10device_ptrIKsEEEESI_EEEEESK_NSA_INS5_IJNSE_INSF_IsEEEESM_EEEEEPS7_SP_SP_NSC_11hip_rocprim7__merge17predicate_wrapperIssNSC_7greaterIsEEEEEE10hipError_tPvRmT0_T1_T2_T3_T4_T5_mmT6_P12ihipStream_tbEUlT_E_NS1_11comp_targetILNS1_3genE10ELNS1_11target_archE1200ELNS1_3gpuE4ELNS1_3repE0EEENS1_30default_config_static_selectorELNS0_4arch9wavefront6targetE0EEEvS10_.has_dyn_sized_stack, 0
	.set _ZN7rocprim17ROCPRIM_400000_NS6detail17trampoline_kernelINS0_14default_configENS1_21merge_config_selectorINS0_5tupleIJssEEENS0_10empty_typeEEEZNS1_10merge_implIS3_NS0_12zip_iteratorINS5_IJN6thrust23THRUST_200600_302600_NS6detail15normal_iteratorINSC_10device_ptrIKsEEEESI_EEEEESK_NSA_INS5_IJNSE_INSF_IsEEEESM_EEEEEPS7_SP_SP_NSC_11hip_rocprim7__merge17predicate_wrapperIssNSC_7greaterIsEEEEEE10hipError_tPvRmT0_T1_T2_T3_T4_T5_mmT6_P12ihipStream_tbEUlT_E_NS1_11comp_targetILNS1_3genE10ELNS1_11target_archE1200ELNS1_3gpuE4ELNS1_3repE0EEENS1_30default_config_static_selectorELNS0_4arch9wavefront6targetE0EEEvS10_.has_recursion, 0
	.set _ZN7rocprim17ROCPRIM_400000_NS6detail17trampoline_kernelINS0_14default_configENS1_21merge_config_selectorINS0_5tupleIJssEEENS0_10empty_typeEEEZNS1_10merge_implIS3_NS0_12zip_iteratorINS5_IJN6thrust23THRUST_200600_302600_NS6detail15normal_iteratorINSC_10device_ptrIKsEEEESI_EEEEESK_NSA_INS5_IJNSE_INSF_IsEEEESM_EEEEEPS7_SP_SP_NSC_11hip_rocprim7__merge17predicate_wrapperIssNSC_7greaterIsEEEEEE10hipError_tPvRmT0_T1_T2_T3_T4_T5_mmT6_P12ihipStream_tbEUlT_E_NS1_11comp_targetILNS1_3genE10ELNS1_11target_archE1200ELNS1_3gpuE4ELNS1_3repE0EEENS1_30default_config_static_selectorELNS0_4arch9wavefront6targetE0EEEvS10_.has_indirect_call, 0
	.section	.AMDGPU.csdata,"",@progbits
; Kernel info:
; codeLenInByte = 0
; TotalNumSgprs: 0
; NumVgprs: 0
; ScratchSize: 0
; MemoryBound: 0
; FloatMode: 240
; IeeeMode: 1
; LDSByteSize: 0 bytes/workgroup (compile time only)
; SGPRBlocks: 0
; VGPRBlocks: 0
; NumSGPRsForWavesPerEU: 1
; NumVGPRsForWavesPerEU: 1
; NamedBarCnt: 0
; Occupancy: 16
; WaveLimiterHint : 0
; COMPUTE_PGM_RSRC2:SCRATCH_EN: 0
; COMPUTE_PGM_RSRC2:USER_SGPR: 2
; COMPUTE_PGM_RSRC2:TRAP_HANDLER: 0
; COMPUTE_PGM_RSRC2:TGID_X_EN: 1
; COMPUTE_PGM_RSRC2:TGID_Y_EN: 0
; COMPUTE_PGM_RSRC2:TGID_Z_EN: 0
; COMPUTE_PGM_RSRC2:TIDIG_COMP_CNT: 0
	.section	.text._ZN7rocprim17ROCPRIM_400000_NS6detail17trampoline_kernelINS0_14default_configENS1_21merge_config_selectorINS0_5tupleIJssEEENS0_10empty_typeEEEZNS1_10merge_implIS3_NS0_12zip_iteratorINS5_IJN6thrust23THRUST_200600_302600_NS6detail15normal_iteratorINSC_10device_ptrIKsEEEESI_EEEEESK_NSA_INS5_IJNSE_INSF_IsEEEESM_EEEEEPS7_SP_SP_NSC_11hip_rocprim7__merge17predicate_wrapperIssNSC_7greaterIsEEEEEE10hipError_tPvRmT0_T1_T2_T3_T4_T5_mmT6_P12ihipStream_tbEUlT_E_NS1_11comp_targetILNS1_3genE9ELNS1_11target_archE1100ELNS1_3gpuE3ELNS1_3repE0EEENS1_30default_config_static_selectorELNS0_4arch9wavefront6targetE0EEEvS10_,"axG",@progbits,_ZN7rocprim17ROCPRIM_400000_NS6detail17trampoline_kernelINS0_14default_configENS1_21merge_config_selectorINS0_5tupleIJssEEENS0_10empty_typeEEEZNS1_10merge_implIS3_NS0_12zip_iteratorINS5_IJN6thrust23THRUST_200600_302600_NS6detail15normal_iteratorINSC_10device_ptrIKsEEEESI_EEEEESK_NSA_INS5_IJNSE_INSF_IsEEEESM_EEEEEPS7_SP_SP_NSC_11hip_rocprim7__merge17predicate_wrapperIssNSC_7greaterIsEEEEEE10hipError_tPvRmT0_T1_T2_T3_T4_T5_mmT6_P12ihipStream_tbEUlT_E_NS1_11comp_targetILNS1_3genE9ELNS1_11target_archE1100ELNS1_3gpuE3ELNS1_3repE0EEENS1_30default_config_static_selectorELNS0_4arch9wavefront6targetE0EEEvS10_,comdat
	.protected	_ZN7rocprim17ROCPRIM_400000_NS6detail17trampoline_kernelINS0_14default_configENS1_21merge_config_selectorINS0_5tupleIJssEEENS0_10empty_typeEEEZNS1_10merge_implIS3_NS0_12zip_iteratorINS5_IJN6thrust23THRUST_200600_302600_NS6detail15normal_iteratorINSC_10device_ptrIKsEEEESI_EEEEESK_NSA_INS5_IJNSE_INSF_IsEEEESM_EEEEEPS7_SP_SP_NSC_11hip_rocprim7__merge17predicate_wrapperIssNSC_7greaterIsEEEEEE10hipError_tPvRmT0_T1_T2_T3_T4_T5_mmT6_P12ihipStream_tbEUlT_E_NS1_11comp_targetILNS1_3genE9ELNS1_11target_archE1100ELNS1_3gpuE3ELNS1_3repE0EEENS1_30default_config_static_selectorELNS0_4arch9wavefront6targetE0EEEvS10_ ; -- Begin function _ZN7rocprim17ROCPRIM_400000_NS6detail17trampoline_kernelINS0_14default_configENS1_21merge_config_selectorINS0_5tupleIJssEEENS0_10empty_typeEEEZNS1_10merge_implIS3_NS0_12zip_iteratorINS5_IJN6thrust23THRUST_200600_302600_NS6detail15normal_iteratorINSC_10device_ptrIKsEEEESI_EEEEESK_NSA_INS5_IJNSE_INSF_IsEEEESM_EEEEEPS7_SP_SP_NSC_11hip_rocprim7__merge17predicate_wrapperIssNSC_7greaterIsEEEEEE10hipError_tPvRmT0_T1_T2_T3_T4_T5_mmT6_P12ihipStream_tbEUlT_E_NS1_11comp_targetILNS1_3genE9ELNS1_11target_archE1100ELNS1_3gpuE3ELNS1_3repE0EEENS1_30default_config_static_selectorELNS0_4arch9wavefront6targetE0EEEvS10_
	.globl	_ZN7rocprim17ROCPRIM_400000_NS6detail17trampoline_kernelINS0_14default_configENS1_21merge_config_selectorINS0_5tupleIJssEEENS0_10empty_typeEEEZNS1_10merge_implIS3_NS0_12zip_iteratorINS5_IJN6thrust23THRUST_200600_302600_NS6detail15normal_iteratorINSC_10device_ptrIKsEEEESI_EEEEESK_NSA_INS5_IJNSE_INSF_IsEEEESM_EEEEEPS7_SP_SP_NSC_11hip_rocprim7__merge17predicate_wrapperIssNSC_7greaterIsEEEEEE10hipError_tPvRmT0_T1_T2_T3_T4_T5_mmT6_P12ihipStream_tbEUlT_E_NS1_11comp_targetILNS1_3genE9ELNS1_11target_archE1100ELNS1_3gpuE3ELNS1_3repE0EEENS1_30default_config_static_selectorELNS0_4arch9wavefront6targetE0EEEvS10_
	.p2align	8
	.type	_ZN7rocprim17ROCPRIM_400000_NS6detail17trampoline_kernelINS0_14default_configENS1_21merge_config_selectorINS0_5tupleIJssEEENS0_10empty_typeEEEZNS1_10merge_implIS3_NS0_12zip_iteratorINS5_IJN6thrust23THRUST_200600_302600_NS6detail15normal_iteratorINSC_10device_ptrIKsEEEESI_EEEEESK_NSA_INS5_IJNSE_INSF_IsEEEESM_EEEEEPS7_SP_SP_NSC_11hip_rocprim7__merge17predicate_wrapperIssNSC_7greaterIsEEEEEE10hipError_tPvRmT0_T1_T2_T3_T4_T5_mmT6_P12ihipStream_tbEUlT_E_NS1_11comp_targetILNS1_3genE9ELNS1_11target_archE1100ELNS1_3gpuE3ELNS1_3repE0EEENS1_30default_config_static_selectorELNS0_4arch9wavefront6targetE0EEEvS10_,@function
_ZN7rocprim17ROCPRIM_400000_NS6detail17trampoline_kernelINS0_14default_configENS1_21merge_config_selectorINS0_5tupleIJssEEENS0_10empty_typeEEEZNS1_10merge_implIS3_NS0_12zip_iteratorINS5_IJN6thrust23THRUST_200600_302600_NS6detail15normal_iteratorINSC_10device_ptrIKsEEEESI_EEEEESK_NSA_INS5_IJNSE_INSF_IsEEEESM_EEEEEPS7_SP_SP_NSC_11hip_rocprim7__merge17predicate_wrapperIssNSC_7greaterIsEEEEEE10hipError_tPvRmT0_T1_T2_T3_T4_T5_mmT6_P12ihipStream_tbEUlT_E_NS1_11comp_targetILNS1_3genE9ELNS1_11target_archE1100ELNS1_3gpuE3ELNS1_3repE0EEENS1_30default_config_static_selectorELNS0_4arch9wavefront6targetE0EEEvS10_: ; @_ZN7rocprim17ROCPRIM_400000_NS6detail17trampoline_kernelINS0_14default_configENS1_21merge_config_selectorINS0_5tupleIJssEEENS0_10empty_typeEEEZNS1_10merge_implIS3_NS0_12zip_iteratorINS5_IJN6thrust23THRUST_200600_302600_NS6detail15normal_iteratorINSC_10device_ptrIKsEEEESI_EEEEESK_NSA_INS5_IJNSE_INSF_IsEEEESM_EEEEEPS7_SP_SP_NSC_11hip_rocprim7__merge17predicate_wrapperIssNSC_7greaterIsEEEEEE10hipError_tPvRmT0_T1_T2_T3_T4_T5_mmT6_P12ihipStream_tbEUlT_E_NS1_11comp_targetILNS1_3genE9ELNS1_11target_archE1100ELNS1_3gpuE3ELNS1_3repE0EEENS1_30default_config_static_selectorELNS0_4arch9wavefront6targetE0EEEvS10_
; %bb.0:
	.section	.rodata,"a",@progbits
	.p2align	6, 0x0
	.amdhsa_kernel _ZN7rocprim17ROCPRIM_400000_NS6detail17trampoline_kernelINS0_14default_configENS1_21merge_config_selectorINS0_5tupleIJssEEENS0_10empty_typeEEEZNS1_10merge_implIS3_NS0_12zip_iteratorINS5_IJN6thrust23THRUST_200600_302600_NS6detail15normal_iteratorINSC_10device_ptrIKsEEEESI_EEEEESK_NSA_INS5_IJNSE_INSF_IsEEEESM_EEEEEPS7_SP_SP_NSC_11hip_rocprim7__merge17predicate_wrapperIssNSC_7greaterIsEEEEEE10hipError_tPvRmT0_T1_T2_T3_T4_T5_mmT6_P12ihipStream_tbEUlT_E_NS1_11comp_targetILNS1_3genE9ELNS1_11target_archE1100ELNS1_3gpuE3ELNS1_3repE0EEENS1_30default_config_static_selectorELNS0_4arch9wavefront6targetE0EEEvS10_
		.amdhsa_group_segment_fixed_size 0
		.amdhsa_private_segment_fixed_size 0
		.amdhsa_kernarg_size 64
		.amdhsa_user_sgpr_count 2
		.amdhsa_user_sgpr_dispatch_ptr 0
		.amdhsa_user_sgpr_queue_ptr 0
		.amdhsa_user_sgpr_kernarg_segment_ptr 1
		.amdhsa_user_sgpr_dispatch_id 0
		.amdhsa_user_sgpr_kernarg_preload_length 0
		.amdhsa_user_sgpr_kernarg_preload_offset 0
		.amdhsa_user_sgpr_private_segment_size 0
		.amdhsa_wavefront_size32 1
		.amdhsa_uses_dynamic_stack 0
		.amdhsa_enable_private_segment 0
		.amdhsa_system_sgpr_workgroup_id_x 1
		.amdhsa_system_sgpr_workgroup_id_y 0
		.amdhsa_system_sgpr_workgroup_id_z 0
		.amdhsa_system_sgpr_workgroup_info 0
		.amdhsa_system_vgpr_workitem_id 0
		.amdhsa_next_free_vgpr 1
		.amdhsa_next_free_sgpr 1
		.amdhsa_named_barrier_count 0
		.amdhsa_reserve_vcc 0
		.amdhsa_float_round_mode_32 0
		.amdhsa_float_round_mode_16_64 0
		.amdhsa_float_denorm_mode_32 3
		.amdhsa_float_denorm_mode_16_64 3
		.amdhsa_fp16_overflow 0
		.amdhsa_memory_ordered 1
		.amdhsa_forward_progress 1
		.amdhsa_inst_pref_size 0
		.amdhsa_round_robin_scheduling 0
		.amdhsa_exception_fp_ieee_invalid_op 0
		.amdhsa_exception_fp_denorm_src 0
		.amdhsa_exception_fp_ieee_div_zero 0
		.amdhsa_exception_fp_ieee_overflow 0
		.amdhsa_exception_fp_ieee_underflow 0
		.amdhsa_exception_fp_ieee_inexact 0
		.amdhsa_exception_int_div_zero 0
	.end_amdhsa_kernel
	.section	.text._ZN7rocprim17ROCPRIM_400000_NS6detail17trampoline_kernelINS0_14default_configENS1_21merge_config_selectorINS0_5tupleIJssEEENS0_10empty_typeEEEZNS1_10merge_implIS3_NS0_12zip_iteratorINS5_IJN6thrust23THRUST_200600_302600_NS6detail15normal_iteratorINSC_10device_ptrIKsEEEESI_EEEEESK_NSA_INS5_IJNSE_INSF_IsEEEESM_EEEEEPS7_SP_SP_NSC_11hip_rocprim7__merge17predicate_wrapperIssNSC_7greaterIsEEEEEE10hipError_tPvRmT0_T1_T2_T3_T4_T5_mmT6_P12ihipStream_tbEUlT_E_NS1_11comp_targetILNS1_3genE9ELNS1_11target_archE1100ELNS1_3gpuE3ELNS1_3repE0EEENS1_30default_config_static_selectorELNS0_4arch9wavefront6targetE0EEEvS10_,"axG",@progbits,_ZN7rocprim17ROCPRIM_400000_NS6detail17trampoline_kernelINS0_14default_configENS1_21merge_config_selectorINS0_5tupleIJssEEENS0_10empty_typeEEEZNS1_10merge_implIS3_NS0_12zip_iteratorINS5_IJN6thrust23THRUST_200600_302600_NS6detail15normal_iteratorINSC_10device_ptrIKsEEEESI_EEEEESK_NSA_INS5_IJNSE_INSF_IsEEEESM_EEEEEPS7_SP_SP_NSC_11hip_rocprim7__merge17predicate_wrapperIssNSC_7greaterIsEEEEEE10hipError_tPvRmT0_T1_T2_T3_T4_T5_mmT6_P12ihipStream_tbEUlT_E_NS1_11comp_targetILNS1_3genE9ELNS1_11target_archE1100ELNS1_3gpuE3ELNS1_3repE0EEENS1_30default_config_static_selectorELNS0_4arch9wavefront6targetE0EEEvS10_,comdat
.Lfunc_end450:
	.size	_ZN7rocprim17ROCPRIM_400000_NS6detail17trampoline_kernelINS0_14default_configENS1_21merge_config_selectorINS0_5tupleIJssEEENS0_10empty_typeEEEZNS1_10merge_implIS3_NS0_12zip_iteratorINS5_IJN6thrust23THRUST_200600_302600_NS6detail15normal_iteratorINSC_10device_ptrIKsEEEESI_EEEEESK_NSA_INS5_IJNSE_INSF_IsEEEESM_EEEEEPS7_SP_SP_NSC_11hip_rocprim7__merge17predicate_wrapperIssNSC_7greaterIsEEEEEE10hipError_tPvRmT0_T1_T2_T3_T4_T5_mmT6_P12ihipStream_tbEUlT_E_NS1_11comp_targetILNS1_3genE9ELNS1_11target_archE1100ELNS1_3gpuE3ELNS1_3repE0EEENS1_30default_config_static_selectorELNS0_4arch9wavefront6targetE0EEEvS10_, .Lfunc_end450-_ZN7rocprim17ROCPRIM_400000_NS6detail17trampoline_kernelINS0_14default_configENS1_21merge_config_selectorINS0_5tupleIJssEEENS0_10empty_typeEEEZNS1_10merge_implIS3_NS0_12zip_iteratorINS5_IJN6thrust23THRUST_200600_302600_NS6detail15normal_iteratorINSC_10device_ptrIKsEEEESI_EEEEESK_NSA_INS5_IJNSE_INSF_IsEEEESM_EEEEEPS7_SP_SP_NSC_11hip_rocprim7__merge17predicate_wrapperIssNSC_7greaterIsEEEEEE10hipError_tPvRmT0_T1_T2_T3_T4_T5_mmT6_P12ihipStream_tbEUlT_E_NS1_11comp_targetILNS1_3genE9ELNS1_11target_archE1100ELNS1_3gpuE3ELNS1_3repE0EEENS1_30default_config_static_selectorELNS0_4arch9wavefront6targetE0EEEvS10_
                                        ; -- End function
	.set _ZN7rocprim17ROCPRIM_400000_NS6detail17trampoline_kernelINS0_14default_configENS1_21merge_config_selectorINS0_5tupleIJssEEENS0_10empty_typeEEEZNS1_10merge_implIS3_NS0_12zip_iteratorINS5_IJN6thrust23THRUST_200600_302600_NS6detail15normal_iteratorINSC_10device_ptrIKsEEEESI_EEEEESK_NSA_INS5_IJNSE_INSF_IsEEEESM_EEEEEPS7_SP_SP_NSC_11hip_rocprim7__merge17predicate_wrapperIssNSC_7greaterIsEEEEEE10hipError_tPvRmT0_T1_T2_T3_T4_T5_mmT6_P12ihipStream_tbEUlT_E_NS1_11comp_targetILNS1_3genE9ELNS1_11target_archE1100ELNS1_3gpuE3ELNS1_3repE0EEENS1_30default_config_static_selectorELNS0_4arch9wavefront6targetE0EEEvS10_.num_vgpr, 0
	.set _ZN7rocprim17ROCPRIM_400000_NS6detail17trampoline_kernelINS0_14default_configENS1_21merge_config_selectorINS0_5tupleIJssEEENS0_10empty_typeEEEZNS1_10merge_implIS3_NS0_12zip_iteratorINS5_IJN6thrust23THRUST_200600_302600_NS6detail15normal_iteratorINSC_10device_ptrIKsEEEESI_EEEEESK_NSA_INS5_IJNSE_INSF_IsEEEESM_EEEEEPS7_SP_SP_NSC_11hip_rocprim7__merge17predicate_wrapperIssNSC_7greaterIsEEEEEE10hipError_tPvRmT0_T1_T2_T3_T4_T5_mmT6_P12ihipStream_tbEUlT_E_NS1_11comp_targetILNS1_3genE9ELNS1_11target_archE1100ELNS1_3gpuE3ELNS1_3repE0EEENS1_30default_config_static_selectorELNS0_4arch9wavefront6targetE0EEEvS10_.num_agpr, 0
	.set _ZN7rocprim17ROCPRIM_400000_NS6detail17trampoline_kernelINS0_14default_configENS1_21merge_config_selectorINS0_5tupleIJssEEENS0_10empty_typeEEEZNS1_10merge_implIS3_NS0_12zip_iteratorINS5_IJN6thrust23THRUST_200600_302600_NS6detail15normal_iteratorINSC_10device_ptrIKsEEEESI_EEEEESK_NSA_INS5_IJNSE_INSF_IsEEEESM_EEEEEPS7_SP_SP_NSC_11hip_rocprim7__merge17predicate_wrapperIssNSC_7greaterIsEEEEEE10hipError_tPvRmT0_T1_T2_T3_T4_T5_mmT6_P12ihipStream_tbEUlT_E_NS1_11comp_targetILNS1_3genE9ELNS1_11target_archE1100ELNS1_3gpuE3ELNS1_3repE0EEENS1_30default_config_static_selectorELNS0_4arch9wavefront6targetE0EEEvS10_.numbered_sgpr, 0
	.set _ZN7rocprim17ROCPRIM_400000_NS6detail17trampoline_kernelINS0_14default_configENS1_21merge_config_selectorINS0_5tupleIJssEEENS0_10empty_typeEEEZNS1_10merge_implIS3_NS0_12zip_iteratorINS5_IJN6thrust23THRUST_200600_302600_NS6detail15normal_iteratorINSC_10device_ptrIKsEEEESI_EEEEESK_NSA_INS5_IJNSE_INSF_IsEEEESM_EEEEEPS7_SP_SP_NSC_11hip_rocprim7__merge17predicate_wrapperIssNSC_7greaterIsEEEEEE10hipError_tPvRmT0_T1_T2_T3_T4_T5_mmT6_P12ihipStream_tbEUlT_E_NS1_11comp_targetILNS1_3genE9ELNS1_11target_archE1100ELNS1_3gpuE3ELNS1_3repE0EEENS1_30default_config_static_selectorELNS0_4arch9wavefront6targetE0EEEvS10_.num_named_barrier, 0
	.set _ZN7rocprim17ROCPRIM_400000_NS6detail17trampoline_kernelINS0_14default_configENS1_21merge_config_selectorINS0_5tupleIJssEEENS0_10empty_typeEEEZNS1_10merge_implIS3_NS0_12zip_iteratorINS5_IJN6thrust23THRUST_200600_302600_NS6detail15normal_iteratorINSC_10device_ptrIKsEEEESI_EEEEESK_NSA_INS5_IJNSE_INSF_IsEEEESM_EEEEEPS7_SP_SP_NSC_11hip_rocprim7__merge17predicate_wrapperIssNSC_7greaterIsEEEEEE10hipError_tPvRmT0_T1_T2_T3_T4_T5_mmT6_P12ihipStream_tbEUlT_E_NS1_11comp_targetILNS1_3genE9ELNS1_11target_archE1100ELNS1_3gpuE3ELNS1_3repE0EEENS1_30default_config_static_selectorELNS0_4arch9wavefront6targetE0EEEvS10_.private_seg_size, 0
	.set _ZN7rocprim17ROCPRIM_400000_NS6detail17trampoline_kernelINS0_14default_configENS1_21merge_config_selectorINS0_5tupleIJssEEENS0_10empty_typeEEEZNS1_10merge_implIS3_NS0_12zip_iteratorINS5_IJN6thrust23THRUST_200600_302600_NS6detail15normal_iteratorINSC_10device_ptrIKsEEEESI_EEEEESK_NSA_INS5_IJNSE_INSF_IsEEEESM_EEEEEPS7_SP_SP_NSC_11hip_rocprim7__merge17predicate_wrapperIssNSC_7greaterIsEEEEEE10hipError_tPvRmT0_T1_T2_T3_T4_T5_mmT6_P12ihipStream_tbEUlT_E_NS1_11comp_targetILNS1_3genE9ELNS1_11target_archE1100ELNS1_3gpuE3ELNS1_3repE0EEENS1_30default_config_static_selectorELNS0_4arch9wavefront6targetE0EEEvS10_.uses_vcc, 0
	.set _ZN7rocprim17ROCPRIM_400000_NS6detail17trampoline_kernelINS0_14default_configENS1_21merge_config_selectorINS0_5tupleIJssEEENS0_10empty_typeEEEZNS1_10merge_implIS3_NS0_12zip_iteratorINS5_IJN6thrust23THRUST_200600_302600_NS6detail15normal_iteratorINSC_10device_ptrIKsEEEESI_EEEEESK_NSA_INS5_IJNSE_INSF_IsEEEESM_EEEEEPS7_SP_SP_NSC_11hip_rocprim7__merge17predicate_wrapperIssNSC_7greaterIsEEEEEE10hipError_tPvRmT0_T1_T2_T3_T4_T5_mmT6_P12ihipStream_tbEUlT_E_NS1_11comp_targetILNS1_3genE9ELNS1_11target_archE1100ELNS1_3gpuE3ELNS1_3repE0EEENS1_30default_config_static_selectorELNS0_4arch9wavefront6targetE0EEEvS10_.uses_flat_scratch, 0
	.set _ZN7rocprim17ROCPRIM_400000_NS6detail17trampoline_kernelINS0_14default_configENS1_21merge_config_selectorINS0_5tupleIJssEEENS0_10empty_typeEEEZNS1_10merge_implIS3_NS0_12zip_iteratorINS5_IJN6thrust23THRUST_200600_302600_NS6detail15normal_iteratorINSC_10device_ptrIKsEEEESI_EEEEESK_NSA_INS5_IJNSE_INSF_IsEEEESM_EEEEEPS7_SP_SP_NSC_11hip_rocprim7__merge17predicate_wrapperIssNSC_7greaterIsEEEEEE10hipError_tPvRmT0_T1_T2_T3_T4_T5_mmT6_P12ihipStream_tbEUlT_E_NS1_11comp_targetILNS1_3genE9ELNS1_11target_archE1100ELNS1_3gpuE3ELNS1_3repE0EEENS1_30default_config_static_selectorELNS0_4arch9wavefront6targetE0EEEvS10_.has_dyn_sized_stack, 0
	.set _ZN7rocprim17ROCPRIM_400000_NS6detail17trampoline_kernelINS0_14default_configENS1_21merge_config_selectorINS0_5tupleIJssEEENS0_10empty_typeEEEZNS1_10merge_implIS3_NS0_12zip_iteratorINS5_IJN6thrust23THRUST_200600_302600_NS6detail15normal_iteratorINSC_10device_ptrIKsEEEESI_EEEEESK_NSA_INS5_IJNSE_INSF_IsEEEESM_EEEEEPS7_SP_SP_NSC_11hip_rocprim7__merge17predicate_wrapperIssNSC_7greaterIsEEEEEE10hipError_tPvRmT0_T1_T2_T3_T4_T5_mmT6_P12ihipStream_tbEUlT_E_NS1_11comp_targetILNS1_3genE9ELNS1_11target_archE1100ELNS1_3gpuE3ELNS1_3repE0EEENS1_30default_config_static_selectorELNS0_4arch9wavefront6targetE0EEEvS10_.has_recursion, 0
	.set _ZN7rocprim17ROCPRIM_400000_NS6detail17trampoline_kernelINS0_14default_configENS1_21merge_config_selectorINS0_5tupleIJssEEENS0_10empty_typeEEEZNS1_10merge_implIS3_NS0_12zip_iteratorINS5_IJN6thrust23THRUST_200600_302600_NS6detail15normal_iteratorINSC_10device_ptrIKsEEEESI_EEEEESK_NSA_INS5_IJNSE_INSF_IsEEEESM_EEEEEPS7_SP_SP_NSC_11hip_rocprim7__merge17predicate_wrapperIssNSC_7greaterIsEEEEEE10hipError_tPvRmT0_T1_T2_T3_T4_T5_mmT6_P12ihipStream_tbEUlT_E_NS1_11comp_targetILNS1_3genE9ELNS1_11target_archE1100ELNS1_3gpuE3ELNS1_3repE0EEENS1_30default_config_static_selectorELNS0_4arch9wavefront6targetE0EEEvS10_.has_indirect_call, 0
	.section	.AMDGPU.csdata,"",@progbits
; Kernel info:
; codeLenInByte = 0
; TotalNumSgprs: 0
; NumVgprs: 0
; ScratchSize: 0
; MemoryBound: 0
; FloatMode: 240
; IeeeMode: 1
; LDSByteSize: 0 bytes/workgroup (compile time only)
; SGPRBlocks: 0
; VGPRBlocks: 0
; NumSGPRsForWavesPerEU: 1
; NumVGPRsForWavesPerEU: 1
; NamedBarCnt: 0
; Occupancy: 16
; WaveLimiterHint : 0
; COMPUTE_PGM_RSRC2:SCRATCH_EN: 0
; COMPUTE_PGM_RSRC2:USER_SGPR: 2
; COMPUTE_PGM_RSRC2:TRAP_HANDLER: 0
; COMPUTE_PGM_RSRC2:TGID_X_EN: 1
; COMPUTE_PGM_RSRC2:TGID_Y_EN: 0
; COMPUTE_PGM_RSRC2:TGID_Z_EN: 0
; COMPUTE_PGM_RSRC2:TIDIG_COMP_CNT: 0
	.section	.text._ZN7rocprim17ROCPRIM_400000_NS6detail17trampoline_kernelINS0_14default_configENS1_21merge_config_selectorINS0_5tupleIJssEEENS0_10empty_typeEEEZNS1_10merge_implIS3_NS0_12zip_iteratorINS5_IJN6thrust23THRUST_200600_302600_NS6detail15normal_iteratorINSC_10device_ptrIKsEEEESI_EEEEESK_NSA_INS5_IJNSE_INSF_IsEEEESM_EEEEEPS7_SP_SP_NSC_11hip_rocprim7__merge17predicate_wrapperIssNSC_7greaterIsEEEEEE10hipError_tPvRmT0_T1_T2_T3_T4_T5_mmT6_P12ihipStream_tbEUlT_E_NS1_11comp_targetILNS1_3genE8ELNS1_11target_archE1030ELNS1_3gpuE2ELNS1_3repE0EEENS1_30default_config_static_selectorELNS0_4arch9wavefront6targetE0EEEvS10_,"axG",@progbits,_ZN7rocprim17ROCPRIM_400000_NS6detail17trampoline_kernelINS0_14default_configENS1_21merge_config_selectorINS0_5tupleIJssEEENS0_10empty_typeEEEZNS1_10merge_implIS3_NS0_12zip_iteratorINS5_IJN6thrust23THRUST_200600_302600_NS6detail15normal_iteratorINSC_10device_ptrIKsEEEESI_EEEEESK_NSA_INS5_IJNSE_INSF_IsEEEESM_EEEEEPS7_SP_SP_NSC_11hip_rocprim7__merge17predicate_wrapperIssNSC_7greaterIsEEEEEE10hipError_tPvRmT0_T1_T2_T3_T4_T5_mmT6_P12ihipStream_tbEUlT_E_NS1_11comp_targetILNS1_3genE8ELNS1_11target_archE1030ELNS1_3gpuE2ELNS1_3repE0EEENS1_30default_config_static_selectorELNS0_4arch9wavefront6targetE0EEEvS10_,comdat
	.protected	_ZN7rocprim17ROCPRIM_400000_NS6detail17trampoline_kernelINS0_14default_configENS1_21merge_config_selectorINS0_5tupleIJssEEENS0_10empty_typeEEEZNS1_10merge_implIS3_NS0_12zip_iteratorINS5_IJN6thrust23THRUST_200600_302600_NS6detail15normal_iteratorINSC_10device_ptrIKsEEEESI_EEEEESK_NSA_INS5_IJNSE_INSF_IsEEEESM_EEEEEPS7_SP_SP_NSC_11hip_rocprim7__merge17predicate_wrapperIssNSC_7greaterIsEEEEEE10hipError_tPvRmT0_T1_T2_T3_T4_T5_mmT6_P12ihipStream_tbEUlT_E_NS1_11comp_targetILNS1_3genE8ELNS1_11target_archE1030ELNS1_3gpuE2ELNS1_3repE0EEENS1_30default_config_static_selectorELNS0_4arch9wavefront6targetE0EEEvS10_ ; -- Begin function _ZN7rocprim17ROCPRIM_400000_NS6detail17trampoline_kernelINS0_14default_configENS1_21merge_config_selectorINS0_5tupleIJssEEENS0_10empty_typeEEEZNS1_10merge_implIS3_NS0_12zip_iteratorINS5_IJN6thrust23THRUST_200600_302600_NS6detail15normal_iteratorINSC_10device_ptrIKsEEEESI_EEEEESK_NSA_INS5_IJNSE_INSF_IsEEEESM_EEEEEPS7_SP_SP_NSC_11hip_rocprim7__merge17predicate_wrapperIssNSC_7greaterIsEEEEEE10hipError_tPvRmT0_T1_T2_T3_T4_T5_mmT6_P12ihipStream_tbEUlT_E_NS1_11comp_targetILNS1_3genE8ELNS1_11target_archE1030ELNS1_3gpuE2ELNS1_3repE0EEENS1_30default_config_static_selectorELNS0_4arch9wavefront6targetE0EEEvS10_
	.globl	_ZN7rocprim17ROCPRIM_400000_NS6detail17trampoline_kernelINS0_14default_configENS1_21merge_config_selectorINS0_5tupleIJssEEENS0_10empty_typeEEEZNS1_10merge_implIS3_NS0_12zip_iteratorINS5_IJN6thrust23THRUST_200600_302600_NS6detail15normal_iteratorINSC_10device_ptrIKsEEEESI_EEEEESK_NSA_INS5_IJNSE_INSF_IsEEEESM_EEEEEPS7_SP_SP_NSC_11hip_rocprim7__merge17predicate_wrapperIssNSC_7greaterIsEEEEEE10hipError_tPvRmT0_T1_T2_T3_T4_T5_mmT6_P12ihipStream_tbEUlT_E_NS1_11comp_targetILNS1_3genE8ELNS1_11target_archE1030ELNS1_3gpuE2ELNS1_3repE0EEENS1_30default_config_static_selectorELNS0_4arch9wavefront6targetE0EEEvS10_
	.p2align	8
	.type	_ZN7rocprim17ROCPRIM_400000_NS6detail17trampoline_kernelINS0_14default_configENS1_21merge_config_selectorINS0_5tupleIJssEEENS0_10empty_typeEEEZNS1_10merge_implIS3_NS0_12zip_iteratorINS5_IJN6thrust23THRUST_200600_302600_NS6detail15normal_iteratorINSC_10device_ptrIKsEEEESI_EEEEESK_NSA_INS5_IJNSE_INSF_IsEEEESM_EEEEEPS7_SP_SP_NSC_11hip_rocprim7__merge17predicate_wrapperIssNSC_7greaterIsEEEEEE10hipError_tPvRmT0_T1_T2_T3_T4_T5_mmT6_P12ihipStream_tbEUlT_E_NS1_11comp_targetILNS1_3genE8ELNS1_11target_archE1030ELNS1_3gpuE2ELNS1_3repE0EEENS1_30default_config_static_selectorELNS0_4arch9wavefront6targetE0EEEvS10_,@function
_ZN7rocprim17ROCPRIM_400000_NS6detail17trampoline_kernelINS0_14default_configENS1_21merge_config_selectorINS0_5tupleIJssEEENS0_10empty_typeEEEZNS1_10merge_implIS3_NS0_12zip_iteratorINS5_IJN6thrust23THRUST_200600_302600_NS6detail15normal_iteratorINSC_10device_ptrIKsEEEESI_EEEEESK_NSA_INS5_IJNSE_INSF_IsEEEESM_EEEEEPS7_SP_SP_NSC_11hip_rocprim7__merge17predicate_wrapperIssNSC_7greaterIsEEEEEE10hipError_tPvRmT0_T1_T2_T3_T4_T5_mmT6_P12ihipStream_tbEUlT_E_NS1_11comp_targetILNS1_3genE8ELNS1_11target_archE1030ELNS1_3gpuE2ELNS1_3repE0EEENS1_30default_config_static_selectorELNS0_4arch9wavefront6targetE0EEEvS10_: ; @_ZN7rocprim17ROCPRIM_400000_NS6detail17trampoline_kernelINS0_14default_configENS1_21merge_config_selectorINS0_5tupleIJssEEENS0_10empty_typeEEEZNS1_10merge_implIS3_NS0_12zip_iteratorINS5_IJN6thrust23THRUST_200600_302600_NS6detail15normal_iteratorINSC_10device_ptrIKsEEEESI_EEEEESK_NSA_INS5_IJNSE_INSF_IsEEEESM_EEEEEPS7_SP_SP_NSC_11hip_rocprim7__merge17predicate_wrapperIssNSC_7greaterIsEEEEEE10hipError_tPvRmT0_T1_T2_T3_T4_T5_mmT6_P12ihipStream_tbEUlT_E_NS1_11comp_targetILNS1_3genE8ELNS1_11target_archE1030ELNS1_3gpuE2ELNS1_3repE0EEENS1_30default_config_static_selectorELNS0_4arch9wavefront6targetE0EEEvS10_
; %bb.0:
	.section	.rodata,"a",@progbits
	.p2align	6, 0x0
	.amdhsa_kernel _ZN7rocprim17ROCPRIM_400000_NS6detail17trampoline_kernelINS0_14default_configENS1_21merge_config_selectorINS0_5tupleIJssEEENS0_10empty_typeEEEZNS1_10merge_implIS3_NS0_12zip_iteratorINS5_IJN6thrust23THRUST_200600_302600_NS6detail15normal_iteratorINSC_10device_ptrIKsEEEESI_EEEEESK_NSA_INS5_IJNSE_INSF_IsEEEESM_EEEEEPS7_SP_SP_NSC_11hip_rocprim7__merge17predicate_wrapperIssNSC_7greaterIsEEEEEE10hipError_tPvRmT0_T1_T2_T3_T4_T5_mmT6_P12ihipStream_tbEUlT_E_NS1_11comp_targetILNS1_3genE8ELNS1_11target_archE1030ELNS1_3gpuE2ELNS1_3repE0EEENS1_30default_config_static_selectorELNS0_4arch9wavefront6targetE0EEEvS10_
		.amdhsa_group_segment_fixed_size 0
		.amdhsa_private_segment_fixed_size 0
		.amdhsa_kernarg_size 64
		.amdhsa_user_sgpr_count 2
		.amdhsa_user_sgpr_dispatch_ptr 0
		.amdhsa_user_sgpr_queue_ptr 0
		.amdhsa_user_sgpr_kernarg_segment_ptr 1
		.amdhsa_user_sgpr_dispatch_id 0
		.amdhsa_user_sgpr_kernarg_preload_length 0
		.amdhsa_user_sgpr_kernarg_preload_offset 0
		.amdhsa_user_sgpr_private_segment_size 0
		.amdhsa_wavefront_size32 1
		.amdhsa_uses_dynamic_stack 0
		.amdhsa_enable_private_segment 0
		.amdhsa_system_sgpr_workgroup_id_x 1
		.amdhsa_system_sgpr_workgroup_id_y 0
		.amdhsa_system_sgpr_workgroup_id_z 0
		.amdhsa_system_sgpr_workgroup_info 0
		.amdhsa_system_vgpr_workitem_id 0
		.amdhsa_next_free_vgpr 1
		.amdhsa_next_free_sgpr 1
		.amdhsa_named_barrier_count 0
		.amdhsa_reserve_vcc 0
		.amdhsa_float_round_mode_32 0
		.amdhsa_float_round_mode_16_64 0
		.amdhsa_float_denorm_mode_32 3
		.amdhsa_float_denorm_mode_16_64 3
		.amdhsa_fp16_overflow 0
		.amdhsa_memory_ordered 1
		.amdhsa_forward_progress 1
		.amdhsa_inst_pref_size 0
		.amdhsa_round_robin_scheduling 0
		.amdhsa_exception_fp_ieee_invalid_op 0
		.amdhsa_exception_fp_denorm_src 0
		.amdhsa_exception_fp_ieee_div_zero 0
		.amdhsa_exception_fp_ieee_overflow 0
		.amdhsa_exception_fp_ieee_underflow 0
		.amdhsa_exception_fp_ieee_inexact 0
		.amdhsa_exception_int_div_zero 0
	.end_amdhsa_kernel
	.section	.text._ZN7rocprim17ROCPRIM_400000_NS6detail17trampoline_kernelINS0_14default_configENS1_21merge_config_selectorINS0_5tupleIJssEEENS0_10empty_typeEEEZNS1_10merge_implIS3_NS0_12zip_iteratorINS5_IJN6thrust23THRUST_200600_302600_NS6detail15normal_iteratorINSC_10device_ptrIKsEEEESI_EEEEESK_NSA_INS5_IJNSE_INSF_IsEEEESM_EEEEEPS7_SP_SP_NSC_11hip_rocprim7__merge17predicate_wrapperIssNSC_7greaterIsEEEEEE10hipError_tPvRmT0_T1_T2_T3_T4_T5_mmT6_P12ihipStream_tbEUlT_E_NS1_11comp_targetILNS1_3genE8ELNS1_11target_archE1030ELNS1_3gpuE2ELNS1_3repE0EEENS1_30default_config_static_selectorELNS0_4arch9wavefront6targetE0EEEvS10_,"axG",@progbits,_ZN7rocprim17ROCPRIM_400000_NS6detail17trampoline_kernelINS0_14default_configENS1_21merge_config_selectorINS0_5tupleIJssEEENS0_10empty_typeEEEZNS1_10merge_implIS3_NS0_12zip_iteratorINS5_IJN6thrust23THRUST_200600_302600_NS6detail15normal_iteratorINSC_10device_ptrIKsEEEESI_EEEEESK_NSA_INS5_IJNSE_INSF_IsEEEESM_EEEEEPS7_SP_SP_NSC_11hip_rocprim7__merge17predicate_wrapperIssNSC_7greaterIsEEEEEE10hipError_tPvRmT0_T1_T2_T3_T4_T5_mmT6_P12ihipStream_tbEUlT_E_NS1_11comp_targetILNS1_3genE8ELNS1_11target_archE1030ELNS1_3gpuE2ELNS1_3repE0EEENS1_30default_config_static_selectorELNS0_4arch9wavefront6targetE0EEEvS10_,comdat
.Lfunc_end451:
	.size	_ZN7rocprim17ROCPRIM_400000_NS6detail17trampoline_kernelINS0_14default_configENS1_21merge_config_selectorINS0_5tupleIJssEEENS0_10empty_typeEEEZNS1_10merge_implIS3_NS0_12zip_iteratorINS5_IJN6thrust23THRUST_200600_302600_NS6detail15normal_iteratorINSC_10device_ptrIKsEEEESI_EEEEESK_NSA_INS5_IJNSE_INSF_IsEEEESM_EEEEEPS7_SP_SP_NSC_11hip_rocprim7__merge17predicate_wrapperIssNSC_7greaterIsEEEEEE10hipError_tPvRmT0_T1_T2_T3_T4_T5_mmT6_P12ihipStream_tbEUlT_E_NS1_11comp_targetILNS1_3genE8ELNS1_11target_archE1030ELNS1_3gpuE2ELNS1_3repE0EEENS1_30default_config_static_selectorELNS0_4arch9wavefront6targetE0EEEvS10_, .Lfunc_end451-_ZN7rocprim17ROCPRIM_400000_NS6detail17trampoline_kernelINS0_14default_configENS1_21merge_config_selectorINS0_5tupleIJssEEENS0_10empty_typeEEEZNS1_10merge_implIS3_NS0_12zip_iteratorINS5_IJN6thrust23THRUST_200600_302600_NS6detail15normal_iteratorINSC_10device_ptrIKsEEEESI_EEEEESK_NSA_INS5_IJNSE_INSF_IsEEEESM_EEEEEPS7_SP_SP_NSC_11hip_rocprim7__merge17predicate_wrapperIssNSC_7greaterIsEEEEEE10hipError_tPvRmT0_T1_T2_T3_T4_T5_mmT6_P12ihipStream_tbEUlT_E_NS1_11comp_targetILNS1_3genE8ELNS1_11target_archE1030ELNS1_3gpuE2ELNS1_3repE0EEENS1_30default_config_static_selectorELNS0_4arch9wavefront6targetE0EEEvS10_
                                        ; -- End function
	.set _ZN7rocprim17ROCPRIM_400000_NS6detail17trampoline_kernelINS0_14default_configENS1_21merge_config_selectorINS0_5tupleIJssEEENS0_10empty_typeEEEZNS1_10merge_implIS3_NS0_12zip_iteratorINS5_IJN6thrust23THRUST_200600_302600_NS6detail15normal_iteratorINSC_10device_ptrIKsEEEESI_EEEEESK_NSA_INS5_IJNSE_INSF_IsEEEESM_EEEEEPS7_SP_SP_NSC_11hip_rocprim7__merge17predicate_wrapperIssNSC_7greaterIsEEEEEE10hipError_tPvRmT0_T1_T2_T3_T4_T5_mmT6_P12ihipStream_tbEUlT_E_NS1_11comp_targetILNS1_3genE8ELNS1_11target_archE1030ELNS1_3gpuE2ELNS1_3repE0EEENS1_30default_config_static_selectorELNS0_4arch9wavefront6targetE0EEEvS10_.num_vgpr, 0
	.set _ZN7rocprim17ROCPRIM_400000_NS6detail17trampoline_kernelINS0_14default_configENS1_21merge_config_selectorINS0_5tupleIJssEEENS0_10empty_typeEEEZNS1_10merge_implIS3_NS0_12zip_iteratorINS5_IJN6thrust23THRUST_200600_302600_NS6detail15normal_iteratorINSC_10device_ptrIKsEEEESI_EEEEESK_NSA_INS5_IJNSE_INSF_IsEEEESM_EEEEEPS7_SP_SP_NSC_11hip_rocprim7__merge17predicate_wrapperIssNSC_7greaterIsEEEEEE10hipError_tPvRmT0_T1_T2_T3_T4_T5_mmT6_P12ihipStream_tbEUlT_E_NS1_11comp_targetILNS1_3genE8ELNS1_11target_archE1030ELNS1_3gpuE2ELNS1_3repE0EEENS1_30default_config_static_selectorELNS0_4arch9wavefront6targetE0EEEvS10_.num_agpr, 0
	.set _ZN7rocprim17ROCPRIM_400000_NS6detail17trampoline_kernelINS0_14default_configENS1_21merge_config_selectorINS0_5tupleIJssEEENS0_10empty_typeEEEZNS1_10merge_implIS3_NS0_12zip_iteratorINS5_IJN6thrust23THRUST_200600_302600_NS6detail15normal_iteratorINSC_10device_ptrIKsEEEESI_EEEEESK_NSA_INS5_IJNSE_INSF_IsEEEESM_EEEEEPS7_SP_SP_NSC_11hip_rocprim7__merge17predicate_wrapperIssNSC_7greaterIsEEEEEE10hipError_tPvRmT0_T1_T2_T3_T4_T5_mmT6_P12ihipStream_tbEUlT_E_NS1_11comp_targetILNS1_3genE8ELNS1_11target_archE1030ELNS1_3gpuE2ELNS1_3repE0EEENS1_30default_config_static_selectorELNS0_4arch9wavefront6targetE0EEEvS10_.numbered_sgpr, 0
	.set _ZN7rocprim17ROCPRIM_400000_NS6detail17trampoline_kernelINS0_14default_configENS1_21merge_config_selectorINS0_5tupleIJssEEENS0_10empty_typeEEEZNS1_10merge_implIS3_NS0_12zip_iteratorINS5_IJN6thrust23THRUST_200600_302600_NS6detail15normal_iteratorINSC_10device_ptrIKsEEEESI_EEEEESK_NSA_INS5_IJNSE_INSF_IsEEEESM_EEEEEPS7_SP_SP_NSC_11hip_rocprim7__merge17predicate_wrapperIssNSC_7greaterIsEEEEEE10hipError_tPvRmT0_T1_T2_T3_T4_T5_mmT6_P12ihipStream_tbEUlT_E_NS1_11comp_targetILNS1_3genE8ELNS1_11target_archE1030ELNS1_3gpuE2ELNS1_3repE0EEENS1_30default_config_static_selectorELNS0_4arch9wavefront6targetE0EEEvS10_.num_named_barrier, 0
	.set _ZN7rocprim17ROCPRIM_400000_NS6detail17trampoline_kernelINS0_14default_configENS1_21merge_config_selectorINS0_5tupleIJssEEENS0_10empty_typeEEEZNS1_10merge_implIS3_NS0_12zip_iteratorINS5_IJN6thrust23THRUST_200600_302600_NS6detail15normal_iteratorINSC_10device_ptrIKsEEEESI_EEEEESK_NSA_INS5_IJNSE_INSF_IsEEEESM_EEEEEPS7_SP_SP_NSC_11hip_rocprim7__merge17predicate_wrapperIssNSC_7greaterIsEEEEEE10hipError_tPvRmT0_T1_T2_T3_T4_T5_mmT6_P12ihipStream_tbEUlT_E_NS1_11comp_targetILNS1_3genE8ELNS1_11target_archE1030ELNS1_3gpuE2ELNS1_3repE0EEENS1_30default_config_static_selectorELNS0_4arch9wavefront6targetE0EEEvS10_.private_seg_size, 0
	.set _ZN7rocprim17ROCPRIM_400000_NS6detail17trampoline_kernelINS0_14default_configENS1_21merge_config_selectorINS0_5tupleIJssEEENS0_10empty_typeEEEZNS1_10merge_implIS3_NS0_12zip_iteratorINS5_IJN6thrust23THRUST_200600_302600_NS6detail15normal_iteratorINSC_10device_ptrIKsEEEESI_EEEEESK_NSA_INS5_IJNSE_INSF_IsEEEESM_EEEEEPS7_SP_SP_NSC_11hip_rocprim7__merge17predicate_wrapperIssNSC_7greaterIsEEEEEE10hipError_tPvRmT0_T1_T2_T3_T4_T5_mmT6_P12ihipStream_tbEUlT_E_NS1_11comp_targetILNS1_3genE8ELNS1_11target_archE1030ELNS1_3gpuE2ELNS1_3repE0EEENS1_30default_config_static_selectorELNS0_4arch9wavefront6targetE0EEEvS10_.uses_vcc, 0
	.set _ZN7rocprim17ROCPRIM_400000_NS6detail17trampoline_kernelINS0_14default_configENS1_21merge_config_selectorINS0_5tupleIJssEEENS0_10empty_typeEEEZNS1_10merge_implIS3_NS0_12zip_iteratorINS5_IJN6thrust23THRUST_200600_302600_NS6detail15normal_iteratorINSC_10device_ptrIKsEEEESI_EEEEESK_NSA_INS5_IJNSE_INSF_IsEEEESM_EEEEEPS7_SP_SP_NSC_11hip_rocprim7__merge17predicate_wrapperIssNSC_7greaterIsEEEEEE10hipError_tPvRmT0_T1_T2_T3_T4_T5_mmT6_P12ihipStream_tbEUlT_E_NS1_11comp_targetILNS1_3genE8ELNS1_11target_archE1030ELNS1_3gpuE2ELNS1_3repE0EEENS1_30default_config_static_selectorELNS0_4arch9wavefront6targetE0EEEvS10_.uses_flat_scratch, 0
	.set _ZN7rocprim17ROCPRIM_400000_NS6detail17trampoline_kernelINS0_14default_configENS1_21merge_config_selectorINS0_5tupleIJssEEENS0_10empty_typeEEEZNS1_10merge_implIS3_NS0_12zip_iteratorINS5_IJN6thrust23THRUST_200600_302600_NS6detail15normal_iteratorINSC_10device_ptrIKsEEEESI_EEEEESK_NSA_INS5_IJNSE_INSF_IsEEEESM_EEEEEPS7_SP_SP_NSC_11hip_rocprim7__merge17predicate_wrapperIssNSC_7greaterIsEEEEEE10hipError_tPvRmT0_T1_T2_T3_T4_T5_mmT6_P12ihipStream_tbEUlT_E_NS1_11comp_targetILNS1_3genE8ELNS1_11target_archE1030ELNS1_3gpuE2ELNS1_3repE0EEENS1_30default_config_static_selectorELNS0_4arch9wavefront6targetE0EEEvS10_.has_dyn_sized_stack, 0
	.set _ZN7rocprim17ROCPRIM_400000_NS6detail17trampoline_kernelINS0_14default_configENS1_21merge_config_selectorINS0_5tupleIJssEEENS0_10empty_typeEEEZNS1_10merge_implIS3_NS0_12zip_iteratorINS5_IJN6thrust23THRUST_200600_302600_NS6detail15normal_iteratorINSC_10device_ptrIKsEEEESI_EEEEESK_NSA_INS5_IJNSE_INSF_IsEEEESM_EEEEEPS7_SP_SP_NSC_11hip_rocprim7__merge17predicate_wrapperIssNSC_7greaterIsEEEEEE10hipError_tPvRmT0_T1_T2_T3_T4_T5_mmT6_P12ihipStream_tbEUlT_E_NS1_11comp_targetILNS1_3genE8ELNS1_11target_archE1030ELNS1_3gpuE2ELNS1_3repE0EEENS1_30default_config_static_selectorELNS0_4arch9wavefront6targetE0EEEvS10_.has_recursion, 0
	.set _ZN7rocprim17ROCPRIM_400000_NS6detail17trampoline_kernelINS0_14default_configENS1_21merge_config_selectorINS0_5tupleIJssEEENS0_10empty_typeEEEZNS1_10merge_implIS3_NS0_12zip_iteratorINS5_IJN6thrust23THRUST_200600_302600_NS6detail15normal_iteratorINSC_10device_ptrIKsEEEESI_EEEEESK_NSA_INS5_IJNSE_INSF_IsEEEESM_EEEEEPS7_SP_SP_NSC_11hip_rocprim7__merge17predicate_wrapperIssNSC_7greaterIsEEEEEE10hipError_tPvRmT0_T1_T2_T3_T4_T5_mmT6_P12ihipStream_tbEUlT_E_NS1_11comp_targetILNS1_3genE8ELNS1_11target_archE1030ELNS1_3gpuE2ELNS1_3repE0EEENS1_30default_config_static_selectorELNS0_4arch9wavefront6targetE0EEEvS10_.has_indirect_call, 0
	.section	.AMDGPU.csdata,"",@progbits
; Kernel info:
; codeLenInByte = 0
; TotalNumSgprs: 0
; NumVgprs: 0
; ScratchSize: 0
; MemoryBound: 0
; FloatMode: 240
; IeeeMode: 1
; LDSByteSize: 0 bytes/workgroup (compile time only)
; SGPRBlocks: 0
; VGPRBlocks: 0
; NumSGPRsForWavesPerEU: 1
; NumVGPRsForWavesPerEU: 1
; NamedBarCnt: 0
; Occupancy: 16
; WaveLimiterHint : 0
; COMPUTE_PGM_RSRC2:SCRATCH_EN: 0
; COMPUTE_PGM_RSRC2:USER_SGPR: 2
; COMPUTE_PGM_RSRC2:TRAP_HANDLER: 0
; COMPUTE_PGM_RSRC2:TGID_X_EN: 1
; COMPUTE_PGM_RSRC2:TGID_Y_EN: 0
; COMPUTE_PGM_RSRC2:TGID_Z_EN: 0
; COMPUTE_PGM_RSRC2:TIDIG_COMP_CNT: 0
	.section	.text._ZN7rocprim17ROCPRIM_400000_NS6detail17trampoline_kernelINS0_14default_configENS1_21merge_config_selectorINS0_5tupleIJssEEENS0_10empty_typeEEEZNS1_10merge_implIS3_NS0_12zip_iteratorINS5_IJN6thrust23THRUST_200600_302600_NS6detail15normal_iteratorINSC_10device_ptrIKsEEEESI_EEEEESK_NSA_INS5_IJNSE_INSF_IsEEEESM_EEEEEPS7_SP_SP_NSC_11hip_rocprim7__merge17predicate_wrapperIssNSC_7greaterIsEEEEEE10hipError_tPvRmT0_T1_T2_T3_T4_T5_mmT6_P12ihipStream_tbEUlT_E0_NS1_11comp_targetILNS1_3genE0ELNS1_11target_archE4294967295ELNS1_3gpuE0ELNS1_3repE0EEENS1_30default_config_static_selectorELNS0_4arch9wavefront6targetE0EEEvS10_,"axG",@progbits,_ZN7rocprim17ROCPRIM_400000_NS6detail17trampoline_kernelINS0_14default_configENS1_21merge_config_selectorINS0_5tupleIJssEEENS0_10empty_typeEEEZNS1_10merge_implIS3_NS0_12zip_iteratorINS5_IJN6thrust23THRUST_200600_302600_NS6detail15normal_iteratorINSC_10device_ptrIKsEEEESI_EEEEESK_NSA_INS5_IJNSE_INSF_IsEEEESM_EEEEEPS7_SP_SP_NSC_11hip_rocprim7__merge17predicate_wrapperIssNSC_7greaterIsEEEEEE10hipError_tPvRmT0_T1_T2_T3_T4_T5_mmT6_P12ihipStream_tbEUlT_E0_NS1_11comp_targetILNS1_3genE0ELNS1_11target_archE4294967295ELNS1_3gpuE0ELNS1_3repE0EEENS1_30default_config_static_selectorELNS0_4arch9wavefront6targetE0EEEvS10_,comdat
	.protected	_ZN7rocprim17ROCPRIM_400000_NS6detail17trampoline_kernelINS0_14default_configENS1_21merge_config_selectorINS0_5tupleIJssEEENS0_10empty_typeEEEZNS1_10merge_implIS3_NS0_12zip_iteratorINS5_IJN6thrust23THRUST_200600_302600_NS6detail15normal_iteratorINSC_10device_ptrIKsEEEESI_EEEEESK_NSA_INS5_IJNSE_INSF_IsEEEESM_EEEEEPS7_SP_SP_NSC_11hip_rocprim7__merge17predicate_wrapperIssNSC_7greaterIsEEEEEE10hipError_tPvRmT0_T1_T2_T3_T4_T5_mmT6_P12ihipStream_tbEUlT_E0_NS1_11comp_targetILNS1_3genE0ELNS1_11target_archE4294967295ELNS1_3gpuE0ELNS1_3repE0EEENS1_30default_config_static_selectorELNS0_4arch9wavefront6targetE0EEEvS10_ ; -- Begin function _ZN7rocprim17ROCPRIM_400000_NS6detail17trampoline_kernelINS0_14default_configENS1_21merge_config_selectorINS0_5tupleIJssEEENS0_10empty_typeEEEZNS1_10merge_implIS3_NS0_12zip_iteratorINS5_IJN6thrust23THRUST_200600_302600_NS6detail15normal_iteratorINSC_10device_ptrIKsEEEESI_EEEEESK_NSA_INS5_IJNSE_INSF_IsEEEESM_EEEEEPS7_SP_SP_NSC_11hip_rocprim7__merge17predicate_wrapperIssNSC_7greaterIsEEEEEE10hipError_tPvRmT0_T1_T2_T3_T4_T5_mmT6_P12ihipStream_tbEUlT_E0_NS1_11comp_targetILNS1_3genE0ELNS1_11target_archE4294967295ELNS1_3gpuE0ELNS1_3repE0EEENS1_30default_config_static_selectorELNS0_4arch9wavefront6targetE0EEEvS10_
	.globl	_ZN7rocprim17ROCPRIM_400000_NS6detail17trampoline_kernelINS0_14default_configENS1_21merge_config_selectorINS0_5tupleIJssEEENS0_10empty_typeEEEZNS1_10merge_implIS3_NS0_12zip_iteratorINS5_IJN6thrust23THRUST_200600_302600_NS6detail15normal_iteratorINSC_10device_ptrIKsEEEESI_EEEEESK_NSA_INS5_IJNSE_INSF_IsEEEESM_EEEEEPS7_SP_SP_NSC_11hip_rocprim7__merge17predicate_wrapperIssNSC_7greaterIsEEEEEE10hipError_tPvRmT0_T1_T2_T3_T4_T5_mmT6_P12ihipStream_tbEUlT_E0_NS1_11comp_targetILNS1_3genE0ELNS1_11target_archE4294967295ELNS1_3gpuE0ELNS1_3repE0EEENS1_30default_config_static_selectorELNS0_4arch9wavefront6targetE0EEEvS10_
	.p2align	8
	.type	_ZN7rocprim17ROCPRIM_400000_NS6detail17trampoline_kernelINS0_14default_configENS1_21merge_config_selectorINS0_5tupleIJssEEENS0_10empty_typeEEEZNS1_10merge_implIS3_NS0_12zip_iteratorINS5_IJN6thrust23THRUST_200600_302600_NS6detail15normal_iteratorINSC_10device_ptrIKsEEEESI_EEEEESK_NSA_INS5_IJNSE_INSF_IsEEEESM_EEEEEPS7_SP_SP_NSC_11hip_rocprim7__merge17predicate_wrapperIssNSC_7greaterIsEEEEEE10hipError_tPvRmT0_T1_T2_T3_T4_T5_mmT6_P12ihipStream_tbEUlT_E0_NS1_11comp_targetILNS1_3genE0ELNS1_11target_archE4294967295ELNS1_3gpuE0ELNS1_3repE0EEENS1_30default_config_static_selectorELNS0_4arch9wavefront6targetE0EEEvS10_,@function
_ZN7rocprim17ROCPRIM_400000_NS6detail17trampoline_kernelINS0_14default_configENS1_21merge_config_selectorINS0_5tupleIJssEEENS0_10empty_typeEEEZNS1_10merge_implIS3_NS0_12zip_iteratorINS5_IJN6thrust23THRUST_200600_302600_NS6detail15normal_iteratorINSC_10device_ptrIKsEEEESI_EEEEESK_NSA_INS5_IJNSE_INSF_IsEEEESM_EEEEEPS7_SP_SP_NSC_11hip_rocprim7__merge17predicate_wrapperIssNSC_7greaterIsEEEEEE10hipError_tPvRmT0_T1_T2_T3_T4_T5_mmT6_P12ihipStream_tbEUlT_E0_NS1_11comp_targetILNS1_3genE0ELNS1_11target_archE4294967295ELNS1_3gpuE0ELNS1_3repE0EEENS1_30default_config_static_selectorELNS0_4arch9wavefront6targetE0EEEvS10_: ; @_ZN7rocprim17ROCPRIM_400000_NS6detail17trampoline_kernelINS0_14default_configENS1_21merge_config_selectorINS0_5tupleIJssEEENS0_10empty_typeEEEZNS1_10merge_implIS3_NS0_12zip_iteratorINS5_IJN6thrust23THRUST_200600_302600_NS6detail15normal_iteratorINSC_10device_ptrIKsEEEESI_EEEEESK_NSA_INS5_IJNSE_INSF_IsEEEESM_EEEEEPS7_SP_SP_NSC_11hip_rocprim7__merge17predicate_wrapperIssNSC_7greaterIsEEEEEE10hipError_tPvRmT0_T1_T2_T3_T4_T5_mmT6_P12ihipStream_tbEUlT_E0_NS1_11comp_targetILNS1_3genE0ELNS1_11target_archE4294967295ELNS1_3gpuE0ELNS1_3repE0EEENS1_30default_config_static_selectorELNS0_4arch9wavefront6targetE0EEEvS10_
; %bb.0:
	s_clause 0x1
	s_load_b128 s[12:15], s[0:1], 0x58
	s_load_b256 s[4:11], s[0:1], 0x8
	s_bfe_u32 s2, ttmp6, 0x4000c
	s_and_b32 s3, ttmp6, 15
	s_add_co_i32 s2, s2, 1
	s_wait_kmcnt 0x0
	s_getreg_b32 s13, hwreg(HW_REG_IB_STS2, 6, 4)
	s_mul_i32 s2, ttmp9, s2
	s_mov_b32 s19, 0
	s_add_co_i32 s3, s3, s2
	s_cmp_eq_u32 s13, 0
	v_mov_b32_e32 v1, 0
	s_cselect_b32 s2, ttmp9, s3
	s_add_co_i32 s22, s14, s12
	s_add_co_i32 s12, s2, 1
	;; [unrolled: 1-line block ×3, first 2 shown]
	s_delay_alu instid0(SALU_CYCLE_1) | instskip(NEXT) | instid1(SALU_CYCLE_1)
	s_mul_hi_u32 s3, s3, 0xcccccccd
	s_lshr_b32 s3, s3, 11
	s_delay_alu instid0(SALU_CYCLE_1)
	s_min_u32 s16, s2, s3
	s_min_u32 s3, s12, s3
	s_clause 0x1
	s_load_b32 s18, s[4:5], s16 offset:0x0 scale_offset
	s_load_b32 s17, s[4:5], s3 offset:0x0 scale_offset
	s_load_b128 s[12:15], s[0:1], 0x28
	s_wait_xcnt 0x0
	s_mul_i32 s16, s2, 0xa00
	s_mov_b32 s3, s19
	s_add_co_i32 s2, s16, 0xa00
	s_delay_alu instid0(SALU_CYCLE_1)
	s_min_u32 s23, s22, s2
	s_wait_kmcnt 0x0
	s_sub_co_i32 s2, s16, s18
	s_lshl_b64 s[20:21], s[18:19], 1
	s_lshl_b64 s[24:25], s[2:3], 1
	s_add_co_i32 s2, s2, s17
	s_sub_co_i32 s18, s17, s18
	s_sub_co_i32 s2, s23, s2
	s_add_nc_u64 s[4:5], s[10:11], s[24:25]
	s_add_nc_u64 s[10:11], s[12:13], s[24:25]
	;; [unrolled: 1-line block ×3, first 2 shown]
	s_mov_b32 s3, exec_lo
	v_cmpx_le_u32_e64 s18, v0
	s_xor_b32 s3, exec_lo, s3
	s_cbranch_execz .LBB452_4
; %bb.1:
	s_mov_b32 s17, exec_lo
	v_cmpx_gt_u64_e64 s[12:13], v[0:1]
	s_cbranch_execz .LBB452_3
; %bb.2:
	v_subrev_nc_u32_e32 v2, s18, v0
	s_clause 0x1
	global_load_u16 v3, v2, s[4:5] scale_offset
	global_load_u16 v4, v2, s[10:11] scale_offset
	s_wait_xcnt 0x0
	v_lshlrev_b32_e32 v2, 2, v0
	s_wait_loadcnt 0x0
	v_perm_b32 v3, v4, v3, 0x5040100
	ds_store_b32 v2, v3
.LBB452_3:
	s_or_b32 exec_lo, exec_lo, s17
.LBB452_4:
	s_or_saveexec_b32 s3, s3
	v_lshlrev_b32_e32 v20, 2, v0
	s_add_nc_u64 s[6:7], s[6:7], s[20:21]
	s_add_nc_u64 s[8:9], s[8:9], s[20:21]
	s_xor_b32 exec_lo, exec_lo, s3
	s_cbranch_execz .LBB452_6
; %bb.5:
	s_clause 0x1
	global_load_u16 v2, v0, s[6:7] scale_offset
	global_load_u16 v3, v0, s[8:9] scale_offset
	s_wait_loadcnt 0x0
	v_perm_b32 v2, v3, v2, 0x5040100
	ds_store_b32 v20, v2
.LBB452_6:
	s_or_b32 exec_lo, exec_lo, s3
	v_or_b32_e32 v2, 0x100, v0
	v_mov_b32_e32 v3, 0
	s_mov_b32 s3, exec_lo
	s_delay_alu instid0(VALU_DEP_2)
	v_cmpx_le_u32_e64 s18, v2
	s_xor_b32 s3, exec_lo, s3
	s_cbranch_execz .LBB452_10
; %bb.7:
	s_mov_b32 s17, exec_lo
	v_cmpx_gt_u64_e64 s[12:13], v[2:3]
	s_cbranch_execz .LBB452_9
; %bb.8:
	v_sub_nc_u64_e64 v[4:5], v[0:1], s[18:19]
	s_delay_alu instid0(VALU_DEP_1) | instskip(NEXT) | instid1(VALU_DEP_1)
	v_lshlrev_b64_e32 v[4:5], 1, v[4:5]
	v_add_nc_u64_e32 v[6:7], s[4:5], v[4:5]
	v_add_nc_u64_e32 v[4:5], s[10:11], v[4:5]
	global_load_u16 v3, v[6:7], off offset:512
	global_load_u16 v8, v[4:5], off offset:512
	s_wait_loadcnt 0x0
	v_perm_b32 v3, v8, v3, 0x5040100
	ds_store_b32 v20, v3 offset:1024
.LBB452_9:
	s_or_b32 exec_lo, exec_lo, s17
.LBB452_10:
	s_and_not1_saveexec_b32 s3, s3
	s_cbranch_execz .LBB452_12
; %bb.11:
	s_clause 0x1
	global_load_u16 v3, v0, s[6:7] offset:512 scale_offset
	global_load_u16 v4, v0, s[8:9] offset:512 scale_offset
	s_wait_loadcnt 0x0
	v_perm_b32 v3, v4, v3, 0x5040100
	ds_store_b32 v20, v3 offset:1024
.LBB452_12:
	s_or_b32 exec_lo, exec_lo, s3
	v_or_b32_e32 v4, 0x200, v0
	v_mov_b32_e32 v5, 0
	s_mov_b32 s3, exec_lo
	s_delay_alu instid0(VALU_DEP_2)
	v_cmpx_le_u32_e64 s18, v4
	s_xor_b32 s3, exec_lo, s3
	s_cbranch_execz .LBB452_16
; %bb.13:
	s_mov_b32 s17, exec_lo
	v_cmpx_gt_u64_e64 s[12:13], v[4:5]
	s_cbranch_execz .LBB452_15
; %bb.14:
	v_sub_nc_u64_e64 v[6:7], v[0:1], s[18:19]
	s_delay_alu instid0(VALU_DEP_1) | instskip(NEXT) | instid1(VALU_DEP_1)
	v_lshlrev_b64_e32 v[6:7], 1, v[6:7]
	v_add_nc_u64_e32 v[8:9], s[4:5], v[6:7]
	v_add_nc_u64_e32 v[6:7], s[10:11], v[6:7]
	global_load_u16 v3, v[8:9], off offset:1024
	global_load_u16 v5, v[6:7], off offset:1024
	s_wait_loadcnt 0x0
	v_perm_b32 v3, v5, v3, 0x5040100
	ds_store_b32 v20, v3 offset:2048
.LBB452_15:
	s_or_b32 exec_lo, exec_lo, s17
.LBB452_16:
	s_and_not1_saveexec_b32 s3, s3
	s_cbranch_execz .LBB452_18
; %bb.17:
	s_clause 0x1
	global_load_u16 v3, v0, s[6:7] offset:1024 scale_offset
	global_load_u16 v5, v0, s[8:9] offset:1024 scale_offset
	s_wait_loadcnt 0x0
	v_perm_b32 v3, v5, v3, 0x5040100
	ds_store_b32 v20, v3 offset:2048
.LBB452_18:
	;; [unrolled: 36-line block ×8, first 2 shown]
	s_or_b32 exec_lo, exec_lo, s3
	v_or_b32_e32 v18, 0x900, v0
	v_mov_b32_e32 v19, 0
	s_mov_b32 s3, exec_lo
	s_delay_alu instid0(VALU_DEP_2)
	v_cmpx_le_u32_e64 s18, v18
	s_xor_b32 s3, exec_lo, s3
	s_cbranch_execz .LBB452_58
; %bb.55:
	v_cmp_gt_u64_e32 vcc_lo, s[12:13], v[18:19]
	s_and_saveexec_b32 s12, vcc_lo
	s_cbranch_execz .LBB452_57
; %bb.56:
	v_sub_nc_u64_e64 v[22:23], v[0:1], s[18:19]
	s_delay_alu instid0(VALU_DEP_1) | instskip(NEXT) | instid1(VALU_DEP_1)
	v_lshlrev_b64_e32 v[22:23], 1, v[22:23]
	v_add_nc_u64_e32 v[24:25], s[4:5], v[22:23]
	v_add_nc_u64_e32 v[22:23], s[10:11], v[22:23]
	global_load_u16 v1, v[24:25], off offset:4608
	global_load_u16 v3, v[22:23], off offset:4608
	s_wait_loadcnt 0x0
	v_perm_b32 v1, v3, v1, 0x5040100
	ds_store_b32 v20, v1 offset:9216
.LBB452_57:
	s_or_b32 exec_lo, exec_lo, s12
                                        ; implicit-def: $vgpr20
.LBB452_58:
	s_or_saveexec_b32 s3, s3
	s_load_b64 s[10:11], s[0:1], 0x38
	s_xor_b32 exec_lo, exec_lo, s3
	s_cbranch_execz .LBB452_60
; %bb.59:
	s_clause 0x1
	global_load_u16 v1, v0, s[6:7] offset:4608 scale_offset
	global_load_u16 v3, v0, s[8:9] offset:4608 scale_offset
	s_wait_loadcnt 0x0
	v_perm_b32 v1, v3, v1, 0x5040100
	ds_store_b32 v20, v1 offset:9216
.LBB452_60:
	s_or_b32 exec_lo, exec_lo, s3
	v_mul_u32_u24_e32 v3, 10, v0
	s_wait_xcnt 0x0
	s_mov_b32 s0, exec_lo
	s_wait_dscnt 0x0
	s_barrier_signal -1
	s_barrier_wait -1
	v_sub_nc_u32_e64 v11, v3, s2 clamp
	v_min_u32_e32 v5, s18, v3
	v_lshlrev_b32_e32 v1, 2, v3
	s_delay_alu instid0(VALU_DEP_2)
	v_cmpx_lt_u32_e64 v11, v5
	s_cbranch_execz .LBB452_64
; %bb.61:
	s_delay_alu instid0(VALU_DEP_2)
	v_lshl_add_u32 v7, s18, 2, v1
	s_mov_b32 s1, 0
.LBB452_62:                             ; =>This Inner Loop Header: Depth=1
	v_add_nc_u32_e32 v9, v5, v11
	s_delay_alu instid0(VALU_DEP_1) | instskip(NEXT) | instid1(VALU_DEP_1)
	v_lshrrev_b32_e32 v9, 1, v9
	v_not_b32_e32 v13, v9
	v_dual_lshlrev_b32 v15, 2, v9 :: v_dual_add_nc_u32 v17, 1, v9
	s_delay_alu instid0(VALU_DEP_2)
	v_lshl_add_u32 v13, v13, 2, v7
	ds_load_b32 v15, v15
	ds_load_b32 v13, v13
	s_wait_dscnt 0x0
	v_cmp_gt_i16_e32 vcc_lo, v13, v15
	v_cndmask_b32_e32 v11, v17, v11, vcc_lo
	v_cndmask_b32_e32 v5, v5, v9, vcc_lo
	s_delay_alu instid0(VALU_DEP_1) | instskip(SKIP_1) | instid1(SALU_CYCLE_1)
	v_cmp_ge_u32_e32 vcc_lo, v11, v5
	s_or_b32 s1, vcc_lo, s1
	s_and_not1_b32 exec_lo, exec_lo, s1
	s_cbranch_execnz .LBB452_62
; %bb.63:
	s_or_b32 exec_lo, exec_lo, s1
.LBB452_64:
	s_delay_alu instid0(SALU_CYCLE_1) | instskip(SKIP_4) | instid1(VALU_DEP_3)
	s_or_b32 exec_lo, exec_lo, s0
	v_dual_mov_b32 v20, 0 :: v_dual_add_nc_u32 v3, s18, v3
	v_mov_b32_e32 v21, 0
	s_add_co_i32 s12, s2, s18
	v_cmp_ge_u32_e32 vcc_lo, s18, v11
	v_dual_mov_b32 v22, 0 :: v_dual_sub_nc_u32 v13, v3, v11
	v_dual_mov_b32 v23, 0 :: v_dual_mov_b32 v24, 0
	v_mov_b32_e32 v25, 0
	s_delay_alu instid0(VALU_DEP_3) | instskip(SKIP_3) | instid1(SALU_CYCLE_1)
	v_cmp_ge_u32_e64 s0, s12, v13
	v_dual_mov_b32 v26, 0 :: v_dual_mov_b32 v27, 0
	v_dual_mov_b32 v28, 0 :: v_dual_mov_b32 v29, 0
	s_or_b32 s0, vcc_lo, s0
	s_and_saveexec_b32 s9, s0
	s_cbranch_execz .LBB452_70
; %bb.65:
	v_cmp_gt_u32_e32 vcc_lo, s18, v11
	v_dual_mov_b32 v5, 0 :: v_dual_mov_b32 v7, 0
	v_mov_b32_e32 v3, 0
	s_and_saveexec_b32 s0, vcc_lo
	s_cbranch_execz .LBB452_67
; %bb.66:
	v_lshlrev_b32_e32 v3, 2, v11
	ds_load_b32 v7, v3
	s_wait_dscnt 0x0
	v_lshrrev_b32_e32 v3, 16, v7
.LBB452_67:
	s_or_b32 exec_lo, exec_lo, s0
	v_cmp_le_u32_e64 s0, s12, v13
	v_mov_b32_e32 v9, 0
	s_mov_b32 s2, exec_lo
	v_cmpx_gt_u32_e64 s12, v13
	s_cbranch_execz .LBB452_69
; %bb.68:
	v_lshlrev_b32_e32 v5, 2, v13
	ds_load_b32 v5, v5
	s_wait_dscnt 0x0
	v_lshrrev_b32_e32 v9, 16, v5
.LBB452_69:
	s_or_b32 exec_lo, exec_lo, s2
	v_cmp_le_i16_e64 s1, v5, v7
	s_delay_alu instid0(VALU_DEP_2) | instskip(SKIP_1) | instid1(SALU_CYCLE_1)
	v_dual_lshlrev_b32 v38, 16, v3 :: v_dual_lshlrev_b32 v39, 16, v9
	s_and_b32 s1, vcc_lo, s1
	s_or_b32 vcc_lo, s0, s1
	s_delay_alu instid0(SALU_CYCLE_1) | instskip(NEXT) | instid1(VALU_DEP_1)
	v_dual_mov_b32 v15, s18 :: v_dual_cndmask_b32 v17, v13, v11, vcc_lo
	v_dual_cndmask_b32 v19, s12, v15, vcc_lo :: v_dual_add_nc_u32 v17, 1, v17
	s_delay_alu instid0(VALU_DEP_1) | instskip(SKIP_1) | instid1(VALU_DEP_2)
	v_add_min_u32_e64 v19, v19, -1, v17
	v_cndmask_b32_e32 v11, v11, v17, vcc_lo
	v_dual_cndmask_b32 v13, v17, v13, vcc_lo :: v_dual_lshlrev_b32 v19, 2, v19
	s_delay_alu instid0(VALU_DEP_2) | instskip(NEXT) | instid1(VALU_DEP_2)
	v_cmp_gt_u32_e64 s0, s18, v11
	v_cmp_le_u32_e64 s2, s12, v13
	ds_load_b32 v19, v19
	s_wait_dscnt 0x0
	v_cndmask_b32_e32 v20, v19, v5, vcc_lo
	v_cndmask_b32_e32 v21, v7, v19, vcc_lo
	v_and_b32_e32 v5, 0xffff, v5
	v_and_b32_e32 v7, 0xffff, v7
	s_delay_alu instid0(VALU_DEP_3) | instskip(NEXT) | instid1(VALU_DEP_3)
	v_cmp_le_i16_e64 s1, v20, v21
	v_or_b32_e32 v5, v39, v5
	s_and_b32 s0, s0, s1
	s_delay_alu instid0(SALU_CYCLE_1) | instskip(NEXT) | instid1(SALU_CYCLE_1)
	s_or_b32 s0, s2, s0
	v_cndmask_b32_e64 v17, v13, v11, s0
	s_delay_alu instid0(VALU_DEP_1) | instskip(NEXT) | instid1(VALU_DEP_1)
	v_dual_cndmask_b32 v22, s12, v15, s0 :: v_dual_add_nc_u32 v17, 1, v17
	v_add_min_u32_e64 v22, v22, -1, v17
	v_cndmask_b32_e64 v11, v11, v17, s0
	s_delay_alu instid0(VALU_DEP_2) | instskip(NEXT) | instid1(VALU_DEP_2)
	v_dual_cndmask_b32 v13, v17, v13, s0 :: v_dual_lshlrev_b32 v22, 2, v22
	v_cmp_gt_u32_e64 s1, s18, v11
	s_delay_alu instid0(VALU_DEP_2) | instskip(SKIP_4) | instid1(VALU_DEP_2)
	v_cmp_le_u32_e64 s3, s12, v13
	ds_load_b32 v22, v22
	s_wait_dscnt 0x0
	v_dual_cndmask_b32 v23, v22, v20, s0 :: v_dual_cndmask_b32 v24, v21, v22, s0
	v_lshrrev_b32_e32 v22, 16, v22
	v_cmp_le_i16_e64 s2, v23, v24
	s_and_b32 s1, s1, s2
	s_delay_alu instid0(SALU_CYCLE_1) | instskip(NEXT) | instid1(SALU_CYCLE_1)
	s_or_b32 s1, s3, s1
	v_cndmask_b32_e64 v17, v13, v11, s1
	s_delay_alu instid0(VALU_DEP_1) | instskip(NEXT) | instid1(VALU_DEP_1)
	v_dual_cndmask_b32 v25, s12, v15, s1 :: v_dual_add_nc_u32 v17, 1, v17
	v_add_min_u32_e64 v25, v25, -1, v17
	s_delay_alu instid0(VALU_DEP_1)
	v_lshlrev_b32_e32 v25, 2, v25
	ds_load_b32 v25, v25
	s_wait_dscnt 0x0
	v_dual_cndmask_b32 v11, v11, v17, s1 :: v_dual_cndmask_b32 v26, v25, v23, s1
	v_cndmask_b32_e64 v13, v17, v13, s1
	v_cndmask_b32_e64 v27, v24, v25, s1
	s_delay_alu instid0(VALU_DEP_3) | instskip(NEXT) | instid1(VALU_DEP_3)
	v_cmp_gt_u32_e64 s2, s18, v11
	v_cmp_le_u32_e64 s4, s12, v13
	s_delay_alu instid0(VALU_DEP_3) | instskip(SKIP_1) | instid1(SALU_CYCLE_1)
	v_cmp_le_i16_e64 s3, v26, v27
	s_and_b32 s2, s2, s3
	s_or_b32 s2, s4, s2
	s_delay_alu instid0(SALU_CYCLE_1) | instskip(NEXT) | instid1(VALU_DEP_1)
	v_cndmask_b32_e64 v17, v13, v11, s2
	v_dual_cndmask_b32 v28, s12, v15, s2 :: v_dual_add_nc_u32 v17, 1, v17
	s_delay_alu instid0(VALU_DEP_1) | instskip(NEXT) | instid1(VALU_DEP_1)
	v_add_min_u32_e64 v28, v28, -1, v17
	v_dual_cndmask_b32 v11, v11, v17, s2 :: v_dual_lshlrev_b32 v28, 2, v28
	s_delay_alu instid0(VALU_DEP_1) | instskip(SKIP_4) | instid1(VALU_DEP_2)
	v_cmp_gt_u32_e64 s3, s18, v11
	ds_load_b32 v28, v28
	s_wait_dscnt 0x0
	v_dual_cndmask_b32 v29, v28, v26, s2 :: v_dual_cndmask_b32 v30, v27, v28, s2
	v_cndmask_b32_e64 v13, v17, v13, s2
	v_cmp_le_i16_e64 s4, v29, v30
	s_delay_alu instid0(VALU_DEP_2) | instskip(SKIP_1) | instid1(SALU_CYCLE_1)
	v_cmp_le_u32_e64 s5, s12, v13
	s_and_b32 s3, s3, s4
	s_or_b32 s3, s5, s3
	s_delay_alu instid0(SALU_CYCLE_1) | instskip(NEXT) | instid1(VALU_DEP_1)
	v_cndmask_b32_e64 v17, v13, v11, s3
	v_dual_cndmask_b32 v31, s12, v15, s3 :: v_dual_add_nc_u32 v17, 1, v17
	s_delay_alu instid0(VALU_DEP_1) | instskip(SKIP_1) | instid1(VALU_DEP_2)
	v_add_min_u32_e64 v31, v31, -1, v17
	v_cndmask_b32_e64 v11, v11, v17, s3
	v_dual_cndmask_b32 v13, v17, v13, s3 :: v_dual_lshlrev_b32 v31, 2, v31
	s_delay_alu instid0(VALU_DEP_2) | instskip(NEXT) | instid1(VALU_DEP_2)
	v_cmp_gt_u32_e64 s4, s18, v11
	v_cmp_le_u32_e64 s6, s12, v13
	ds_load_b32 v31, v31
	s_wait_dscnt 0x0
	v_dual_cndmask_b32 v32, v31, v29, s3 :: v_dual_cndmask_b32 v33, v30, v31, s3
	s_delay_alu instid0(VALU_DEP_1) | instskip(SKIP_1) | instid1(SALU_CYCLE_1)
	v_cmp_le_i16_e64 s5, v32, v33
	s_and_b32 s4, s4, s5
	s_or_b32 s4, s6, s4
	s_delay_alu instid0(SALU_CYCLE_1) | instskip(NEXT) | instid1(VALU_DEP_1)
	v_cndmask_b32_e64 v17, v13, v11, s4
	v_dual_cndmask_b32 v34, s12, v15, s4 :: v_dual_add_nc_u32 v17, 1, v17
	s_delay_alu instid0(VALU_DEP_1) | instskip(NEXT) | instid1(VALU_DEP_1)
	v_add_min_u32_e64 v34, v34, -1, v17
	v_dual_cndmask_b32 v13, v17, v13, s4 :: v_dual_lshlrev_b32 v34, 2, v34
	s_delay_alu instid0(VALU_DEP_1) | instskip(SKIP_4) | instid1(VALU_DEP_2)
	v_cmp_le_u32_e64 s7, s12, v13
	ds_load_b32 v34, v34
	s_wait_dscnt 0x0
	v_dual_cndmask_b32 v11, v11, v17, s4 :: v_dual_cndmask_b32 v35, v34, v32, s4
	v_cndmask_b32_e64 v36, v33, v34, s4
	v_cmp_gt_u32_e64 s5, s18, v11
	s_delay_alu instid0(VALU_DEP_2) | instskip(SKIP_1) | instid1(SALU_CYCLE_1)
	v_cmp_le_i16_e64 s6, v35, v36
	s_and_b32 s5, s5, s6
	s_or_b32 s5, s7, s5
	s_delay_alu instid0(SALU_CYCLE_1) | instskip(NEXT) | instid1(VALU_DEP_1)
	v_cndmask_b32_e64 v17, v13, v11, s5
	v_dual_cndmask_b32 v37, s12, v15, s5 :: v_dual_add_nc_u32 v17, 1, v17
	v_or_b32_e32 v7, v38, v7
	s_delay_alu instid0(VALU_DEP_2) | instskip(NEXT) | instid1(VALU_DEP_3)
	v_dual_lshrrev_b32 v19, 16, v19 :: v_dual_cndmask_b32 v13, v17, v13, s5
	v_add_min_u32_e64 v37, v37, -1, v17
	v_cndmask_b32_e64 v11, v11, v17, s5
	v_and_b32_e32 v17, 0xffff, v21
	s_delay_alu instid0(VALU_DEP_4) | instskip(NEXT) | instid1(VALU_DEP_4)
	v_cmp_le_u32_e64 s8, s12, v13
	v_lshlrev_b32_e32 v37, 2, v37
	s_delay_alu instid0(VALU_DEP_4) | instskip(SKIP_3) | instid1(VALU_DEP_1)
	v_cmp_gt_u32_e64 s6, s18, v11
	ds_load_b32 v37, v37
	s_wait_dscnt 0x0
	v_dual_cndmask_b32 v38, v37, v35, s5 :: v_dual_cndmask_b32 v40, v36, v37, s5
	v_cmp_le_i16_e64 s7, v38, v40
	s_and_b32 s6, s6, s7
	s_delay_alu instid0(SALU_CYCLE_1) | instskip(SKIP_4) | instid1(VALU_DEP_4)
	s_or_b32 s6, s8, s6
	v_cndmask_b32_e32 v9, v19, v9, vcc_lo
	v_cndmask_b32_e32 v3, v3, v19, vcc_lo
	v_and_b32_e32 v19, 0xffff, v20
	v_cndmask_b32_e64 v20, v13, v11, s6
	v_dual_cndmask_b32 v41, s12, v15, s6 :: v_dual_lshlrev_b32 v39, 16, v9
	s_delay_alu instid0(VALU_DEP_4) | instskip(NEXT) | instid1(VALU_DEP_3)
	v_dual_lshlrev_b32 v21, 16, v3 :: v_dual_cndmask_b32 v3, v3, v22, s0
	v_dual_add_nc_u32 v42, 1, v20 :: v_dual_cndmask_b32 v20, v5, v7, vcc_lo
	v_cndmask_b32_e64 v9, v22, v9, s0
	s_delay_alu instid0(VALU_DEP_3) | instskip(SKIP_1) | instid1(VALU_DEP_4)
	v_or_b32_e32 v5, v21, v17
	v_dual_lshrrev_b32 v21, 16, v25 :: v_dual_bitop2_b32 v7, v39, v19 bitop3:0x54
	v_add_min_u32_e64 v17, v41, -1, v42
	v_and_b32_e32 v22, 0xffff, v23
	v_lshlrev_b32_e32 v23, 16, v3
	v_and_b32_e32 v19, 0xffff, v24
	v_dual_lshlrev_b32 v24, 16, v9 :: v_dual_cndmask_b32 v9, v21, v9, s1
	v_lshlrev_b32_e32 v17, 2, v17
	v_cndmask_b32_e64 v3, v3, v21, s1
	v_and_b32_e32 v21, 0xffff, v27
	v_and_b32_e32 v25, 0xffff, v26
	v_dual_lshrrev_b32 v23, 16, v28 :: v_dual_bitop2_b32 v19, v23, v19 bitop3:0x54
	ds_load_b32 v17, v17
	v_dual_lshlrev_b32 v26, 16, v3 :: v_dual_bitop2_b32 v22, v24, v22 bitop3:0x54
	v_dual_lshlrev_b32 v27, 16, v9 :: v_dual_cndmask_b32 v3, v3, v23, s2
	s_delay_alu instid0(VALU_DEP_2) | instskip(NEXT) | instid1(VALU_DEP_3)
	v_dual_cndmask_b32 v11, v11, v42, s6 :: v_dual_cndmask_b32 v22, v22, v19, s1
	v_or_b32_e32 v24, v26, v21
	s_delay_alu instid0(VALU_DEP_3) | instskip(SKIP_3) | instid1(VALU_DEP_4)
	v_or_b32_e32 v25, v27, v25
	v_cndmask_b32_e64 v21, v7, v5, s0
	v_dual_cndmask_b32 v5, v23, v9, s2 :: v_dual_lshlrev_b32 v19, 16, v3
	v_and_b32_e32 v7, 0xffff, v30
	v_dual_cndmask_b32 v23, v25, v24, s2 :: v_dual_cndmask_b32 v13, v42, v13, s6
	s_delay_alu instid0(VALU_DEP_3) | instskip(SKIP_1) | instid1(VALU_DEP_4)
	v_lshlrev_b32_e32 v24, 16, v5
	v_cmp_gt_u32_e32 vcc_lo, s18, v11
	v_or_b32_e32 v7, v19, v7
	v_and_b32_e32 v9, 0xffff, v29
	v_cmp_le_u32_e64 s1, s12, v13
	s_wait_dscnt 0x0
	v_dual_cndmask_b32 v27, v17, v38, s6 :: v_dual_cndmask_b32 v28, v40, v17, s6
	s_delay_alu instid0(VALU_DEP_3) | instskip(SKIP_2) | instid1(VALU_DEP_4)
	v_dual_lshrrev_b32 v19, 16, v31 :: v_dual_bitop2_b32 v9, v24, v9 bitop3:0x54
	v_lshrrev_b32_e32 v26, 16, v34
	v_and_b32_e32 v25, 0xffff, v32
	v_cmp_le_i16_e64 s0, v27, v28
	s_delay_alu instid0(VALU_DEP_4) | instskip(SKIP_2) | instid1(SALU_CYCLE_1)
	v_cndmask_b32_e64 v3, v3, v19, s3
	v_and_b32_e32 v31, 0xffff, v35
	s_and_b32 s0, vcc_lo, s0
	s_or_b32 vcc_lo, s1, s0
	s_delay_alu instid0(SALU_CYCLE_1) | instskip(SKIP_3) | instid1(VALU_DEP_4)
	v_dual_cndmask_b32 v5, v19, v5, s3 :: v_dual_cndmask_b32 v24, v13, v11, vcc_lo
	v_lshlrev_b32_e32 v29, 16, v3
	v_cndmask_b32_e32 v15, s12, v15, vcc_lo
	v_and_b32_e32 v19, 0xffff, v33
	v_dual_add_nc_u32 v30, 1, v24 :: v_dual_lshlrev_b32 v24, 16, v5
	s_delay_alu instid0(VALU_DEP_2) | instskip(SKIP_1) | instid1(VALU_DEP_3)
	v_dual_cndmask_b32 v3, v3, v26, s4 :: v_dual_bitop2_b32 v19, v29, v19 bitop3:0x54
	v_cndmask_b32_e64 v5, v26, v5, s4
	v_add_min_u32_e64 v15, v15, -1, v30
	v_and_b32_e32 v26, 0xffff, v36
	s_delay_alu instid0(VALU_DEP_4) | instskip(NEXT) | instid1(VALU_DEP_4)
	v_dual_lshlrev_b32 v29, 16, v3 :: v_dual_bitop2_b32 v25, v24, v25 bitop3:0x54
	v_dual_cndmask_b32 v24, v9, v7, s3 :: v_dual_lshlrev_b32 v32, 16, v5
	s_delay_alu instid0(VALU_DEP_2) | instskip(NEXT) | instid1(VALU_DEP_3)
	v_dual_lshlrev_b32 v15, 2, v15 :: v_dual_bitop2_b32 v26, v29, v26 bitop3:0x54
	v_dual_lshrrev_b32 v29, 16, v37 :: v_dual_cndmask_b32 v25, v25, v19, s4
	v_lshrrev_b32_e32 v7, 16, v17
	ds_load_b32 v15, v15
	v_dual_cndmask_b32 v3, v3, v29, s5 :: v_dual_bitop2_b32 v31, v32, v31 bitop3:0x54
	v_cndmask_b32_e64 v5, v29, v5, s5
	v_and_b32_e32 v9, 0xffff, v40
	v_and_b32_e32 v17, 0xffff, v38
	s_delay_alu instid0(VALU_DEP_4) | instskip(SKIP_4) | instid1(VALU_DEP_3)
	v_cndmask_b32_e64 v26, v31, v26, s5
	v_cndmask_b32_e64 v19, v3, v7, s6
	v_dual_lshlrev_b32 v3, 16, v3 :: v_dual_cndmask_b32 v7, v7, v5, s6
	v_lshlrev_b32_e32 v5, 16, v5
	v_and_b32_e32 v29, 0xffff, v28
	v_dual_lshlrev_b32 v31, 16, v19 :: v_dual_bitop2_b32 v3, v3, v9 bitop3:0x54
	v_and_b32_e32 v32, 0xffff, v27
	s_delay_alu instid0(VALU_DEP_4) | instskip(NEXT) | instid1(VALU_DEP_3)
	v_dual_lshlrev_b32 v33, 16, v7 :: v_dual_bitop2_b32 v5, v5, v17 bitop3:0x54
	v_or_b32_e32 v9, v31, v29
	v_dual_cndmask_b32 v13, v30, v13, vcc_lo :: v_dual_cndmask_b32 v11, v11, v30, vcc_lo
	s_wait_dscnt 0x0
	s_delay_alu instid0(VALU_DEP_3) | instskip(SKIP_3) | instid1(VALU_DEP_4)
	v_dual_lshrrev_b32 v17, 16, v15 :: v_dual_bitop2_b32 v29, v33, v32 bitop3:0x54
	v_cndmask_b32_e32 v28, v28, v15, vcc_lo
	v_cndmask_b32_e32 v15, v15, v27, vcc_lo
	v_cmp_gt_u32_e64 s0, s18, v11
	v_dual_cndmask_b32 v19, v19, v17, vcc_lo :: v_dual_cndmask_b32 v7, v17, v7, vcc_lo
	s_delay_alu instid0(VALU_DEP_4) | instskip(NEXT) | instid1(VALU_DEP_4)
	v_and_b32_e32 v17, 0xffff, v28
	v_cmp_le_i16_e64 s1, v15, v28
	v_cndmask_b32_e32 v28, v29, v9, vcc_lo
	v_and_b32_e32 v27, 0xffff, v15
	v_lshlrev_b32_e32 v19, 16, v19
	v_lshlrev_b32_e32 v7, 16, v7
	v_cmp_le_u32_e64 s2, s12, v13
	s_and_b32 s0, s0, s1
	v_or_b32_e32 v11, v19, v17
	v_or_b32_e32 v7, v7, v27
	s_or_b32 vcc_lo, s2, s0
	v_cndmask_b32_e64 v27, v5, v3, s6
	s_delay_alu instid0(VALU_DEP_2)
	v_cndmask_b32_e32 v29, v7, v11, vcc_lo
.LBB452_70:
	s_or_b32 exec_lo, exec_lo, s9
	v_mul_i32_i24_e32 v3, 0xffffffdc, v0
	s_mov_b32 s17, 0
	s_sub_co_i32 s4, s22, s16
	s_lshl_b64 s[2:3], s[16:17], 1
	s_cmp_gt_u32 s4, 0x9ff
	v_add_nc_u32_e32 v3, v1, v3
	s_add_nc_u64 s[0:1], s[14:15], s[2:3]
	s_wait_kmcnt 0x0
	s_add_nc_u64 s[2:3], s[10:11], s[2:3]
	s_barrier_signal -1
	s_barrier_wait -1
	ds_store_2addr_b64 v1, v[20:21], v[22:23] offset1:1
	ds_store_2addr_b64 v1, v[24:25], v[26:27] offset0:2 offset1:3
	ds_store_b64 v1, v[28:29] offset:32
	s_wait_dscnt 0x0
	s_cbranch_scc0 .LBB452_72
; %bb.71:
	s_barrier_signal -1
	s_barrier_wait -1
	ds_load_2addr_stride64_b32 v[22:23], v3 offset1:4
	ds_load_2addr_stride64_b32 v[24:25], v3 offset0:8 offset1:12
	ds_load_2addr_stride64_b32 v[26:27], v3 offset0:16 offset1:20
	;; [unrolled: 1-line block ×4, first 2 shown]
	s_mov_b32 s17, -1
	s_wait_dscnt 0x4
	s_clause 0x3
	global_store_b16 v0, v22, s[0:1] scale_offset
	global_store_d16_hi_b16 v0, v22, s[2:3] scale_offset
	global_store_b16 v0, v23, s[0:1] offset:512 scale_offset
	global_store_d16_hi_b16 v0, v23, s[2:3] offset:512 scale_offset
	s_wait_dscnt 0x3
	s_clause 0x3
	global_store_b16 v0, v24, s[0:1] offset:1024 scale_offset
	global_store_d16_hi_b16 v0, v24, s[2:3] offset:1024 scale_offset
	global_store_b16 v0, v25, s[0:1] offset:1536 scale_offset
	global_store_d16_hi_b16 v0, v25, s[2:3] offset:1536 scale_offset
	s_wait_dscnt 0x2
	s_clause 0x3
	global_store_b16 v0, v26, s[0:1] offset:2048 scale_offset
	global_store_d16_hi_b16 v0, v26, s[2:3] offset:2048 scale_offset
	;; [unrolled: 6-line block ×4, first 2 shown]
	s_cbranch_execz .LBB452_73
	s_branch .LBB452_84
.LBB452_72:
                                        ; implicit-def: $vgpr21
.LBB452_73:
	s_barrier_signal -1
	s_barrier_wait -1
	s_wait_storecnt 0x0
	ds_load_2addr_stride64_b32 v[32:33], v3 offset0:4 offset1:8
	ds_load_2addr_stride64_b32 v[30:31], v3 offset0:12 offset1:16
	s_wait_xcnt 0x2
	ds_load_2addr_stride64_b32 v[28:29], v3 offset0:20 offset1:24
	ds_load_2addr_stride64_b32 v[22:23], v3 offset0:28 offset1:32
	ds_load_b32 v21, v3 offset:9216
	v_dual_mov_b32 v27, 0 :: v_dual_lshlrev_b32 v26, 1, v0
	s_mov_b32 s5, exec_lo
	s_delay_alu instid0(VALU_DEP_1)
	v_add_nc_u64_e32 v[24:25], s[0:1], v[26:27]
	v_add_nc_u64_e32 v[26:27], s[2:3], v[26:27]
	s_wait_xcnt 0x0
	v_cmpx_gt_u32_e64 s4, v0
	s_cbranch_execnz .LBB452_87
; %bb.74:
	s_or_b32 exec_lo, exec_lo, s5
	s_delay_alu instid0(SALU_CYCLE_1)
	s_mov_b32 s5, exec_lo
	v_cmpx_gt_u32_e64 s4, v2
	s_cbranch_execnz .LBB452_88
.LBB452_75:
	s_or_b32 exec_lo, exec_lo, s5
	s_delay_alu instid0(SALU_CYCLE_1)
	s_mov_b32 s5, exec_lo
	v_cmpx_gt_u32_e64 s4, v4
	s_cbranch_execnz .LBB452_89
.LBB452_76:
	s_or_b32 exec_lo, exec_lo, s5
	s_delay_alu instid0(SALU_CYCLE_1)
	s_mov_b32 s5, exec_lo
	v_cmpx_gt_u32_e64 s4, v6
	s_cbranch_execnz .LBB452_90
.LBB452_77:
	s_or_b32 exec_lo, exec_lo, s5
	s_delay_alu instid0(SALU_CYCLE_1)
	s_mov_b32 s5, exec_lo
	v_cmpx_gt_u32_e64 s4, v8
	s_cbranch_execnz .LBB452_91
.LBB452_78:
	s_or_b32 exec_lo, exec_lo, s5
	s_delay_alu instid0(SALU_CYCLE_1)
	s_mov_b32 s5, exec_lo
	v_cmpx_gt_u32_e64 s4, v10
	s_cbranch_execnz .LBB452_92
.LBB452_79:
	s_or_b32 exec_lo, exec_lo, s5
	s_delay_alu instid0(SALU_CYCLE_1)
	s_mov_b32 s5, exec_lo
	v_cmpx_gt_u32_e64 s4, v12
	s_cbranch_execnz .LBB452_93
.LBB452_80:
	s_or_b32 exec_lo, exec_lo, s5
	s_delay_alu instid0(SALU_CYCLE_1)
	s_mov_b32 s5, exec_lo
	v_cmpx_gt_u32_e64 s4, v14
	s_cbranch_execnz .LBB452_94
.LBB452_81:
	s_or_b32 exec_lo, exec_lo, s5
	s_delay_alu instid0(SALU_CYCLE_1)
	s_mov_b32 s5, exec_lo
	v_cmpx_gt_u32_e64 s4, v16
	s_cbranch_execz .LBB452_83
.LBB452_82:
	s_wait_dscnt 0x1
	global_store_b16 v[24:25], v23, off offset:4096
	global_store_d16_hi_b16 v[26:27], v23, off offset:4096
.LBB452_83:
	s_wait_xcnt 0x0
	s_or_b32 exec_lo, exec_lo, s5
	v_cmp_gt_u32_e64 s17, s4, v18
.LBB452_84:
	s_wait_xcnt 0x0
	s_delay_alu instid0(VALU_DEP_1)
	s_and_saveexec_b32 s4, s17
	s_cbranch_execnz .LBB452_86
; %bb.85:
	s_endpgm
.LBB452_86:
	s_wait_dscnt 0x0
	s_clause 0x1
	global_store_b16 v0, v21, s[0:1] offset:4608 scale_offset
	global_store_d16_hi_b16 v0, v21, s[2:3] offset:4608 scale_offset
	s_endpgm
.LBB452_87:
	ds_load_b32 v1, v3
	s_wait_dscnt 0x0
	global_store_b16 v[24:25], v1, off
	global_store_d16_hi_b16 v[26:27], v1, off
	s_wait_xcnt 0x0
	s_or_b32 exec_lo, exec_lo, s5
	s_delay_alu instid0(SALU_CYCLE_1)
	s_mov_b32 s5, exec_lo
	v_cmpx_gt_u32_e64 s4, v2
	s_cbranch_execz .LBB452_75
.LBB452_88:
	s_wait_dscnt 0x4
	global_store_b16 v[24:25], v32, off offset:512
	global_store_d16_hi_b16 v[26:27], v32, off offset:512
	s_wait_xcnt 0x0
	s_or_b32 exec_lo, exec_lo, s5
	s_delay_alu instid0(SALU_CYCLE_1)
	s_mov_b32 s5, exec_lo
	v_cmpx_gt_u32_e64 s4, v4
	s_cbranch_execz .LBB452_76
.LBB452_89:
	s_wait_dscnt 0x4
	global_store_b16 v[24:25], v33, off offset:1024
	global_store_d16_hi_b16 v[26:27], v33, off offset:1024
	s_wait_xcnt 0x0
	s_or_b32 exec_lo, exec_lo, s5
	s_delay_alu instid0(SALU_CYCLE_1)
	s_mov_b32 s5, exec_lo
	v_cmpx_gt_u32_e64 s4, v6
	s_cbranch_execz .LBB452_77
.LBB452_90:
	s_wait_dscnt 0x3
	global_store_b16 v[24:25], v30, off offset:1536
	global_store_d16_hi_b16 v[26:27], v30, off offset:1536
	s_wait_xcnt 0x0
	s_or_b32 exec_lo, exec_lo, s5
	s_delay_alu instid0(SALU_CYCLE_1)
	s_mov_b32 s5, exec_lo
	v_cmpx_gt_u32_e64 s4, v8
	s_cbranch_execz .LBB452_78
.LBB452_91:
	s_wait_dscnt 0x3
	global_store_b16 v[24:25], v31, off offset:2048
	global_store_d16_hi_b16 v[26:27], v31, off offset:2048
	s_wait_xcnt 0x0
	s_or_b32 exec_lo, exec_lo, s5
	s_delay_alu instid0(SALU_CYCLE_1)
	s_mov_b32 s5, exec_lo
	v_cmpx_gt_u32_e64 s4, v10
	s_cbranch_execz .LBB452_79
.LBB452_92:
	s_wait_dscnt 0x2
	global_store_b16 v[24:25], v28, off offset:2560
	global_store_d16_hi_b16 v[26:27], v28, off offset:2560
	s_wait_xcnt 0x0
	s_or_b32 exec_lo, exec_lo, s5
	s_delay_alu instid0(SALU_CYCLE_1)
	s_mov_b32 s5, exec_lo
	v_cmpx_gt_u32_e64 s4, v12
	s_cbranch_execz .LBB452_80
.LBB452_93:
	s_wait_dscnt 0x2
	global_store_b16 v[24:25], v29, off offset:3072
	global_store_d16_hi_b16 v[26:27], v29, off offset:3072
	s_wait_xcnt 0x0
	s_or_b32 exec_lo, exec_lo, s5
	s_delay_alu instid0(SALU_CYCLE_1)
	s_mov_b32 s5, exec_lo
	v_cmpx_gt_u32_e64 s4, v14
	s_cbranch_execz .LBB452_81
.LBB452_94:
	s_wait_dscnt 0x1
	global_store_b16 v[24:25], v22, off offset:3584
	global_store_d16_hi_b16 v[26:27], v22, off offset:3584
	s_wait_xcnt 0x0
	s_or_b32 exec_lo, exec_lo, s5
	s_delay_alu instid0(SALU_CYCLE_1)
	s_mov_b32 s5, exec_lo
	v_cmpx_gt_u32_e64 s4, v16
	s_cbranch_execnz .LBB452_82
	s_branch .LBB452_83
	.section	.rodata,"a",@progbits
	.p2align	6, 0x0
	.amdhsa_kernel _ZN7rocprim17ROCPRIM_400000_NS6detail17trampoline_kernelINS0_14default_configENS1_21merge_config_selectorINS0_5tupleIJssEEENS0_10empty_typeEEEZNS1_10merge_implIS3_NS0_12zip_iteratorINS5_IJN6thrust23THRUST_200600_302600_NS6detail15normal_iteratorINSC_10device_ptrIKsEEEESI_EEEEESK_NSA_INS5_IJNSE_INSF_IsEEEESM_EEEEEPS7_SP_SP_NSC_11hip_rocprim7__merge17predicate_wrapperIssNSC_7greaterIsEEEEEE10hipError_tPvRmT0_T1_T2_T3_T4_T5_mmT6_P12ihipStream_tbEUlT_E0_NS1_11comp_targetILNS1_3genE0ELNS1_11target_archE4294967295ELNS1_3gpuE0ELNS1_3repE0EEENS1_30default_config_static_selectorELNS0_4arch9wavefront6targetE0EEEvS10_
		.amdhsa_group_segment_fixed_size 10256
		.amdhsa_private_segment_fixed_size 0
		.amdhsa_kernarg_size 112
		.amdhsa_user_sgpr_count 2
		.amdhsa_user_sgpr_dispatch_ptr 0
		.amdhsa_user_sgpr_queue_ptr 0
		.amdhsa_user_sgpr_kernarg_segment_ptr 1
		.amdhsa_user_sgpr_dispatch_id 0
		.amdhsa_user_sgpr_kernarg_preload_length 0
		.amdhsa_user_sgpr_kernarg_preload_offset 0
		.amdhsa_user_sgpr_private_segment_size 0
		.amdhsa_wavefront_size32 1
		.amdhsa_uses_dynamic_stack 0
		.amdhsa_enable_private_segment 0
		.amdhsa_system_sgpr_workgroup_id_x 1
		.amdhsa_system_sgpr_workgroup_id_y 0
		.amdhsa_system_sgpr_workgroup_id_z 0
		.amdhsa_system_sgpr_workgroup_info 0
		.amdhsa_system_vgpr_workitem_id 0
		.amdhsa_next_free_vgpr 43
		.amdhsa_next_free_sgpr 26
		.amdhsa_named_barrier_count 0
		.amdhsa_reserve_vcc 1
		.amdhsa_float_round_mode_32 0
		.amdhsa_float_round_mode_16_64 0
		.amdhsa_float_denorm_mode_32 3
		.amdhsa_float_denorm_mode_16_64 3
		.amdhsa_fp16_overflow 0
		.amdhsa_memory_ordered 1
		.amdhsa_forward_progress 1
		.amdhsa_inst_pref_size 43
		.amdhsa_round_robin_scheduling 0
		.amdhsa_exception_fp_ieee_invalid_op 0
		.amdhsa_exception_fp_denorm_src 0
		.amdhsa_exception_fp_ieee_div_zero 0
		.amdhsa_exception_fp_ieee_overflow 0
		.amdhsa_exception_fp_ieee_underflow 0
		.amdhsa_exception_fp_ieee_inexact 0
		.amdhsa_exception_int_div_zero 0
	.end_amdhsa_kernel
	.section	.text._ZN7rocprim17ROCPRIM_400000_NS6detail17trampoline_kernelINS0_14default_configENS1_21merge_config_selectorINS0_5tupleIJssEEENS0_10empty_typeEEEZNS1_10merge_implIS3_NS0_12zip_iteratorINS5_IJN6thrust23THRUST_200600_302600_NS6detail15normal_iteratorINSC_10device_ptrIKsEEEESI_EEEEESK_NSA_INS5_IJNSE_INSF_IsEEEESM_EEEEEPS7_SP_SP_NSC_11hip_rocprim7__merge17predicate_wrapperIssNSC_7greaterIsEEEEEE10hipError_tPvRmT0_T1_T2_T3_T4_T5_mmT6_P12ihipStream_tbEUlT_E0_NS1_11comp_targetILNS1_3genE0ELNS1_11target_archE4294967295ELNS1_3gpuE0ELNS1_3repE0EEENS1_30default_config_static_selectorELNS0_4arch9wavefront6targetE0EEEvS10_,"axG",@progbits,_ZN7rocprim17ROCPRIM_400000_NS6detail17trampoline_kernelINS0_14default_configENS1_21merge_config_selectorINS0_5tupleIJssEEENS0_10empty_typeEEEZNS1_10merge_implIS3_NS0_12zip_iteratorINS5_IJN6thrust23THRUST_200600_302600_NS6detail15normal_iteratorINSC_10device_ptrIKsEEEESI_EEEEESK_NSA_INS5_IJNSE_INSF_IsEEEESM_EEEEEPS7_SP_SP_NSC_11hip_rocprim7__merge17predicate_wrapperIssNSC_7greaterIsEEEEEE10hipError_tPvRmT0_T1_T2_T3_T4_T5_mmT6_P12ihipStream_tbEUlT_E0_NS1_11comp_targetILNS1_3genE0ELNS1_11target_archE4294967295ELNS1_3gpuE0ELNS1_3repE0EEENS1_30default_config_static_selectorELNS0_4arch9wavefront6targetE0EEEvS10_,comdat
.Lfunc_end452:
	.size	_ZN7rocprim17ROCPRIM_400000_NS6detail17trampoline_kernelINS0_14default_configENS1_21merge_config_selectorINS0_5tupleIJssEEENS0_10empty_typeEEEZNS1_10merge_implIS3_NS0_12zip_iteratorINS5_IJN6thrust23THRUST_200600_302600_NS6detail15normal_iteratorINSC_10device_ptrIKsEEEESI_EEEEESK_NSA_INS5_IJNSE_INSF_IsEEEESM_EEEEEPS7_SP_SP_NSC_11hip_rocprim7__merge17predicate_wrapperIssNSC_7greaterIsEEEEEE10hipError_tPvRmT0_T1_T2_T3_T4_T5_mmT6_P12ihipStream_tbEUlT_E0_NS1_11comp_targetILNS1_3genE0ELNS1_11target_archE4294967295ELNS1_3gpuE0ELNS1_3repE0EEENS1_30default_config_static_selectorELNS0_4arch9wavefront6targetE0EEEvS10_, .Lfunc_end452-_ZN7rocprim17ROCPRIM_400000_NS6detail17trampoline_kernelINS0_14default_configENS1_21merge_config_selectorINS0_5tupleIJssEEENS0_10empty_typeEEEZNS1_10merge_implIS3_NS0_12zip_iteratorINS5_IJN6thrust23THRUST_200600_302600_NS6detail15normal_iteratorINSC_10device_ptrIKsEEEESI_EEEEESK_NSA_INS5_IJNSE_INSF_IsEEEESM_EEEEEPS7_SP_SP_NSC_11hip_rocprim7__merge17predicate_wrapperIssNSC_7greaterIsEEEEEE10hipError_tPvRmT0_T1_T2_T3_T4_T5_mmT6_P12ihipStream_tbEUlT_E0_NS1_11comp_targetILNS1_3genE0ELNS1_11target_archE4294967295ELNS1_3gpuE0ELNS1_3repE0EEENS1_30default_config_static_selectorELNS0_4arch9wavefront6targetE0EEEvS10_
                                        ; -- End function
	.set _ZN7rocprim17ROCPRIM_400000_NS6detail17trampoline_kernelINS0_14default_configENS1_21merge_config_selectorINS0_5tupleIJssEEENS0_10empty_typeEEEZNS1_10merge_implIS3_NS0_12zip_iteratorINS5_IJN6thrust23THRUST_200600_302600_NS6detail15normal_iteratorINSC_10device_ptrIKsEEEESI_EEEEESK_NSA_INS5_IJNSE_INSF_IsEEEESM_EEEEEPS7_SP_SP_NSC_11hip_rocprim7__merge17predicate_wrapperIssNSC_7greaterIsEEEEEE10hipError_tPvRmT0_T1_T2_T3_T4_T5_mmT6_P12ihipStream_tbEUlT_E0_NS1_11comp_targetILNS1_3genE0ELNS1_11target_archE4294967295ELNS1_3gpuE0ELNS1_3repE0EEENS1_30default_config_static_selectorELNS0_4arch9wavefront6targetE0EEEvS10_.num_vgpr, 43
	.set _ZN7rocprim17ROCPRIM_400000_NS6detail17trampoline_kernelINS0_14default_configENS1_21merge_config_selectorINS0_5tupleIJssEEENS0_10empty_typeEEEZNS1_10merge_implIS3_NS0_12zip_iteratorINS5_IJN6thrust23THRUST_200600_302600_NS6detail15normal_iteratorINSC_10device_ptrIKsEEEESI_EEEEESK_NSA_INS5_IJNSE_INSF_IsEEEESM_EEEEEPS7_SP_SP_NSC_11hip_rocprim7__merge17predicate_wrapperIssNSC_7greaterIsEEEEEE10hipError_tPvRmT0_T1_T2_T3_T4_T5_mmT6_P12ihipStream_tbEUlT_E0_NS1_11comp_targetILNS1_3genE0ELNS1_11target_archE4294967295ELNS1_3gpuE0ELNS1_3repE0EEENS1_30default_config_static_selectorELNS0_4arch9wavefront6targetE0EEEvS10_.num_agpr, 0
	.set _ZN7rocprim17ROCPRIM_400000_NS6detail17trampoline_kernelINS0_14default_configENS1_21merge_config_selectorINS0_5tupleIJssEEENS0_10empty_typeEEEZNS1_10merge_implIS3_NS0_12zip_iteratorINS5_IJN6thrust23THRUST_200600_302600_NS6detail15normal_iteratorINSC_10device_ptrIKsEEEESI_EEEEESK_NSA_INS5_IJNSE_INSF_IsEEEESM_EEEEEPS7_SP_SP_NSC_11hip_rocprim7__merge17predicate_wrapperIssNSC_7greaterIsEEEEEE10hipError_tPvRmT0_T1_T2_T3_T4_T5_mmT6_P12ihipStream_tbEUlT_E0_NS1_11comp_targetILNS1_3genE0ELNS1_11target_archE4294967295ELNS1_3gpuE0ELNS1_3repE0EEENS1_30default_config_static_selectorELNS0_4arch9wavefront6targetE0EEEvS10_.numbered_sgpr, 26
	.set _ZN7rocprim17ROCPRIM_400000_NS6detail17trampoline_kernelINS0_14default_configENS1_21merge_config_selectorINS0_5tupleIJssEEENS0_10empty_typeEEEZNS1_10merge_implIS3_NS0_12zip_iteratorINS5_IJN6thrust23THRUST_200600_302600_NS6detail15normal_iteratorINSC_10device_ptrIKsEEEESI_EEEEESK_NSA_INS5_IJNSE_INSF_IsEEEESM_EEEEEPS7_SP_SP_NSC_11hip_rocprim7__merge17predicate_wrapperIssNSC_7greaterIsEEEEEE10hipError_tPvRmT0_T1_T2_T3_T4_T5_mmT6_P12ihipStream_tbEUlT_E0_NS1_11comp_targetILNS1_3genE0ELNS1_11target_archE4294967295ELNS1_3gpuE0ELNS1_3repE0EEENS1_30default_config_static_selectorELNS0_4arch9wavefront6targetE0EEEvS10_.num_named_barrier, 0
	.set _ZN7rocprim17ROCPRIM_400000_NS6detail17trampoline_kernelINS0_14default_configENS1_21merge_config_selectorINS0_5tupleIJssEEENS0_10empty_typeEEEZNS1_10merge_implIS3_NS0_12zip_iteratorINS5_IJN6thrust23THRUST_200600_302600_NS6detail15normal_iteratorINSC_10device_ptrIKsEEEESI_EEEEESK_NSA_INS5_IJNSE_INSF_IsEEEESM_EEEEEPS7_SP_SP_NSC_11hip_rocprim7__merge17predicate_wrapperIssNSC_7greaterIsEEEEEE10hipError_tPvRmT0_T1_T2_T3_T4_T5_mmT6_P12ihipStream_tbEUlT_E0_NS1_11comp_targetILNS1_3genE0ELNS1_11target_archE4294967295ELNS1_3gpuE0ELNS1_3repE0EEENS1_30default_config_static_selectorELNS0_4arch9wavefront6targetE0EEEvS10_.private_seg_size, 0
	.set _ZN7rocprim17ROCPRIM_400000_NS6detail17trampoline_kernelINS0_14default_configENS1_21merge_config_selectorINS0_5tupleIJssEEENS0_10empty_typeEEEZNS1_10merge_implIS3_NS0_12zip_iteratorINS5_IJN6thrust23THRUST_200600_302600_NS6detail15normal_iteratorINSC_10device_ptrIKsEEEESI_EEEEESK_NSA_INS5_IJNSE_INSF_IsEEEESM_EEEEEPS7_SP_SP_NSC_11hip_rocprim7__merge17predicate_wrapperIssNSC_7greaterIsEEEEEE10hipError_tPvRmT0_T1_T2_T3_T4_T5_mmT6_P12ihipStream_tbEUlT_E0_NS1_11comp_targetILNS1_3genE0ELNS1_11target_archE4294967295ELNS1_3gpuE0ELNS1_3repE0EEENS1_30default_config_static_selectorELNS0_4arch9wavefront6targetE0EEEvS10_.uses_vcc, 1
	.set _ZN7rocprim17ROCPRIM_400000_NS6detail17trampoline_kernelINS0_14default_configENS1_21merge_config_selectorINS0_5tupleIJssEEENS0_10empty_typeEEEZNS1_10merge_implIS3_NS0_12zip_iteratorINS5_IJN6thrust23THRUST_200600_302600_NS6detail15normal_iteratorINSC_10device_ptrIKsEEEESI_EEEEESK_NSA_INS5_IJNSE_INSF_IsEEEESM_EEEEEPS7_SP_SP_NSC_11hip_rocprim7__merge17predicate_wrapperIssNSC_7greaterIsEEEEEE10hipError_tPvRmT0_T1_T2_T3_T4_T5_mmT6_P12ihipStream_tbEUlT_E0_NS1_11comp_targetILNS1_3genE0ELNS1_11target_archE4294967295ELNS1_3gpuE0ELNS1_3repE0EEENS1_30default_config_static_selectorELNS0_4arch9wavefront6targetE0EEEvS10_.uses_flat_scratch, 0
	.set _ZN7rocprim17ROCPRIM_400000_NS6detail17trampoline_kernelINS0_14default_configENS1_21merge_config_selectorINS0_5tupleIJssEEENS0_10empty_typeEEEZNS1_10merge_implIS3_NS0_12zip_iteratorINS5_IJN6thrust23THRUST_200600_302600_NS6detail15normal_iteratorINSC_10device_ptrIKsEEEESI_EEEEESK_NSA_INS5_IJNSE_INSF_IsEEEESM_EEEEEPS7_SP_SP_NSC_11hip_rocprim7__merge17predicate_wrapperIssNSC_7greaterIsEEEEEE10hipError_tPvRmT0_T1_T2_T3_T4_T5_mmT6_P12ihipStream_tbEUlT_E0_NS1_11comp_targetILNS1_3genE0ELNS1_11target_archE4294967295ELNS1_3gpuE0ELNS1_3repE0EEENS1_30default_config_static_selectorELNS0_4arch9wavefront6targetE0EEEvS10_.has_dyn_sized_stack, 0
	.set _ZN7rocprim17ROCPRIM_400000_NS6detail17trampoline_kernelINS0_14default_configENS1_21merge_config_selectorINS0_5tupleIJssEEENS0_10empty_typeEEEZNS1_10merge_implIS3_NS0_12zip_iteratorINS5_IJN6thrust23THRUST_200600_302600_NS6detail15normal_iteratorINSC_10device_ptrIKsEEEESI_EEEEESK_NSA_INS5_IJNSE_INSF_IsEEEESM_EEEEEPS7_SP_SP_NSC_11hip_rocprim7__merge17predicate_wrapperIssNSC_7greaterIsEEEEEE10hipError_tPvRmT0_T1_T2_T3_T4_T5_mmT6_P12ihipStream_tbEUlT_E0_NS1_11comp_targetILNS1_3genE0ELNS1_11target_archE4294967295ELNS1_3gpuE0ELNS1_3repE0EEENS1_30default_config_static_selectorELNS0_4arch9wavefront6targetE0EEEvS10_.has_recursion, 0
	.set _ZN7rocprim17ROCPRIM_400000_NS6detail17trampoline_kernelINS0_14default_configENS1_21merge_config_selectorINS0_5tupleIJssEEENS0_10empty_typeEEEZNS1_10merge_implIS3_NS0_12zip_iteratorINS5_IJN6thrust23THRUST_200600_302600_NS6detail15normal_iteratorINSC_10device_ptrIKsEEEESI_EEEEESK_NSA_INS5_IJNSE_INSF_IsEEEESM_EEEEEPS7_SP_SP_NSC_11hip_rocprim7__merge17predicate_wrapperIssNSC_7greaterIsEEEEEE10hipError_tPvRmT0_T1_T2_T3_T4_T5_mmT6_P12ihipStream_tbEUlT_E0_NS1_11comp_targetILNS1_3genE0ELNS1_11target_archE4294967295ELNS1_3gpuE0ELNS1_3repE0EEENS1_30default_config_static_selectorELNS0_4arch9wavefront6targetE0EEEvS10_.has_indirect_call, 0
	.section	.AMDGPU.csdata,"",@progbits
; Kernel info:
; codeLenInByte = 5456
; TotalNumSgprs: 28
; NumVgprs: 43
; ScratchSize: 0
; MemoryBound: 0
; FloatMode: 240
; IeeeMode: 1
; LDSByteSize: 10256 bytes/workgroup (compile time only)
; SGPRBlocks: 0
; VGPRBlocks: 2
; NumSGPRsForWavesPerEU: 28
; NumVGPRsForWavesPerEU: 43
; NamedBarCnt: 0
; Occupancy: 16
; WaveLimiterHint : 1
; COMPUTE_PGM_RSRC2:SCRATCH_EN: 0
; COMPUTE_PGM_RSRC2:USER_SGPR: 2
; COMPUTE_PGM_RSRC2:TRAP_HANDLER: 0
; COMPUTE_PGM_RSRC2:TGID_X_EN: 1
; COMPUTE_PGM_RSRC2:TGID_Y_EN: 0
; COMPUTE_PGM_RSRC2:TGID_Z_EN: 0
; COMPUTE_PGM_RSRC2:TIDIG_COMP_CNT: 0
	.section	.text._ZN7rocprim17ROCPRIM_400000_NS6detail17trampoline_kernelINS0_14default_configENS1_21merge_config_selectorINS0_5tupleIJssEEENS0_10empty_typeEEEZNS1_10merge_implIS3_NS0_12zip_iteratorINS5_IJN6thrust23THRUST_200600_302600_NS6detail15normal_iteratorINSC_10device_ptrIKsEEEESI_EEEEESK_NSA_INS5_IJNSE_INSF_IsEEEESM_EEEEEPS7_SP_SP_NSC_11hip_rocprim7__merge17predicate_wrapperIssNSC_7greaterIsEEEEEE10hipError_tPvRmT0_T1_T2_T3_T4_T5_mmT6_P12ihipStream_tbEUlT_E0_NS1_11comp_targetILNS1_3genE5ELNS1_11target_archE942ELNS1_3gpuE9ELNS1_3repE0EEENS1_30default_config_static_selectorELNS0_4arch9wavefront6targetE0EEEvS10_,"axG",@progbits,_ZN7rocprim17ROCPRIM_400000_NS6detail17trampoline_kernelINS0_14default_configENS1_21merge_config_selectorINS0_5tupleIJssEEENS0_10empty_typeEEEZNS1_10merge_implIS3_NS0_12zip_iteratorINS5_IJN6thrust23THRUST_200600_302600_NS6detail15normal_iteratorINSC_10device_ptrIKsEEEESI_EEEEESK_NSA_INS5_IJNSE_INSF_IsEEEESM_EEEEEPS7_SP_SP_NSC_11hip_rocprim7__merge17predicate_wrapperIssNSC_7greaterIsEEEEEE10hipError_tPvRmT0_T1_T2_T3_T4_T5_mmT6_P12ihipStream_tbEUlT_E0_NS1_11comp_targetILNS1_3genE5ELNS1_11target_archE942ELNS1_3gpuE9ELNS1_3repE0EEENS1_30default_config_static_selectorELNS0_4arch9wavefront6targetE0EEEvS10_,comdat
	.protected	_ZN7rocprim17ROCPRIM_400000_NS6detail17trampoline_kernelINS0_14default_configENS1_21merge_config_selectorINS0_5tupleIJssEEENS0_10empty_typeEEEZNS1_10merge_implIS3_NS0_12zip_iteratorINS5_IJN6thrust23THRUST_200600_302600_NS6detail15normal_iteratorINSC_10device_ptrIKsEEEESI_EEEEESK_NSA_INS5_IJNSE_INSF_IsEEEESM_EEEEEPS7_SP_SP_NSC_11hip_rocprim7__merge17predicate_wrapperIssNSC_7greaterIsEEEEEE10hipError_tPvRmT0_T1_T2_T3_T4_T5_mmT6_P12ihipStream_tbEUlT_E0_NS1_11comp_targetILNS1_3genE5ELNS1_11target_archE942ELNS1_3gpuE9ELNS1_3repE0EEENS1_30default_config_static_selectorELNS0_4arch9wavefront6targetE0EEEvS10_ ; -- Begin function _ZN7rocprim17ROCPRIM_400000_NS6detail17trampoline_kernelINS0_14default_configENS1_21merge_config_selectorINS0_5tupleIJssEEENS0_10empty_typeEEEZNS1_10merge_implIS3_NS0_12zip_iteratorINS5_IJN6thrust23THRUST_200600_302600_NS6detail15normal_iteratorINSC_10device_ptrIKsEEEESI_EEEEESK_NSA_INS5_IJNSE_INSF_IsEEEESM_EEEEEPS7_SP_SP_NSC_11hip_rocprim7__merge17predicate_wrapperIssNSC_7greaterIsEEEEEE10hipError_tPvRmT0_T1_T2_T3_T4_T5_mmT6_P12ihipStream_tbEUlT_E0_NS1_11comp_targetILNS1_3genE5ELNS1_11target_archE942ELNS1_3gpuE9ELNS1_3repE0EEENS1_30default_config_static_selectorELNS0_4arch9wavefront6targetE0EEEvS10_
	.globl	_ZN7rocprim17ROCPRIM_400000_NS6detail17trampoline_kernelINS0_14default_configENS1_21merge_config_selectorINS0_5tupleIJssEEENS0_10empty_typeEEEZNS1_10merge_implIS3_NS0_12zip_iteratorINS5_IJN6thrust23THRUST_200600_302600_NS6detail15normal_iteratorINSC_10device_ptrIKsEEEESI_EEEEESK_NSA_INS5_IJNSE_INSF_IsEEEESM_EEEEEPS7_SP_SP_NSC_11hip_rocprim7__merge17predicate_wrapperIssNSC_7greaterIsEEEEEE10hipError_tPvRmT0_T1_T2_T3_T4_T5_mmT6_P12ihipStream_tbEUlT_E0_NS1_11comp_targetILNS1_3genE5ELNS1_11target_archE942ELNS1_3gpuE9ELNS1_3repE0EEENS1_30default_config_static_selectorELNS0_4arch9wavefront6targetE0EEEvS10_
	.p2align	8
	.type	_ZN7rocprim17ROCPRIM_400000_NS6detail17trampoline_kernelINS0_14default_configENS1_21merge_config_selectorINS0_5tupleIJssEEENS0_10empty_typeEEEZNS1_10merge_implIS3_NS0_12zip_iteratorINS5_IJN6thrust23THRUST_200600_302600_NS6detail15normal_iteratorINSC_10device_ptrIKsEEEESI_EEEEESK_NSA_INS5_IJNSE_INSF_IsEEEESM_EEEEEPS7_SP_SP_NSC_11hip_rocprim7__merge17predicate_wrapperIssNSC_7greaterIsEEEEEE10hipError_tPvRmT0_T1_T2_T3_T4_T5_mmT6_P12ihipStream_tbEUlT_E0_NS1_11comp_targetILNS1_3genE5ELNS1_11target_archE942ELNS1_3gpuE9ELNS1_3repE0EEENS1_30default_config_static_selectorELNS0_4arch9wavefront6targetE0EEEvS10_,@function
_ZN7rocprim17ROCPRIM_400000_NS6detail17trampoline_kernelINS0_14default_configENS1_21merge_config_selectorINS0_5tupleIJssEEENS0_10empty_typeEEEZNS1_10merge_implIS3_NS0_12zip_iteratorINS5_IJN6thrust23THRUST_200600_302600_NS6detail15normal_iteratorINSC_10device_ptrIKsEEEESI_EEEEESK_NSA_INS5_IJNSE_INSF_IsEEEESM_EEEEEPS7_SP_SP_NSC_11hip_rocprim7__merge17predicate_wrapperIssNSC_7greaterIsEEEEEE10hipError_tPvRmT0_T1_T2_T3_T4_T5_mmT6_P12ihipStream_tbEUlT_E0_NS1_11comp_targetILNS1_3genE5ELNS1_11target_archE942ELNS1_3gpuE9ELNS1_3repE0EEENS1_30default_config_static_selectorELNS0_4arch9wavefront6targetE0EEEvS10_: ; @_ZN7rocprim17ROCPRIM_400000_NS6detail17trampoline_kernelINS0_14default_configENS1_21merge_config_selectorINS0_5tupleIJssEEENS0_10empty_typeEEEZNS1_10merge_implIS3_NS0_12zip_iteratorINS5_IJN6thrust23THRUST_200600_302600_NS6detail15normal_iteratorINSC_10device_ptrIKsEEEESI_EEEEESK_NSA_INS5_IJNSE_INSF_IsEEEESM_EEEEEPS7_SP_SP_NSC_11hip_rocprim7__merge17predicate_wrapperIssNSC_7greaterIsEEEEEE10hipError_tPvRmT0_T1_T2_T3_T4_T5_mmT6_P12ihipStream_tbEUlT_E0_NS1_11comp_targetILNS1_3genE5ELNS1_11target_archE942ELNS1_3gpuE9ELNS1_3repE0EEENS1_30default_config_static_selectorELNS0_4arch9wavefront6targetE0EEEvS10_
; %bb.0:
	.section	.rodata,"a",@progbits
	.p2align	6, 0x0
	.amdhsa_kernel _ZN7rocprim17ROCPRIM_400000_NS6detail17trampoline_kernelINS0_14default_configENS1_21merge_config_selectorINS0_5tupleIJssEEENS0_10empty_typeEEEZNS1_10merge_implIS3_NS0_12zip_iteratorINS5_IJN6thrust23THRUST_200600_302600_NS6detail15normal_iteratorINSC_10device_ptrIKsEEEESI_EEEEESK_NSA_INS5_IJNSE_INSF_IsEEEESM_EEEEEPS7_SP_SP_NSC_11hip_rocprim7__merge17predicate_wrapperIssNSC_7greaterIsEEEEEE10hipError_tPvRmT0_T1_T2_T3_T4_T5_mmT6_P12ihipStream_tbEUlT_E0_NS1_11comp_targetILNS1_3genE5ELNS1_11target_archE942ELNS1_3gpuE9ELNS1_3repE0EEENS1_30default_config_static_selectorELNS0_4arch9wavefront6targetE0EEEvS10_
		.amdhsa_group_segment_fixed_size 0
		.amdhsa_private_segment_fixed_size 0
		.amdhsa_kernarg_size 112
		.amdhsa_user_sgpr_count 2
		.amdhsa_user_sgpr_dispatch_ptr 0
		.amdhsa_user_sgpr_queue_ptr 0
		.amdhsa_user_sgpr_kernarg_segment_ptr 1
		.amdhsa_user_sgpr_dispatch_id 0
		.amdhsa_user_sgpr_kernarg_preload_length 0
		.amdhsa_user_sgpr_kernarg_preload_offset 0
		.amdhsa_user_sgpr_private_segment_size 0
		.amdhsa_wavefront_size32 1
		.amdhsa_uses_dynamic_stack 0
		.amdhsa_enable_private_segment 0
		.amdhsa_system_sgpr_workgroup_id_x 1
		.amdhsa_system_sgpr_workgroup_id_y 0
		.amdhsa_system_sgpr_workgroup_id_z 0
		.amdhsa_system_sgpr_workgroup_info 0
		.amdhsa_system_vgpr_workitem_id 0
		.amdhsa_next_free_vgpr 1
		.amdhsa_next_free_sgpr 1
		.amdhsa_named_barrier_count 0
		.amdhsa_reserve_vcc 0
		.amdhsa_float_round_mode_32 0
		.amdhsa_float_round_mode_16_64 0
		.amdhsa_float_denorm_mode_32 3
		.amdhsa_float_denorm_mode_16_64 3
		.amdhsa_fp16_overflow 0
		.amdhsa_memory_ordered 1
		.amdhsa_forward_progress 1
		.amdhsa_inst_pref_size 0
		.amdhsa_round_robin_scheduling 0
		.amdhsa_exception_fp_ieee_invalid_op 0
		.amdhsa_exception_fp_denorm_src 0
		.amdhsa_exception_fp_ieee_div_zero 0
		.amdhsa_exception_fp_ieee_overflow 0
		.amdhsa_exception_fp_ieee_underflow 0
		.amdhsa_exception_fp_ieee_inexact 0
		.amdhsa_exception_int_div_zero 0
	.end_amdhsa_kernel
	.section	.text._ZN7rocprim17ROCPRIM_400000_NS6detail17trampoline_kernelINS0_14default_configENS1_21merge_config_selectorINS0_5tupleIJssEEENS0_10empty_typeEEEZNS1_10merge_implIS3_NS0_12zip_iteratorINS5_IJN6thrust23THRUST_200600_302600_NS6detail15normal_iteratorINSC_10device_ptrIKsEEEESI_EEEEESK_NSA_INS5_IJNSE_INSF_IsEEEESM_EEEEEPS7_SP_SP_NSC_11hip_rocprim7__merge17predicate_wrapperIssNSC_7greaterIsEEEEEE10hipError_tPvRmT0_T1_T2_T3_T4_T5_mmT6_P12ihipStream_tbEUlT_E0_NS1_11comp_targetILNS1_3genE5ELNS1_11target_archE942ELNS1_3gpuE9ELNS1_3repE0EEENS1_30default_config_static_selectorELNS0_4arch9wavefront6targetE0EEEvS10_,"axG",@progbits,_ZN7rocprim17ROCPRIM_400000_NS6detail17trampoline_kernelINS0_14default_configENS1_21merge_config_selectorINS0_5tupleIJssEEENS0_10empty_typeEEEZNS1_10merge_implIS3_NS0_12zip_iteratorINS5_IJN6thrust23THRUST_200600_302600_NS6detail15normal_iteratorINSC_10device_ptrIKsEEEESI_EEEEESK_NSA_INS5_IJNSE_INSF_IsEEEESM_EEEEEPS7_SP_SP_NSC_11hip_rocprim7__merge17predicate_wrapperIssNSC_7greaterIsEEEEEE10hipError_tPvRmT0_T1_T2_T3_T4_T5_mmT6_P12ihipStream_tbEUlT_E0_NS1_11comp_targetILNS1_3genE5ELNS1_11target_archE942ELNS1_3gpuE9ELNS1_3repE0EEENS1_30default_config_static_selectorELNS0_4arch9wavefront6targetE0EEEvS10_,comdat
.Lfunc_end453:
	.size	_ZN7rocprim17ROCPRIM_400000_NS6detail17trampoline_kernelINS0_14default_configENS1_21merge_config_selectorINS0_5tupleIJssEEENS0_10empty_typeEEEZNS1_10merge_implIS3_NS0_12zip_iteratorINS5_IJN6thrust23THRUST_200600_302600_NS6detail15normal_iteratorINSC_10device_ptrIKsEEEESI_EEEEESK_NSA_INS5_IJNSE_INSF_IsEEEESM_EEEEEPS7_SP_SP_NSC_11hip_rocprim7__merge17predicate_wrapperIssNSC_7greaterIsEEEEEE10hipError_tPvRmT0_T1_T2_T3_T4_T5_mmT6_P12ihipStream_tbEUlT_E0_NS1_11comp_targetILNS1_3genE5ELNS1_11target_archE942ELNS1_3gpuE9ELNS1_3repE0EEENS1_30default_config_static_selectorELNS0_4arch9wavefront6targetE0EEEvS10_, .Lfunc_end453-_ZN7rocprim17ROCPRIM_400000_NS6detail17trampoline_kernelINS0_14default_configENS1_21merge_config_selectorINS0_5tupleIJssEEENS0_10empty_typeEEEZNS1_10merge_implIS3_NS0_12zip_iteratorINS5_IJN6thrust23THRUST_200600_302600_NS6detail15normal_iteratorINSC_10device_ptrIKsEEEESI_EEEEESK_NSA_INS5_IJNSE_INSF_IsEEEESM_EEEEEPS7_SP_SP_NSC_11hip_rocprim7__merge17predicate_wrapperIssNSC_7greaterIsEEEEEE10hipError_tPvRmT0_T1_T2_T3_T4_T5_mmT6_P12ihipStream_tbEUlT_E0_NS1_11comp_targetILNS1_3genE5ELNS1_11target_archE942ELNS1_3gpuE9ELNS1_3repE0EEENS1_30default_config_static_selectorELNS0_4arch9wavefront6targetE0EEEvS10_
                                        ; -- End function
	.set _ZN7rocprim17ROCPRIM_400000_NS6detail17trampoline_kernelINS0_14default_configENS1_21merge_config_selectorINS0_5tupleIJssEEENS0_10empty_typeEEEZNS1_10merge_implIS3_NS0_12zip_iteratorINS5_IJN6thrust23THRUST_200600_302600_NS6detail15normal_iteratorINSC_10device_ptrIKsEEEESI_EEEEESK_NSA_INS5_IJNSE_INSF_IsEEEESM_EEEEEPS7_SP_SP_NSC_11hip_rocprim7__merge17predicate_wrapperIssNSC_7greaterIsEEEEEE10hipError_tPvRmT0_T1_T2_T3_T4_T5_mmT6_P12ihipStream_tbEUlT_E0_NS1_11comp_targetILNS1_3genE5ELNS1_11target_archE942ELNS1_3gpuE9ELNS1_3repE0EEENS1_30default_config_static_selectorELNS0_4arch9wavefront6targetE0EEEvS10_.num_vgpr, 0
	.set _ZN7rocprim17ROCPRIM_400000_NS6detail17trampoline_kernelINS0_14default_configENS1_21merge_config_selectorINS0_5tupleIJssEEENS0_10empty_typeEEEZNS1_10merge_implIS3_NS0_12zip_iteratorINS5_IJN6thrust23THRUST_200600_302600_NS6detail15normal_iteratorINSC_10device_ptrIKsEEEESI_EEEEESK_NSA_INS5_IJNSE_INSF_IsEEEESM_EEEEEPS7_SP_SP_NSC_11hip_rocprim7__merge17predicate_wrapperIssNSC_7greaterIsEEEEEE10hipError_tPvRmT0_T1_T2_T3_T4_T5_mmT6_P12ihipStream_tbEUlT_E0_NS1_11comp_targetILNS1_3genE5ELNS1_11target_archE942ELNS1_3gpuE9ELNS1_3repE0EEENS1_30default_config_static_selectorELNS0_4arch9wavefront6targetE0EEEvS10_.num_agpr, 0
	.set _ZN7rocprim17ROCPRIM_400000_NS6detail17trampoline_kernelINS0_14default_configENS1_21merge_config_selectorINS0_5tupleIJssEEENS0_10empty_typeEEEZNS1_10merge_implIS3_NS0_12zip_iteratorINS5_IJN6thrust23THRUST_200600_302600_NS6detail15normal_iteratorINSC_10device_ptrIKsEEEESI_EEEEESK_NSA_INS5_IJNSE_INSF_IsEEEESM_EEEEEPS7_SP_SP_NSC_11hip_rocprim7__merge17predicate_wrapperIssNSC_7greaterIsEEEEEE10hipError_tPvRmT0_T1_T2_T3_T4_T5_mmT6_P12ihipStream_tbEUlT_E0_NS1_11comp_targetILNS1_3genE5ELNS1_11target_archE942ELNS1_3gpuE9ELNS1_3repE0EEENS1_30default_config_static_selectorELNS0_4arch9wavefront6targetE0EEEvS10_.numbered_sgpr, 0
	.set _ZN7rocprim17ROCPRIM_400000_NS6detail17trampoline_kernelINS0_14default_configENS1_21merge_config_selectorINS0_5tupleIJssEEENS0_10empty_typeEEEZNS1_10merge_implIS3_NS0_12zip_iteratorINS5_IJN6thrust23THRUST_200600_302600_NS6detail15normal_iteratorINSC_10device_ptrIKsEEEESI_EEEEESK_NSA_INS5_IJNSE_INSF_IsEEEESM_EEEEEPS7_SP_SP_NSC_11hip_rocprim7__merge17predicate_wrapperIssNSC_7greaterIsEEEEEE10hipError_tPvRmT0_T1_T2_T3_T4_T5_mmT6_P12ihipStream_tbEUlT_E0_NS1_11comp_targetILNS1_3genE5ELNS1_11target_archE942ELNS1_3gpuE9ELNS1_3repE0EEENS1_30default_config_static_selectorELNS0_4arch9wavefront6targetE0EEEvS10_.num_named_barrier, 0
	.set _ZN7rocprim17ROCPRIM_400000_NS6detail17trampoline_kernelINS0_14default_configENS1_21merge_config_selectorINS0_5tupleIJssEEENS0_10empty_typeEEEZNS1_10merge_implIS3_NS0_12zip_iteratorINS5_IJN6thrust23THRUST_200600_302600_NS6detail15normal_iteratorINSC_10device_ptrIKsEEEESI_EEEEESK_NSA_INS5_IJNSE_INSF_IsEEEESM_EEEEEPS7_SP_SP_NSC_11hip_rocprim7__merge17predicate_wrapperIssNSC_7greaterIsEEEEEE10hipError_tPvRmT0_T1_T2_T3_T4_T5_mmT6_P12ihipStream_tbEUlT_E0_NS1_11comp_targetILNS1_3genE5ELNS1_11target_archE942ELNS1_3gpuE9ELNS1_3repE0EEENS1_30default_config_static_selectorELNS0_4arch9wavefront6targetE0EEEvS10_.private_seg_size, 0
	.set _ZN7rocprim17ROCPRIM_400000_NS6detail17trampoline_kernelINS0_14default_configENS1_21merge_config_selectorINS0_5tupleIJssEEENS0_10empty_typeEEEZNS1_10merge_implIS3_NS0_12zip_iteratorINS5_IJN6thrust23THRUST_200600_302600_NS6detail15normal_iteratorINSC_10device_ptrIKsEEEESI_EEEEESK_NSA_INS5_IJNSE_INSF_IsEEEESM_EEEEEPS7_SP_SP_NSC_11hip_rocprim7__merge17predicate_wrapperIssNSC_7greaterIsEEEEEE10hipError_tPvRmT0_T1_T2_T3_T4_T5_mmT6_P12ihipStream_tbEUlT_E0_NS1_11comp_targetILNS1_3genE5ELNS1_11target_archE942ELNS1_3gpuE9ELNS1_3repE0EEENS1_30default_config_static_selectorELNS0_4arch9wavefront6targetE0EEEvS10_.uses_vcc, 0
	.set _ZN7rocprim17ROCPRIM_400000_NS6detail17trampoline_kernelINS0_14default_configENS1_21merge_config_selectorINS0_5tupleIJssEEENS0_10empty_typeEEEZNS1_10merge_implIS3_NS0_12zip_iteratorINS5_IJN6thrust23THRUST_200600_302600_NS6detail15normal_iteratorINSC_10device_ptrIKsEEEESI_EEEEESK_NSA_INS5_IJNSE_INSF_IsEEEESM_EEEEEPS7_SP_SP_NSC_11hip_rocprim7__merge17predicate_wrapperIssNSC_7greaterIsEEEEEE10hipError_tPvRmT0_T1_T2_T3_T4_T5_mmT6_P12ihipStream_tbEUlT_E0_NS1_11comp_targetILNS1_3genE5ELNS1_11target_archE942ELNS1_3gpuE9ELNS1_3repE0EEENS1_30default_config_static_selectorELNS0_4arch9wavefront6targetE0EEEvS10_.uses_flat_scratch, 0
	.set _ZN7rocprim17ROCPRIM_400000_NS6detail17trampoline_kernelINS0_14default_configENS1_21merge_config_selectorINS0_5tupleIJssEEENS0_10empty_typeEEEZNS1_10merge_implIS3_NS0_12zip_iteratorINS5_IJN6thrust23THRUST_200600_302600_NS6detail15normal_iteratorINSC_10device_ptrIKsEEEESI_EEEEESK_NSA_INS5_IJNSE_INSF_IsEEEESM_EEEEEPS7_SP_SP_NSC_11hip_rocprim7__merge17predicate_wrapperIssNSC_7greaterIsEEEEEE10hipError_tPvRmT0_T1_T2_T3_T4_T5_mmT6_P12ihipStream_tbEUlT_E0_NS1_11comp_targetILNS1_3genE5ELNS1_11target_archE942ELNS1_3gpuE9ELNS1_3repE0EEENS1_30default_config_static_selectorELNS0_4arch9wavefront6targetE0EEEvS10_.has_dyn_sized_stack, 0
	.set _ZN7rocprim17ROCPRIM_400000_NS6detail17trampoline_kernelINS0_14default_configENS1_21merge_config_selectorINS0_5tupleIJssEEENS0_10empty_typeEEEZNS1_10merge_implIS3_NS0_12zip_iteratorINS5_IJN6thrust23THRUST_200600_302600_NS6detail15normal_iteratorINSC_10device_ptrIKsEEEESI_EEEEESK_NSA_INS5_IJNSE_INSF_IsEEEESM_EEEEEPS7_SP_SP_NSC_11hip_rocprim7__merge17predicate_wrapperIssNSC_7greaterIsEEEEEE10hipError_tPvRmT0_T1_T2_T3_T4_T5_mmT6_P12ihipStream_tbEUlT_E0_NS1_11comp_targetILNS1_3genE5ELNS1_11target_archE942ELNS1_3gpuE9ELNS1_3repE0EEENS1_30default_config_static_selectorELNS0_4arch9wavefront6targetE0EEEvS10_.has_recursion, 0
	.set _ZN7rocprim17ROCPRIM_400000_NS6detail17trampoline_kernelINS0_14default_configENS1_21merge_config_selectorINS0_5tupleIJssEEENS0_10empty_typeEEEZNS1_10merge_implIS3_NS0_12zip_iteratorINS5_IJN6thrust23THRUST_200600_302600_NS6detail15normal_iteratorINSC_10device_ptrIKsEEEESI_EEEEESK_NSA_INS5_IJNSE_INSF_IsEEEESM_EEEEEPS7_SP_SP_NSC_11hip_rocprim7__merge17predicate_wrapperIssNSC_7greaterIsEEEEEE10hipError_tPvRmT0_T1_T2_T3_T4_T5_mmT6_P12ihipStream_tbEUlT_E0_NS1_11comp_targetILNS1_3genE5ELNS1_11target_archE942ELNS1_3gpuE9ELNS1_3repE0EEENS1_30default_config_static_selectorELNS0_4arch9wavefront6targetE0EEEvS10_.has_indirect_call, 0
	.section	.AMDGPU.csdata,"",@progbits
; Kernel info:
; codeLenInByte = 0
; TotalNumSgprs: 0
; NumVgprs: 0
; ScratchSize: 0
; MemoryBound: 0
; FloatMode: 240
; IeeeMode: 1
; LDSByteSize: 0 bytes/workgroup (compile time only)
; SGPRBlocks: 0
; VGPRBlocks: 0
; NumSGPRsForWavesPerEU: 1
; NumVGPRsForWavesPerEU: 1
; NamedBarCnt: 0
; Occupancy: 16
; WaveLimiterHint : 0
; COMPUTE_PGM_RSRC2:SCRATCH_EN: 0
; COMPUTE_PGM_RSRC2:USER_SGPR: 2
; COMPUTE_PGM_RSRC2:TRAP_HANDLER: 0
; COMPUTE_PGM_RSRC2:TGID_X_EN: 1
; COMPUTE_PGM_RSRC2:TGID_Y_EN: 0
; COMPUTE_PGM_RSRC2:TGID_Z_EN: 0
; COMPUTE_PGM_RSRC2:TIDIG_COMP_CNT: 0
	.section	.text._ZN7rocprim17ROCPRIM_400000_NS6detail17trampoline_kernelINS0_14default_configENS1_21merge_config_selectorINS0_5tupleIJssEEENS0_10empty_typeEEEZNS1_10merge_implIS3_NS0_12zip_iteratorINS5_IJN6thrust23THRUST_200600_302600_NS6detail15normal_iteratorINSC_10device_ptrIKsEEEESI_EEEEESK_NSA_INS5_IJNSE_INSF_IsEEEESM_EEEEEPS7_SP_SP_NSC_11hip_rocprim7__merge17predicate_wrapperIssNSC_7greaterIsEEEEEE10hipError_tPvRmT0_T1_T2_T3_T4_T5_mmT6_P12ihipStream_tbEUlT_E0_NS1_11comp_targetILNS1_3genE4ELNS1_11target_archE910ELNS1_3gpuE8ELNS1_3repE0EEENS1_30default_config_static_selectorELNS0_4arch9wavefront6targetE0EEEvS10_,"axG",@progbits,_ZN7rocprim17ROCPRIM_400000_NS6detail17trampoline_kernelINS0_14default_configENS1_21merge_config_selectorINS0_5tupleIJssEEENS0_10empty_typeEEEZNS1_10merge_implIS3_NS0_12zip_iteratorINS5_IJN6thrust23THRUST_200600_302600_NS6detail15normal_iteratorINSC_10device_ptrIKsEEEESI_EEEEESK_NSA_INS5_IJNSE_INSF_IsEEEESM_EEEEEPS7_SP_SP_NSC_11hip_rocprim7__merge17predicate_wrapperIssNSC_7greaterIsEEEEEE10hipError_tPvRmT0_T1_T2_T3_T4_T5_mmT6_P12ihipStream_tbEUlT_E0_NS1_11comp_targetILNS1_3genE4ELNS1_11target_archE910ELNS1_3gpuE8ELNS1_3repE0EEENS1_30default_config_static_selectorELNS0_4arch9wavefront6targetE0EEEvS10_,comdat
	.protected	_ZN7rocprim17ROCPRIM_400000_NS6detail17trampoline_kernelINS0_14default_configENS1_21merge_config_selectorINS0_5tupleIJssEEENS0_10empty_typeEEEZNS1_10merge_implIS3_NS0_12zip_iteratorINS5_IJN6thrust23THRUST_200600_302600_NS6detail15normal_iteratorINSC_10device_ptrIKsEEEESI_EEEEESK_NSA_INS5_IJNSE_INSF_IsEEEESM_EEEEEPS7_SP_SP_NSC_11hip_rocprim7__merge17predicate_wrapperIssNSC_7greaterIsEEEEEE10hipError_tPvRmT0_T1_T2_T3_T4_T5_mmT6_P12ihipStream_tbEUlT_E0_NS1_11comp_targetILNS1_3genE4ELNS1_11target_archE910ELNS1_3gpuE8ELNS1_3repE0EEENS1_30default_config_static_selectorELNS0_4arch9wavefront6targetE0EEEvS10_ ; -- Begin function _ZN7rocprim17ROCPRIM_400000_NS6detail17trampoline_kernelINS0_14default_configENS1_21merge_config_selectorINS0_5tupleIJssEEENS0_10empty_typeEEEZNS1_10merge_implIS3_NS0_12zip_iteratorINS5_IJN6thrust23THRUST_200600_302600_NS6detail15normal_iteratorINSC_10device_ptrIKsEEEESI_EEEEESK_NSA_INS5_IJNSE_INSF_IsEEEESM_EEEEEPS7_SP_SP_NSC_11hip_rocprim7__merge17predicate_wrapperIssNSC_7greaterIsEEEEEE10hipError_tPvRmT0_T1_T2_T3_T4_T5_mmT6_P12ihipStream_tbEUlT_E0_NS1_11comp_targetILNS1_3genE4ELNS1_11target_archE910ELNS1_3gpuE8ELNS1_3repE0EEENS1_30default_config_static_selectorELNS0_4arch9wavefront6targetE0EEEvS10_
	.globl	_ZN7rocprim17ROCPRIM_400000_NS6detail17trampoline_kernelINS0_14default_configENS1_21merge_config_selectorINS0_5tupleIJssEEENS0_10empty_typeEEEZNS1_10merge_implIS3_NS0_12zip_iteratorINS5_IJN6thrust23THRUST_200600_302600_NS6detail15normal_iteratorINSC_10device_ptrIKsEEEESI_EEEEESK_NSA_INS5_IJNSE_INSF_IsEEEESM_EEEEEPS7_SP_SP_NSC_11hip_rocprim7__merge17predicate_wrapperIssNSC_7greaterIsEEEEEE10hipError_tPvRmT0_T1_T2_T3_T4_T5_mmT6_P12ihipStream_tbEUlT_E0_NS1_11comp_targetILNS1_3genE4ELNS1_11target_archE910ELNS1_3gpuE8ELNS1_3repE0EEENS1_30default_config_static_selectorELNS0_4arch9wavefront6targetE0EEEvS10_
	.p2align	8
	.type	_ZN7rocprim17ROCPRIM_400000_NS6detail17trampoline_kernelINS0_14default_configENS1_21merge_config_selectorINS0_5tupleIJssEEENS0_10empty_typeEEEZNS1_10merge_implIS3_NS0_12zip_iteratorINS5_IJN6thrust23THRUST_200600_302600_NS6detail15normal_iteratorINSC_10device_ptrIKsEEEESI_EEEEESK_NSA_INS5_IJNSE_INSF_IsEEEESM_EEEEEPS7_SP_SP_NSC_11hip_rocprim7__merge17predicate_wrapperIssNSC_7greaterIsEEEEEE10hipError_tPvRmT0_T1_T2_T3_T4_T5_mmT6_P12ihipStream_tbEUlT_E0_NS1_11comp_targetILNS1_3genE4ELNS1_11target_archE910ELNS1_3gpuE8ELNS1_3repE0EEENS1_30default_config_static_selectorELNS0_4arch9wavefront6targetE0EEEvS10_,@function
_ZN7rocprim17ROCPRIM_400000_NS6detail17trampoline_kernelINS0_14default_configENS1_21merge_config_selectorINS0_5tupleIJssEEENS0_10empty_typeEEEZNS1_10merge_implIS3_NS0_12zip_iteratorINS5_IJN6thrust23THRUST_200600_302600_NS6detail15normal_iteratorINSC_10device_ptrIKsEEEESI_EEEEESK_NSA_INS5_IJNSE_INSF_IsEEEESM_EEEEEPS7_SP_SP_NSC_11hip_rocprim7__merge17predicate_wrapperIssNSC_7greaterIsEEEEEE10hipError_tPvRmT0_T1_T2_T3_T4_T5_mmT6_P12ihipStream_tbEUlT_E0_NS1_11comp_targetILNS1_3genE4ELNS1_11target_archE910ELNS1_3gpuE8ELNS1_3repE0EEENS1_30default_config_static_selectorELNS0_4arch9wavefront6targetE0EEEvS10_: ; @_ZN7rocprim17ROCPRIM_400000_NS6detail17trampoline_kernelINS0_14default_configENS1_21merge_config_selectorINS0_5tupleIJssEEENS0_10empty_typeEEEZNS1_10merge_implIS3_NS0_12zip_iteratorINS5_IJN6thrust23THRUST_200600_302600_NS6detail15normal_iteratorINSC_10device_ptrIKsEEEESI_EEEEESK_NSA_INS5_IJNSE_INSF_IsEEEESM_EEEEEPS7_SP_SP_NSC_11hip_rocprim7__merge17predicate_wrapperIssNSC_7greaterIsEEEEEE10hipError_tPvRmT0_T1_T2_T3_T4_T5_mmT6_P12ihipStream_tbEUlT_E0_NS1_11comp_targetILNS1_3genE4ELNS1_11target_archE910ELNS1_3gpuE8ELNS1_3repE0EEENS1_30default_config_static_selectorELNS0_4arch9wavefront6targetE0EEEvS10_
; %bb.0:
	.section	.rodata,"a",@progbits
	.p2align	6, 0x0
	.amdhsa_kernel _ZN7rocprim17ROCPRIM_400000_NS6detail17trampoline_kernelINS0_14default_configENS1_21merge_config_selectorINS0_5tupleIJssEEENS0_10empty_typeEEEZNS1_10merge_implIS3_NS0_12zip_iteratorINS5_IJN6thrust23THRUST_200600_302600_NS6detail15normal_iteratorINSC_10device_ptrIKsEEEESI_EEEEESK_NSA_INS5_IJNSE_INSF_IsEEEESM_EEEEEPS7_SP_SP_NSC_11hip_rocprim7__merge17predicate_wrapperIssNSC_7greaterIsEEEEEE10hipError_tPvRmT0_T1_T2_T3_T4_T5_mmT6_P12ihipStream_tbEUlT_E0_NS1_11comp_targetILNS1_3genE4ELNS1_11target_archE910ELNS1_3gpuE8ELNS1_3repE0EEENS1_30default_config_static_selectorELNS0_4arch9wavefront6targetE0EEEvS10_
		.amdhsa_group_segment_fixed_size 0
		.amdhsa_private_segment_fixed_size 0
		.amdhsa_kernarg_size 112
		.amdhsa_user_sgpr_count 2
		.amdhsa_user_sgpr_dispatch_ptr 0
		.amdhsa_user_sgpr_queue_ptr 0
		.amdhsa_user_sgpr_kernarg_segment_ptr 1
		.amdhsa_user_sgpr_dispatch_id 0
		.amdhsa_user_sgpr_kernarg_preload_length 0
		.amdhsa_user_sgpr_kernarg_preload_offset 0
		.amdhsa_user_sgpr_private_segment_size 0
		.amdhsa_wavefront_size32 1
		.amdhsa_uses_dynamic_stack 0
		.amdhsa_enable_private_segment 0
		.amdhsa_system_sgpr_workgroup_id_x 1
		.amdhsa_system_sgpr_workgroup_id_y 0
		.amdhsa_system_sgpr_workgroup_id_z 0
		.amdhsa_system_sgpr_workgroup_info 0
		.amdhsa_system_vgpr_workitem_id 0
		.amdhsa_next_free_vgpr 1
		.amdhsa_next_free_sgpr 1
		.amdhsa_named_barrier_count 0
		.amdhsa_reserve_vcc 0
		.amdhsa_float_round_mode_32 0
		.amdhsa_float_round_mode_16_64 0
		.amdhsa_float_denorm_mode_32 3
		.amdhsa_float_denorm_mode_16_64 3
		.amdhsa_fp16_overflow 0
		.amdhsa_memory_ordered 1
		.amdhsa_forward_progress 1
		.amdhsa_inst_pref_size 0
		.amdhsa_round_robin_scheduling 0
		.amdhsa_exception_fp_ieee_invalid_op 0
		.amdhsa_exception_fp_denorm_src 0
		.amdhsa_exception_fp_ieee_div_zero 0
		.amdhsa_exception_fp_ieee_overflow 0
		.amdhsa_exception_fp_ieee_underflow 0
		.amdhsa_exception_fp_ieee_inexact 0
		.amdhsa_exception_int_div_zero 0
	.end_amdhsa_kernel
	.section	.text._ZN7rocprim17ROCPRIM_400000_NS6detail17trampoline_kernelINS0_14default_configENS1_21merge_config_selectorINS0_5tupleIJssEEENS0_10empty_typeEEEZNS1_10merge_implIS3_NS0_12zip_iteratorINS5_IJN6thrust23THRUST_200600_302600_NS6detail15normal_iteratorINSC_10device_ptrIKsEEEESI_EEEEESK_NSA_INS5_IJNSE_INSF_IsEEEESM_EEEEEPS7_SP_SP_NSC_11hip_rocprim7__merge17predicate_wrapperIssNSC_7greaterIsEEEEEE10hipError_tPvRmT0_T1_T2_T3_T4_T5_mmT6_P12ihipStream_tbEUlT_E0_NS1_11comp_targetILNS1_3genE4ELNS1_11target_archE910ELNS1_3gpuE8ELNS1_3repE0EEENS1_30default_config_static_selectorELNS0_4arch9wavefront6targetE0EEEvS10_,"axG",@progbits,_ZN7rocprim17ROCPRIM_400000_NS6detail17trampoline_kernelINS0_14default_configENS1_21merge_config_selectorINS0_5tupleIJssEEENS0_10empty_typeEEEZNS1_10merge_implIS3_NS0_12zip_iteratorINS5_IJN6thrust23THRUST_200600_302600_NS6detail15normal_iteratorINSC_10device_ptrIKsEEEESI_EEEEESK_NSA_INS5_IJNSE_INSF_IsEEEESM_EEEEEPS7_SP_SP_NSC_11hip_rocprim7__merge17predicate_wrapperIssNSC_7greaterIsEEEEEE10hipError_tPvRmT0_T1_T2_T3_T4_T5_mmT6_P12ihipStream_tbEUlT_E0_NS1_11comp_targetILNS1_3genE4ELNS1_11target_archE910ELNS1_3gpuE8ELNS1_3repE0EEENS1_30default_config_static_selectorELNS0_4arch9wavefront6targetE0EEEvS10_,comdat
.Lfunc_end454:
	.size	_ZN7rocprim17ROCPRIM_400000_NS6detail17trampoline_kernelINS0_14default_configENS1_21merge_config_selectorINS0_5tupleIJssEEENS0_10empty_typeEEEZNS1_10merge_implIS3_NS0_12zip_iteratorINS5_IJN6thrust23THRUST_200600_302600_NS6detail15normal_iteratorINSC_10device_ptrIKsEEEESI_EEEEESK_NSA_INS5_IJNSE_INSF_IsEEEESM_EEEEEPS7_SP_SP_NSC_11hip_rocprim7__merge17predicate_wrapperIssNSC_7greaterIsEEEEEE10hipError_tPvRmT0_T1_T2_T3_T4_T5_mmT6_P12ihipStream_tbEUlT_E0_NS1_11comp_targetILNS1_3genE4ELNS1_11target_archE910ELNS1_3gpuE8ELNS1_3repE0EEENS1_30default_config_static_selectorELNS0_4arch9wavefront6targetE0EEEvS10_, .Lfunc_end454-_ZN7rocprim17ROCPRIM_400000_NS6detail17trampoline_kernelINS0_14default_configENS1_21merge_config_selectorINS0_5tupleIJssEEENS0_10empty_typeEEEZNS1_10merge_implIS3_NS0_12zip_iteratorINS5_IJN6thrust23THRUST_200600_302600_NS6detail15normal_iteratorINSC_10device_ptrIKsEEEESI_EEEEESK_NSA_INS5_IJNSE_INSF_IsEEEESM_EEEEEPS7_SP_SP_NSC_11hip_rocprim7__merge17predicate_wrapperIssNSC_7greaterIsEEEEEE10hipError_tPvRmT0_T1_T2_T3_T4_T5_mmT6_P12ihipStream_tbEUlT_E0_NS1_11comp_targetILNS1_3genE4ELNS1_11target_archE910ELNS1_3gpuE8ELNS1_3repE0EEENS1_30default_config_static_selectorELNS0_4arch9wavefront6targetE0EEEvS10_
                                        ; -- End function
	.set _ZN7rocprim17ROCPRIM_400000_NS6detail17trampoline_kernelINS0_14default_configENS1_21merge_config_selectorINS0_5tupleIJssEEENS0_10empty_typeEEEZNS1_10merge_implIS3_NS0_12zip_iteratorINS5_IJN6thrust23THRUST_200600_302600_NS6detail15normal_iteratorINSC_10device_ptrIKsEEEESI_EEEEESK_NSA_INS5_IJNSE_INSF_IsEEEESM_EEEEEPS7_SP_SP_NSC_11hip_rocprim7__merge17predicate_wrapperIssNSC_7greaterIsEEEEEE10hipError_tPvRmT0_T1_T2_T3_T4_T5_mmT6_P12ihipStream_tbEUlT_E0_NS1_11comp_targetILNS1_3genE4ELNS1_11target_archE910ELNS1_3gpuE8ELNS1_3repE0EEENS1_30default_config_static_selectorELNS0_4arch9wavefront6targetE0EEEvS10_.num_vgpr, 0
	.set _ZN7rocprim17ROCPRIM_400000_NS6detail17trampoline_kernelINS0_14default_configENS1_21merge_config_selectorINS0_5tupleIJssEEENS0_10empty_typeEEEZNS1_10merge_implIS3_NS0_12zip_iteratorINS5_IJN6thrust23THRUST_200600_302600_NS6detail15normal_iteratorINSC_10device_ptrIKsEEEESI_EEEEESK_NSA_INS5_IJNSE_INSF_IsEEEESM_EEEEEPS7_SP_SP_NSC_11hip_rocprim7__merge17predicate_wrapperIssNSC_7greaterIsEEEEEE10hipError_tPvRmT0_T1_T2_T3_T4_T5_mmT6_P12ihipStream_tbEUlT_E0_NS1_11comp_targetILNS1_3genE4ELNS1_11target_archE910ELNS1_3gpuE8ELNS1_3repE0EEENS1_30default_config_static_selectorELNS0_4arch9wavefront6targetE0EEEvS10_.num_agpr, 0
	.set _ZN7rocprim17ROCPRIM_400000_NS6detail17trampoline_kernelINS0_14default_configENS1_21merge_config_selectorINS0_5tupleIJssEEENS0_10empty_typeEEEZNS1_10merge_implIS3_NS0_12zip_iteratorINS5_IJN6thrust23THRUST_200600_302600_NS6detail15normal_iteratorINSC_10device_ptrIKsEEEESI_EEEEESK_NSA_INS5_IJNSE_INSF_IsEEEESM_EEEEEPS7_SP_SP_NSC_11hip_rocprim7__merge17predicate_wrapperIssNSC_7greaterIsEEEEEE10hipError_tPvRmT0_T1_T2_T3_T4_T5_mmT6_P12ihipStream_tbEUlT_E0_NS1_11comp_targetILNS1_3genE4ELNS1_11target_archE910ELNS1_3gpuE8ELNS1_3repE0EEENS1_30default_config_static_selectorELNS0_4arch9wavefront6targetE0EEEvS10_.numbered_sgpr, 0
	.set _ZN7rocprim17ROCPRIM_400000_NS6detail17trampoline_kernelINS0_14default_configENS1_21merge_config_selectorINS0_5tupleIJssEEENS0_10empty_typeEEEZNS1_10merge_implIS3_NS0_12zip_iteratorINS5_IJN6thrust23THRUST_200600_302600_NS6detail15normal_iteratorINSC_10device_ptrIKsEEEESI_EEEEESK_NSA_INS5_IJNSE_INSF_IsEEEESM_EEEEEPS7_SP_SP_NSC_11hip_rocprim7__merge17predicate_wrapperIssNSC_7greaterIsEEEEEE10hipError_tPvRmT0_T1_T2_T3_T4_T5_mmT6_P12ihipStream_tbEUlT_E0_NS1_11comp_targetILNS1_3genE4ELNS1_11target_archE910ELNS1_3gpuE8ELNS1_3repE0EEENS1_30default_config_static_selectorELNS0_4arch9wavefront6targetE0EEEvS10_.num_named_barrier, 0
	.set _ZN7rocprim17ROCPRIM_400000_NS6detail17trampoline_kernelINS0_14default_configENS1_21merge_config_selectorINS0_5tupleIJssEEENS0_10empty_typeEEEZNS1_10merge_implIS3_NS0_12zip_iteratorINS5_IJN6thrust23THRUST_200600_302600_NS6detail15normal_iteratorINSC_10device_ptrIKsEEEESI_EEEEESK_NSA_INS5_IJNSE_INSF_IsEEEESM_EEEEEPS7_SP_SP_NSC_11hip_rocprim7__merge17predicate_wrapperIssNSC_7greaterIsEEEEEE10hipError_tPvRmT0_T1_T2_T3_T4_T5_mmT6_P12ihipStream_tbEUlT_E0_NS1_11comp_targetILNS1_3genE4ELNS1_11target_archE910ELNS1_3gpuE8ELNS1_3repE0EEENS1_30default_config_static_selectorELNS0_4arch9wavefront6targetE0EEEvS10_.private_seg_size, 0
	.set _ZN7rocprim17ROCPRIM_400000_NS6detail17trampoline_kernelINS0_14default_configENS1_21merge_config_selectorINS0_5tupleIJssEEENS0_10empty_typeEEEZNS1_10merge_implIS3_NS0_12zip_iteratorINS5_IJN6thrust23THRUST_200600_302600_NS6detail15normal_iteratorINSC_10device_ptrIKsEEEESI_EEEEESK_NSA_INS5_IJNSE_INSF_IsEEEESM_EEEEEPS7_SP_SP_NSC_11hip_rocprim7__merge17predicate_wrapperIssNSC_7greaterIsEEEEEE10hipError_tPvRmT0_T1_T2_T3_T4_T5_mmT6_P12ihipStream_tbEUlT_E0_NS1_11comp_targetILNS1_3genE4ELNS1_11target_archE910ELNS1_3gpuE8ELNS1_3repE0EEENS1_30default_config_static_selectorELNS0_4arch9wavefront6targetE0EEEvS10_.uses_vcc, 0
	.set _ZN7rocprim17ROCPRIM_400000_NS6detail17trampoline_kernelINS0_14default_configENS1_21merge_config_selectorINS0_5tupleIJssEEENS0_10empty_typeEEEZNS1_10merge_implIS3_NS0_12zip_iteratorINS5_IJN6thrust23THRUST_200600_302600_NS6detail15normal_iteratorINSC_10device_ptrIKsEEEESI_EEEEESK_NSA_INS5_IJNSE_INSF_IsEEEESM_EEEEEPS7_SP_SP_NSC_11hip_rocprim7__merge17predicate_wrapperIssNSC_7greaterIsEEEEEE10hipError_tPvRmT0_T1_T2_T3_T4_T5_mmT6_P12ihipStream_tbEUlT_E0_NS1_11comp_targetILNS1_3genE4ELNS1_11target_archE910ELNS1_3gpuE8ELNS1_3repE0EEENS1_30default_config_static_selectorELNS0_4arch9wavefront6targetE0EEEvS10_.uses_flat_scratch, 0
	.set _ZN7rocprim17ROCPRIM_400000_NS6detail17trampoline_kernelINS0_14default_configENS1_21merge_config_selectorINS0_5tupleIJssEEENS0_10empty_typeEEEZNS1_10merge_implIS3_NS0_12zip_iteratorINS5_IJN6thrust23THRUST_200600_302600_NS6detail15normal_iteratorINSC_10device_ptrIKsEEEESI_EEEEESK_NSA_INS5_IJNSE_INSF_IsEEEESM_EEEEEPS7_SP_SP_NSC_11hip_rocprim7__merge17predicate_wrapperIssNSC_7greaterIsEEEEEE10hipError_tPvRmT0_T1_T2_T3_T4_T5_mmT6_P12ihipStream_tbEUlT_E0_NS1_11comp_targetILNS1_3genE4ELNS1_11target_archE910ELNS1_3gpuE8ELNS1_3repE0EEENS1_30default_config_static_selectorELNS0_4arch9wavefront6targetE0EEEvS10_.has_dyn_sized_stack, 0
	.set _ZN7rocprim17ROCPRIM_400000_NS6detail17trampoline_kernelINS0_14default_configENS1_21merge_config_selectorINS0_5tupleIJssEEENS0_10empty_typeEEEZNS1_10merge_implIS3_NS0_12zip_iteratorINS5_IJN6thrust23THRUST_200600_302600_NS6detail15normal_iteratorINSC_10device_ptrIKsEEEESI_EEEEESK_NSA_INS5_IJNSE_INSF_IsEEEESM_EEEEEPS7_SP_SP_NSC_11hip_rocprim7__merge17predicate_wrapperIssNSC_7greaterIsEEEEEE10hipError_tPvRmT0_T1_T2_T3_T4_T5_mmT6_P12ihipStream_tbEUlT_E0_NS1_11comp_targetILNS1_3genE4ELNS1_11target_archE910ELNS1_3gpuE8ELNS1_3repE0EEENS1_30default_config_static_selectorELNS0_4arch9wavefront6targetE0EEEvS10_.has_recursion, 0
	.set _ZN7rocprim17ROCPRIM_400000_NS6detail17trampoline_kernelINS0_14default_configENS1_21merge_config_selectorINS0_5tupleIJssEEENS0_10empty_typeEEEZNS1_10merge_implIS3_NS0_12zip_iteratorINS5_IJN6thrust23THRUST_200600_302600_NS6detail15normal_iteratorINSC_10device_ptrIKsEEEESI_EEEEESK_NSA_INS5_IJNSE_INSF_IsEEEESM_EEEEEPS7_SP_SP_NSC_11hip_rocprim7__merge17predicate_wrapperIssNSC_7greaterIsEEEEEE10hipError_tPvRmT0_T1_T2_T3_T4_T5_mmT6_P12ihipStream_tbEUlT_E0_NS1_11comp_targetILNS1_3genE4ELNS1_11target_archE910ELNS1_3gpuE8ELNS1_3repE0EEENS1_30default_config_static_selectorELNS0_4arch9wavefront6targetE0EEEvS10_.has_indirect_call, 0
	.section	.AMDGPU.csdata,"",@progbits
; Kernel info:
; codeLenInByte = 0
; TotalNumSgprs: 0
; NumVgprs: 0
; ScratchSize: 0
; MemoryBound: 0
; FloatMode: 240
; IeeeMode: 1
; LDSByteSize: 0 bytes/workgroup (compile time only)
; SGPRBlocks: 0
; VGPRBlocks: 0
; NumSGPRsForWavesPerEU: 1
; NumVGPRsForWavesPerEU: 1
; NamedBarCnt: 0
; Occupancy: 16
; WaveLimiterHint : 0
; COMPUTE_PGM_RSRC2:SCRATCH_EN: 0
; COMPUTE_PGM_RSRC2:USER_SGPR: 2
; COMPUTE_PGM_RSRC2:TRAP_HANDLER: 0
; COMPUTE_PGM_RSRC2:TGID_X_EN: 1
; COMPUTE_PGM_RSRC2:TGID_Y_EN: 0
; COMPUTE_PGM_RSRC2:TGID_Z_EN: 0
; COMPUTE_PGM_RSRC2:TIDIG_COMP_CNT: 0
	.section	.text._ZN7rocprim17ROCPRIM_400000_NS6detail17trampoline_kernelINS0_14default_configENS1_21merge_config_selectorINS0_5tupleIJssEEENS0_10empty_typeEEEZNS1_10merge_implIS3_NS0_12zip_iteratorINS5_IJN6thrust23THRUST_200600_302600_NS6detail15normal_iteratorINSC_10device_ptrIKsEEEESI_EEEEESK_NSA_INS5_IJNSE_INSF_IsEEEESM_EEEEEPS7_SP_SP_NSC_11hip_rocprim7__merge17predicate_wrapperIssNSC_7greaterIsEEEEEE10hipError_tPvRmT0_T1_T2_T3_T4_T5_mmT6_P12ihipStream_tbEUlT_E0_NS1_11comp_targetILNS1_3genE3ELNS1_11target_archE908ELNS1_3gpuE7ELNS1_3repE0EEENS1_30default_config_static_selectorELNS0_4arch9wavefront6targetE0EEEvS10_,"axG",@progbits,_ZN7rocprim17ROCPRIM_400000_NS6detail17trampoline_kernelINS0_14default_configENS1_21merge_config_selectorINS0_5tupleIJssEEENS0_10empty_typeEEEZNS1_10merge_implIS3_NS0_12zip_iteratorINS5_IJN6thrust23THRUST_200600_302600_NS6detail15normal_iteratorINSC_10device_ptrIKsEEEESI_EEEEESK_NSA_INS5_IJNSE_INSF_IsEEEESM_EEEEEPS7_SP_SP_NSC_11hip_rocprim7__merge17predicate_wrapperIssNSC_7greaterIsEEEEEE10hipError_tPvRmT0_T1_T2_T3_T4_T5_mmT6_P12ihipStream_tbEUlT_E0_NS1_11comp_targetILNS1_3genE3ELNS1_11target_archE908ELNS1_3gpuE7ELNS1_3repE0EEENS1_30default_config_static_selectorELNS0_4arch9wavefront6targetE0EEEvS10_,comdat
	.protected	_ZN7rocprim17ROCPRIM_400000_NS6detail17trampoline_kernelINS0_14default_configENS1_21merge_config_selectorINS0_5tupleIJssEEENS0_10empty_typeEEEZNS1_10merge_implIS3_NS0_12zip_iteratorINS5_IJN6thrust23THRUST_200600_302600_NS6detail15normal_iteratorINSC_10device_ptrIKsEEEESI_EEEEESK_NSA_INS5_IJNSE_INSF_IsEEEESM_EEEEEPS7_SP_SP_NSC_11hip_rocprim7__merge17predicate_wrapperIssNSC_7greaterIsEEEEEE10hipError_tPvRmT0_T1_T2_T3_T4_T5_mmT6_P12ihipStream_tbEUlT_E0_NS1_11comp_targetILNS1_3genE3ELNS1_11target_archE908ELNS1_3gpuE7ELNS1_3repE0EEENS1_30default_config_static_selectorELNS0_4arch9wavefront6targetE0EEEvS10_ ; -- Begin function _ZN7rocprim17ROCPRIM_400000_NS6detail17trampoline_kernelINS0_14default_configENS1_21merge_config_selectorINS0_5tupleIJssEEENS0_10empty_typeEEEZNS1_10merge_implIS3_NS0_12zip_iteratorINS5_IJN6thrust23THRUST_200600_302600_NS6detail15normal_iteratorINSC_10device_ptrIKsEEEESI_EEEEESK_NSA_INS5_IJNSE_INSF_IsEEEESM_EEEEEPS7_SP_SP_NSC_11hip_rocprim7__merge17predicate_wrapperIssNSC_7greaterIsEEEEEE10hipError_tPvRmT0_T1_T2_T3_T4_T5_mmT6_P12ihipStream_tbEUlT_E0_NS1_11comp_targetILNS1_3genE3ELNS1_11target_archE908ELNS1_3gpuE7ELNS1_3repE0EEENS1_30default_config_static_selectorELNS0_4arch9wavefront6targetE0EEEvS10_
	.globl	_ZN7rocprim17ROCPRIM_400000_NS6detail17trampoline_kernelINS0_14default_configENS1_21merge_config_selectorINS0_5tupleIJssEEENS0_10empty_typeEEEZNS1_10merge_implIS3_NS0_12zip_iteratorINS5_IJN6thrust23THRUST_200600_302600_NS6detail15normal_iteratorINSC_10device_ptrIKsEEEESI_EEEEESK_NSA_INS5_IJNSE_INSF_IsEEEESM_EEEEEPS7_SP_SP_NSC_11hip_rocprim7__merge17predicate_wrapperIssNSC_7greaterIsEEEEEE10hipError_tPvRmT0_T1_T2_T3_T4_T5_mmT6_P12ihipStream_tbEUlT_E0_NS1_11comp_targetILNS1_3genE3ELNS1_11target_archE908ELNS1_3gpuE7ELNS1_3repE0EEENS1_30default_config_static_selectorELNS0_4arch9wavefront6targetE0EEEvS10_
	.p2align	8
	.type	_ZN7rocprim17ROCPRIM_400000_NS6detail17trampoline_kernelINS0_14default_configENS1_21merge_config_selectorINS0_5tupleIJssEEENS0_10empty_typeEEEZNS1_10merge_implIS3_NS0_12zip_iteratorINS5_IJN6thrust23THRUST_200600_302600_NS6detail15normal_iteratorINSC_10device_ptrIKsEEEESI_EEEEESK_NSA_INS5_IJNSE_INSF_IsEEEESM_EEEEEPS7_SP_SP_NSC_11hip_rocprim7__merge17predicate_wrapperIssNSC_7greaterIsEEEEEE10hipError_tPvRmT0_T1_T2_T3_T4_T5_mmT6_P12ihipStream_tbEUlT_E0_NS1_11comp_targetILNS1_3genE3ELNS1_11target_archE908ELNS1_3gpuE7ELNS1_3repE0EEENS1_30default_config_static_selectorELNS0_4arch9wavefront6targetE0EEEvS10_,@function
_ZN7rocprim17ROCPRIM_400000_NS6detail17trampoline_kernelINS0_14default_configENS1_21merge_config_selectorINS0_5tupleIJssEEENS0_10empty_typeEEEZNS1_10merge_implIS3_NS0_12zip_iteratorINS5_IJN6thrust23THRUST_200600_302600_NS6detail15normal_iteratorINSC_10device_ptrIKsEEEESI_EEEEESK_NSA_INS5_IJNSE_INSF_IsEEEESM_EEEEEPS7_SP_SP_NSC_11hip_rocprim7__merge17predicate_wrapperIssNSC_7greaterIsEEEEEE10hipError_tPvRmT0_T1_T2_T3_T4_T5_mmT6_P12ihipStream_tbEUlT_E0_NS1_11comp_targetILNS1_3genE3ELNS1_11target_archE908ELNS1_3gpuE7ELNS1_3repE0EEENS1_30default_config_static_selectorELNS0_4arch9wavefront6targetE0EEEvS10_: ; @_ZN7rocprim17ROCPRIM_400000_NS6detail17trampoline_kernelINS0_14default_configENS1_21merge_config_selectorINS0_5tupleIJssEEENS0_10empty_typeEEEZNS1_10merge_implIS3_NS0_12zip_iteratorINS5_IJN6thrust23THRUST_200600_302600_NS6detail15normal_iteratorINSC_10device_ptrIKsEEEESI_EEEEESK_NSA_INS5_IJNSE_INSF_IsEEEESM_EEEEEPS7_SP_SP_NSC_11hip_rocprim7__merge17predicate_wrapperIssNSC_7greaterIsEEEEEE10hipError_tPvRmT0_T1_T2_T3_T4_T5_mmT6_P12ihipStream_tbEUlT_E0_NS1_11comp_targetILNS1_3genE3ELNS1_11target_archE908ELNS1_3gpuE7ELNS1_3repE0EEENS1_30default_config_static_selectorELNS0_4arch9wavefront6targetE0EEEvS10_
; %bb.0:
	.section	.rodata,"a",@progbits
	.p2align	6, 0x0
	.amdhsa_kernel _ZN7rocprim17ROCPRIM_400000_NS6detail17trampoline_kernelINS0_14default_configENS1_21merge_config_selectorINS0_5tupleIJssEEENS0_10empty_typeEEEZNS1_10merge_implIS3_NS0_12zip_iteratorINS5_IJN6thrust23THRUST_200600_302600_NS6detail15normal_iteratorINSC_10device_ptrIKsEEEESI_EEEEESK_NSA_INS5_IJNSE_INSF_IsEEEESM_EEEEEPS7_SP_SP_NSC_11hip_rocprim7__merge17predicate_wrapperIssNSC_7greaterIsEEEEEE10hipError_tPvRmT0_T1_T2_T3_T4_T5_mmT6_P12ihipStream_tbEUlT_E0_NS1_11comp_targetILNS1_3genE3ELNS1_11target_archE908ELNS1_3gpuE7ELNS1_3repE0EEENS1_30default_config_static_selectorELNS0_4arch9wavefront6targetE0EEEvS10_
		.amdhsa_group_segment_fixed_size 0
		.amdhsa_private_segment_fixed_size 0
		.amdhsa_kernarg_size 112
		.amdhsa_user_sgpr_count 2
		.amdhsa_user_sgpr_dispatch_ptr 0
		.amdhsa_user_sgpr_queue_ptr 0
		.amdhsa_user_sgpr_kernarg_segment_ptr 1
		.amdhsa_user_sgpr_dispatch_id 0
		.amdhsa_user_sgpr_kernarg_preload_length 0
		.amdhsa_user_sgpr_kernarg_preload_offset 0
		.amdhsa_user_sgpr_private_segment_size 0
		.amdhsa_wavefront_size32 1
		.amdhsa_uses_dynamic_stack 0
		.amdhsa_enable_private_segment 0
		.amdhsa_system_sgpr_workgroup_id_x 1
		.amdhsa_system_sgpr_workgroup_id_y 0
		.amdhsa_system_sgpr_workgroup_id_z 0
		.amdhsa_system_sgpr_workgroup_info 0
		.amdhsa_system_vgpr_workitem_id 0
		.amdhsa_next_free_vgpr 1
		.amdhsa_next_free_sgpr 1
		.amdhsa_named_barrier_count 0
		.amdhsa_reserve_vcc 0
		.amdhsa_float_round_mode_32 0
		.amdhsa_float_round_mode_16_64 0
		.amdhsa_float_denorm_mode_32 3
		.amdhsa_float_denorm_mode_16_64 3
		.amdhsa_fp16_overflow 0
		.amdhsa_memory_ordered 1
		.amdhsa_forward_progress 1
		.amdhsa_inst_pref_size 0
		.amdhsa_round_robin_scheduling 0
		.amdhsa_exception_fp_ieee_invalid_op 0
		.amdhsa_exception_fp_denorm_src 0
		.amdhsa_exception_fp_ieee_div_zero 0
		.amdhsa_exception_fp_ieee_overflow 0
		.amdhsa_exception_fp_ieee_underflow 0
		.amdhsa_exception_fp_ieee_inexact 0
		.amdhsa_exception_int_div_zero 0
	.end_amdhsa_kernel
	.section	.text._ZN7rocprim17ROCPRIM_400000_NS6detail17trampoline_kernelINS0_14default_configENS1_21merge_config_selectorINS0_5tupleIJssEEENS0_10empty_typeEEEZNS1_10merge_implIS3_NS0_12zip_iteratorINS5_IJN6thrust23THRUST_200600_302600_NS6detail15normal_iteratorINSC_10device_ptrIKsEEEESI_EEEEESK_NSA_INS5_IJNSE_INSF_IsEEEESM_EEEEEPS7_SP_SP_NSC_11hip_rocprim7__merge17predicate_wrapperIssNSC_7greaterIsEEEEEE10hipError_tPvRmT0_T1_T2_T3_T4_T5_mmT6_P12ihipStream_tbEUlT_E0_NS1_11comp_targetILNS1_3genE3ELNS1_11target_archE908ELNS1_3gpuE7ELNS1_3repE0EEENS1_30default_config_static_selectorELNS0_4arch9wavefront6targetE0EEEvS10_,"axG",@progbits,_ZN7rocprim17ROCPRIM_400000_NS6detail17trampoline_kernelINS0_14default_configENS1_21merge_config_selectorINS0_5tupleIJssEEENS0_10empty_typeEEEZNS1_10merge_implIS3_NS0_12zip_iteratorINS5_IJN6thrust23THRUST_200600_302600_NS6detail15normal_iteratorINSC_10device_ptrIKsEEEESI_EEEEESK_NSA_INS5_IJNSE_INSF_IsEEEESM_EEEEEPS7_SP_SP_NSC_11hip_rocprim7__merge17predicate_wrapperIssNSC_7greaterIsEEEEEE10hipError_tPvRmT0_T1_T2_T3_T4_T5_mmT6_P12ihipStream_tbEUlT_E0_NS1_11comp_targetILNS1_3genE3ELNS1_11target_archE908ELNS1_3gpuE7ELNS1_3repE0EEENS1_30default_config_static_selectorELNS0_4arch9wavefront6targetE0EEEvS10_,comdat
.Lfunc_end455:
	.size	_ZN7rocprim17ROCPRIM_400000_NS6detail17trampoline_kernelINS0_14default_configENS1_21merge_config_selectorINS0_5tupleIJssEEENS0_10empty_typeEEEZNS1_10merge_implIS3_NS0_12zip_iteratorINS5_IJN6thrust23THRUST_200600_302600_NS6detail15normal_iteratorINSC_10device_ptrIKsEEEESI_EEEEESK_NSA_INS5_IJNSE_INSF_IsEEEESM_EEEEEPS7_SP_SP_NSC_11hip_rocprim7__merge17predicate_wrapperIssNSC_7greaterIsEEEEEE10hipError_tPvRmT0_T1_T2_T3_T4_T5_mmT6_P12ihipStream_tbEUlT_E0_NS1_11comp_targetILNS1_3genE3ELNS1_11target_archE908ELNS1_3gpuE7ELNS1_3repE0EEENS1_30default_config_static_selectorELNS0_4arch9wavefront6targetE0EEEvS10_, .Lfunc_end455-_ZN7rocprim17ROCPRIM_400000_NS6detail17trampoline_kernelINS0_14default_configENS1_21merge_config_selectorINS0_5tupleIJssEEENS0_10empty_typeEEEZNS1_10merge_implIS3_NS0_12zip_iteratorINS5_IJN6thrust23THRUST_200600_302600_NS6detail15normal_iteratorINSC_10device_ptrIKsEEEESI_EEEEESK_NSA_INS5_IJNSE_INSF_IsEEEESM_EEEEEPS7_SP_SP_NSC_11hip_rocprim7__merge17predicate_wrapperIssNSC_7greaterIsEEEEEE10hipError_tPvRmT0_T1_T2_T3_T4_T5_mmT6_P12ihipStream_tbEUlT_E0_NS1_11comp_targetILNS1_3genE3ELNS1_11target_archE908ELNS1_3gpuE7ELNS1_3repE0EEENS1_30default_config_static_selectorELNS0_4arch9wavefront6targetE0EEEvS10_
                                        ; -- End function
	.set _ZN7rocprim17ROCPRIM_400000_NS6detail17trampoline_kernelINS0_14default_configENS1_21merge_config_selectorINS0_5tupleIJssEEENS0_10empty_typeEEEZNS1_10merge_implIS3_NS0_12zip_iteratorINS5_IJN6thrust23THRUST_200600_302600_NS6detail15normal_iteratorINSC_10device_ptrIKsEEEESI_EEEEESK_NSA_INS5_IJNSE_INSF_IsEEEESM_EEEEEPS7_SP_SP_NSC_11hip_rocprim7__merge17predicate_wrapperIssNSC_7greaterIsEEEEEE10hipError_tPvRmT0_T1_T2_T3_T4_T5_mmT6_P12ihipStream_tbEUlT_E0_NS1_11comp_targetILNS1_3genE3ELNS1_11target_archE908ELNS1_3gpuE7ELNS1_3repE0EEENS1_30default_config_static_selectorELNS0_4arch9wavefront6targetE0EEEvS10_.num_vgpr, 0
	.set _ZN7rocprim17ROCPRIM_400000_NS6detail17trampoline_kernelINS0_14default_configENS1_21merge_config_selectorINS0_5tupleIJssEEENS0_10empty_typeEEEZNS1_10merge_implIS3_NS0_12zip_iteratorINS5_IJN6thrust23THRUST_200600_302600_NS6detail15normal_iteratorINSC_10device_ptrIKsEEEESI_EEEEESK_NSA_INS5_IJNSE_INSF_IsEEEESM_EEEEEPS7_SP_SP_NSC_11hip_rocprim7__merge17predicate_wrapperIssNSC_7greaterIsEEEEEE10hipError_tPvRmT0_T1_T2_T3_T4_T5_mmT6_P12ihipStream_tbEUlT_E0_NS1_11comp_targetILNS1_3genE3ELNS1_11target_archE908ELNS1_3gpuE7ELNS1_3repE0EEENS1_30default_config_static_selectorELNS0_4arch9wavefront6targetE0EEEvS10_.num_agpr, 0
	.set _ZN7rocprim17ROCPRIM_400000_NS6detail17trampoline_kernelINS0_14default_configENS1_21merge_config_selectorINS0_5tupleIJssEEENS0_10empty_typeEEEZNS1_10merge_implIS3_NS0_12zip_iteratorINS5_IJN6thrust23THRUST_200600_302600_NS6detail15normal_iteratorINSC_10device_ptrIKsEEEESI_EEEEESK_NSA_INS5_IJNSE_INSF_IsEEEESM_EEEEEPS7_SP_SP_NSC_11hip_rocprim7__merge17predicate_wrapperIssNSC_7greaterIsEEEEEE10hipError_tPvRmT0_T1_T2_T3_T4_T5_mmT6_P12ihipStream_tbEUlT_E0_NS1_11comp_targetILNS1_3genE3ELNS1_11target_archE908ELNS1_3gpuE7ELNS1_3repE0EEENS1_30default_config_static_selectorELNS0_4arch9wavefront6targetE0EEEvS10_.numbered_sgpr, 0
	.set _ZN7rocprim17ROCPRIM_400000_NS6detail17trampoline_kernelINS0_14default_configENS1_21merge_config_selectorINS0_5tupleIJssEEENS0_10empty_typeEEEZNS1_10merge_implIS3_NS0_12zip_iteratorINS5_IJN6thrust23THRUST_200600_302600_NS6detail15normal_iteratorINSC_10device_ptrIKsEEEESI_EEEEESK_NSA_INS5_IJNSE_INSF_IsEEEESM_EEEEEPS7_SP_SP_NSC_11hip_rocprim7__merge17predicate_wrapperIssNSC_7greaterIsEEEEEE10hipError_tPvRmT0_T1_T2_T3_T4_T5_mmT6_P12ihipStream_tbEUlT_E0_NS1_11comp_targetILNS1_3genE3ELNS1_11target_archE908ELNS1_3gpuE7ELNS1_3repE0EEENS1_30default_config_static_selectorELNS0_4arch9wavefront6targetE0EEEvS10_.num_named_barrier, 0
	.set _ZN7rocprim17ROCPRIM_400000_NS6detail17trampoline_kernelINS0_14default_configENS1_21merge_config_selectorINS0_5tupleIJssEEENS0_10empty_typeEEEZNS1_10merge_implIS3_NS0_12zip_iteratorINS5_IJN6thrust23THRUST_200600_302600_NS6detail15normal_iteratorINSC_10device_ptrIKsEEEESI_EEEEESK_NSA_INS5_IJNSE_INSF_IsEEEESM_EEEEEPS7_SP_SP_NSC_11hip_rocprim7__merge17predicate_wrapperIssNSC_7greaterIsEEEEEE10hipError_tPvRmT0_T1_T2_T3_T4_T5_mmT6_P12ihipStream_tbEUlT_E0_NS1_11comp_targetILNS1_3genE3ELNS1_11target_archE908ELNS1_3gpuE7ELNS1_3repE0EEENS1_30default_config_static_selectorELNS0_4arch9wavefront6targetE0EEEvS10_.private_seg_size, 0
	.set _ZN7rocprim17ROCPRIM_400000_NS6detail17trampoline_kernelINS0_14default_configENS1_21merge_config_selectorINS0_5tupleIJssEEENS0_10empty_typeEEEZNS1_10merge_implIS3_NS0_12zip_iteratorINS5_IJN6thrust23THRUST_200600_302600_NS6detail15normal_iteratorINSC_10device_ptrIKsEEEESI_EEEEESK_NSA_INS5_IJNSE_INSF_IsEEEESM_EEEEEPS7_SP_SP_NSC_11hip_rocprim7__merge17predicate_wrapperIssNSC_7greaterIsEEEEEE10hipError_tPvRmT0_T1_T2_T3_T4_T5_mmT6_P12ihipStream_tbEUlT_E0_NS1_11comp_targetILNS1_3genE3ELNS1_11target_archE908ELNS1_3gpuE7ELNS1_3repE0EEENS1_30default_config_static_selectorELNS0_4arch9wavefront6targetE0EEEvS10_.uses_vcc, 0
	.set _ZN7rocprim17ROCPRIM_400000_NS6detail17trampoline_kernelINS0_14default_configENS1_21merge_config_selectorINS0_5tupleIJssEEENS0_10empty_typeEEEZNS1_10merge_implIS3_NS0_12zip_iteratorINS5_IJN6thrust23THRUST_200600_302600_NS6detail15normal_iteratorINSC_10device_ptrIKsEEEESI_EEEEESK_NSA_INS5_IJNSE_INSF_IsEEEESM_EEEEEPS7_SP_SP_NSC_11hip_rocprim7__merge17predicate_wrapperIssNSC_7greaterIsEEEEEE10hipError_tPvRmT0_T1_T2_T3_T4_T5_mmT6_P12ihipStream_tbEUlT_E0_NS1_11comp_targetILNS1_3genE3ELNS1_11target_archE908ELNS1_3gpuE7ELNS1_3repE0EEENS1_30default_config_static_selectorELNS0_4arch9wavefront6targetE0EEEvS10_.uses_flat_scratch, 0
	.set _ZN7rocprim17ROCPRIM_400000_NS6detail17trampoline_kernelINS0_14default_configENS1_21merge_config_selectorINS0_5tupleIJssEEENS0_10empty_typeEEEZNS1_10merge_implIS3_NS0_12zip_iteratorINS5_IJN6thrust23THRUST_200600_302600_NS6detail15normal_iteratorINSC_10device_ptrIKsEEEESI_EEEEESK_NSA_INS5_IJNSE_INSF_IsEEEESM_EEEEEPS7_SP_SP_NSC_11hip_rocprim7__merge17predicate_wrapperIssNSC_7greaterIsEEEEEE10hipError_tPvRmT0_T1_T2_T3_T4_T5_mmT6_P12ihipStream_tbEUlT_E0_NS1_11comp_targetILNS1_3genE3ELNS1_11target_archE908ELNS1_3gpuE7ELNS1_3repE0EEENS1_30default_config_static_selectorELNS0_4arch9wavefront6targetE0EEEvS10_.has_dyn_sized_stack, 0
	.set _ZN7rocprim17ROCPRIM_400000_NS6detail17trampoline_kernelINS0_14default_configENS1_21merge_config_selectorINS0_5tupleIJssEEENS0_10empty_typeEEEZNS1_10merge_implIS3_NS0_12zip_iteratorINS5_IJN6thrust23THRUST_200600_302600_NS6detail15normal_iteratorINSC_10device_ptrIKsEEEESI_EEEEESK_NSA_INS5_IJNSE_INSF_IsEEEESM_EEEEEPS7_SP_SP_NSC_11hip_rocprim7__merge17predicate_wrapperIssNSC_7greaterIsEEEEEE10hipError_tPvRmT0_T1_T2_T3_T4_T5_mmT6_P12ihipStream_tbEUlT_E0_NS1_11comp_targetILNS1_3genE3ELNS1_11target_archE908ELNS1_3gpuE7ELNS1_3repE0EEENS1_30default_config_static_selectorELNS0_4arch9wavefront6targetE0EEEvS10_.has_recursion, 0
	.set _ZN7rocprim17ROCPRIM_400000_NS6detail17trampoline_kernelINS0_14default_configENS1_21merge_config_selectorINS0_5tupleIJssEEENS0_10empty_typeEEEZNS1_10merge_implIS3_NS0_12zip_iteratorINS5_IJN6thrust23THRUST_200600_302600_NS6detail15normal_iteratorINSC_10device_ptrIKsEEEESI_EEEEESK_NSA_INS5_IJNSE_INSF_IsEEEESM_EEEEEPS7_SP_SP_NSC_11hip_rocprim7__merge17predicate_wrapperIssNSC_7greaterIsEEEEEE10hipError_tPvRmT0_T1_T2_T3_T4_T5_mmT6_P12ihipStream_tbEUlT_E0_NS1_11comp_targetILNS1_3genE3ELNS1_11target_archE908ELNS1_3gpuE7ELNS1_3repE0EEENS1_30default_config_static_selectorELNS0_4arch9wavefront6targetE0EEEvS10_.has_indirect_call, 0
	.section	.AMDGPU.csdata,"",@progbits
; Kernel info:
; codeLenInByte = 0
; TotalNumSgprs: 0
; NumVgprs: 0
; ScratchSize: 0
; MemoryBound: 0
; FloatMode: 240
; IeeeMode: 1
; LDSByteSize: 0 bytes/workgroup (compile time only)
; SGPRBlocks: 0
; VGPRBlocks: 0
; NumSGPRsForWavesPerEU: 1
; NumVGPRsForWavesPerEU: 1
; NamedBarCnt: 0
; Occupancy: 16
; WaveLimiterHint : 0
; COMPUTE_PGM_RSRC2:SCRATCH_EN: 0
; COMPUTE_PGM_RSRC2:USER_SGPR: 2
; COMPUTE_PGM_RSRC2:TRAP_HANDLER: 0
; COMPUTE_PGM_RSRC2:TGID_X_EN: 1
; COMPUTE_PGM_RSRC2:TGID_Y_EN: 0
; COMPUTE_PGM_RSRC2:TGID_Z_EN: 0
; COMPUTE_PGM_RSRC2:TIDIG_COMP_CNT: 0
	.section	.text._ZN7rocprim17ROCPRIM_400000_NS6detail17trampoline_kernelINS0_14default_configENS1_21merge_config_selectorINS0_5tupleIJssEEENS0_10empty_typeEEEZNS1_10merge_implIS3_NS0_12zip_iteratorINS5_IJN6thrust23THRUST_200600_302600_NS6detail15normal_iteratorINSC_10device_ptrIKsEEEESI_EEEEESK_NSA_INS5_IJNSE_INSF_IsEEEESM_EEEEEPS7_SP_SP_NSC_11hip_rocprim7__merge17predicate_wrapperIssNSC_7greaterIsEEEEEE10hipError_tPvRmT0_T1_T2_T3_T4_T5_mmT6_P12ihipStream_tbEUlT_E0_NS1_11comp_targetILNS1_3genE2ELNS1_11target_archE906ELNS1_3gpuE6ELNS1_3repE0EEENS1_30default_config_static_selectorELNS0_4arch9wavefront6targetE0EEEvS10_,"axG",@progbits,_ZN7rocprim17ROCPRIM_400000_NS6detail17trampoline_kernelINS0_14default_configENS1_21merge_config_selectorINS0_5tupleIJssEEENS0_10empty_typeEEEZNS1_10merge_implIS3_NS0_12zip_iteratorINS5_IJN6thrust23THRUST_200600_302600_NS6detail15normal_iteratorINSC_10device_ptrIKsEEEESI_EEEEESK_NSA_INS5_IJNSE_INSF_IsEEEESM_EEEEEPS7_SP_SP_NSC_11hip_rocprim7__merge17predicate_wrapperIssNSC_7greaterIsEEEEEE10hipError_tPvRmT0_T1_T2_T3_T4_T5_mmT6_P12ihipStream_tbEUlT_E0_NS1_11comp_targetILNS1_3genE2ELNS1_11target_archE906ELNS1_3gpuE6ELNS1_3repE0EEENS1_30default_config_static_selectorELNS0_4arch9wavefront6targetE0EEEvS10_,comdat
	.protected	_ZN7rocprim17ROCPRIM_400000_NS6detail17trampoline_kernelINS0_14default_configENS1_21merge_config_selectorINS0_5tupleIJssEEENS0_10empty_typeEEEZNS1_10merge_implIS3_NS0_12zip_iteratorINS5_IJN6thrust23THRUST_200600_302600_NS6detail15normal_iteratorINSC_10device_ptrIKsEEEESI_EEEEESK_NSA_INS5_IJNSE_INSF_IsEEEESM_EEEEEPS7_SP_SP_NSC_11hip_rocprim7__merge17predicate_wrapperIssNSC_7greaterIsEEEEEE10hipError_tPvRmT0_T1_T2_T3_T4_T5_mmT6_P12ihipStream_tbEUlT_E0_NS1_11comp_targetILNS1_3genE2ELNS1_11target_archE906ELNS1_3gpuE6ELNS1_3repE0EEENS1_30default_config_static_selectorELNS0_4arch9wavefront6targetE0EEEvS10_ ; -- Begin function _ZN7rocprim17ROCPRIM_400000_NS6detail17trampoline_kernelINS0_14default_configENS1_21merge_config_selectorINS0_5tupleIJssEEENS0_10empty_typeEEEZNS1_10merge_implIS3_NS0_12zip_iteratorINS5_IJN6thrust23THRUST_200600_302600_NS6detail15normal_iteratorINSC_10device_ptrIKsEEEESI_EEEEESK_NSA_INS5_IJNSE_INSF_IsEEEESM_EEEEEPS7_SP_SP_NSC_11hip_rocprim7__merge17predicate_wrapperIssNSC_7greaterIsEEEEEE10hipError_tPvRmT0_T1_T2_T3_T4_T5_mmT6_P12ihipStream_tbEUlT_E0_NS1_11comp_targetILNS1_3genE2ELNS1_11target_archE906ELNS1_3gpuE6ELNS1_3repE0EEENS1_30default_config_static_selectorELNS0_4arch9wavefront6targetE0EEEvS10_
	.globl	_ZN7rocprim17ROCPRIM_400000_NS6detail17trampoline_kernelINS0_14default_configENS1_21merge_config_selectorINS0_5tupleIJssEEENS0_10empty_typeEEEZNS1_10merge_implIS3_NS0_12zip_iteratorINS5_IJN6thrust23THRUST_200600_302600_NS6detail15normal_iteratorINSC_10device_ptrIKsEEEESI_EEEEESK_NSA_INS5_IJNSE_INSF_IsEEEESM_EEEEEPS7_SP_SP_NSC_11hip_rocprim7__merge17predicate_wrapperIssNSC_7greaterIsEEEEEE10hipError_tPvRmT0_T1_T2_T3_T4_T5_mmT6_P12ihipStream_tbEUlT_E0_NS1_11comp_targetILNS1_3genE2ELNS1_11target_archE906ELNS1_3gpuE6ELNS1_3repE0EEENS1_30default_config_static_selectorELNS0_4arch9wavefront6targetE0EEEvS10_
	.p2align	8
	.type	_ZN7rocprim17ROCPRIM_400000_NS6detail17trampoline_kernelINS0_14default_configENS1_21merge_config_selectorINS0_5tupleIJssEEENS0_10empty_typeEEEZNS1_10merge_implIS3_NS0_12zip_iteratorINS5_IJN6thrust23THRUST_200600_302600_NS6detail15normal_iteratorINSC_10device_ptrIKsEEEESI_EEEEESK_NSA_INS5_IJNSE_INSF_IsEEEESM_EEEEEPS7_SP_SP_NSC_11hip_rocprim7__merge17predicate_wrapperIssNSC_7greaterIsEEEEEE10hipError_tPvRmT0_T1_T2_T3_T4_T5_mmT6_P12ihipStream_tbEUlT_E0_NS1_11comp_targetILNS1_3genE2ELNS1_11target_archE906ELNS1_3gpuE6ELNS1_3repE0EEENS1_30default_config_static_selectorELNS0_4arch9wavefront6targetE0EEEvS10_,@function
_ZN7rocprim17ROCPRIM_400000_NS6detail17trampoline_kernelINS0_14default_configENS1_21merge_config_selectorINS0_5tupleIJssEEENS0_10empty_typeEEEZNS1_10merge_implIS3_NS0_12zip_iteratorINS5_IJN6thrust23THRUST_200600_302600_NS6detail15normal_iteratorINSC_10device_ptrIKsEEEESI_EEEEESK_NSA_INS5_IJNSE_INSF_IsEEEESM_EEEEEPS7_SP_SP_NSC_11hip_rocprim7__merge17predicate_wrapperIssNSC_7greaterIsEEEEEE10hipError_tPvRmT0_T1_T2_T3_T4_T5_mmT6_P12ihipStream_tbEUlT_E0_NS1_11comp_targetILNS1_3genE2ELNS1_11target_archE906ELNS1_3gpuE6ELNS1_3repE0EEENS1_30default_config_static_selectorELNS0_4arch9wavefront6targetE0EEEvS10_: ; @_ZN7rocprim17ROCPRIM_400000_NS6detail17trampoline_kernelINS0_14default_configENS1_21merge_config_selectorINS0_5tupleIJssEEENS0_10empty_typeEEEZNS1_10merge_implIS3_NS0_12zip_iteratorINS5_IJN6thrust23THRUST_200600_302600_NS6detail15normal_iteratorINSC_10device_ptrIKsEEEESI_EEEEESK_NSA_INS5_IJNSE_INSF_IsEEEESM_EEEEEPS7_SP_SP_NSC_11hip_rocprim7__merge17predicate_wrapperIssNSC_7greaterIsEEEEEE10hipError_tPvRmT0_T1_T2_T3_T4_T5_mmT6_P12ihipStream_tbEUlT_E0_NS1_11comp_targetILNS1_3genE2ELNS1_11target_archE906ELNS1_3gpuE6ELNS1_3repE0EEENS1_30default_config_static_selectorELNS0_4arch9wavefront6targetE0EEEvS10_
; %bb.0:
	.section	.rodata,"a",@progbits
	.p2align	6, 0x0
	.amdhsa_kernel _ZN7rocprim17ROCPRIM_400000_NS6detail17trampoline_kernelINS0_14default_configENS1_21merge_config_selectorINS0_5tupleIJssEEENS0_10empty_typeEEEZNS1_10merge_implIS3_NS0_12zip_iteratorINS5_IJN6thrust23THRUST_200600_302600_NS6detail15normal_iteratorINSC_10device_ptrIKsEEEESI_EEEEESK_NSA_INS5_IJNSE_INSF_IsEEEESM_EEEEEPS7_SP_SP_NSC_11hip_rocprim7__merge17predicate_wrapperIssNSC_7greaterIsEEEEEE10hipError_tPvRmT0_T1_T2_T3_T4_T5_mmT6_P12ihipStream_tbEUlT_E0_NS1_11comp_targetILNS1_3genE2ELNS1_11target_archE906ELNS1_3gpuE6ELNS1_3repE0EEENS1_30default_config_static_selectorELNS0_4arch9wavefront6targetE0EEEvS10_
		.amdhsa_group_segment_fixed_size 0
		.amdhsa_private_segment_fixed_size 0
		.amdhsa_kernarg_size 112
		.amdhsa_user_sgpr_count 2
		.amdhsa_user_sgpr_dispatch_ptr 0
		.amdhsa_user_sgpr_queue_ptr 0
		.amdhsa_user_sgpr_kernarg_segment_ptr 1
		.amdhsa_user_sgpr_dispatch_id 0
		.amdhsa_user_sgpr_kernarg_preload_length 0
		.amdhsa_user_sgpr_kernarg_preload_offset 0
		.amdhsa_user_sgpr_private_segment_size 0
		.amdhsa_wavefront_size32 1
		.amdhsa_uses_dynamic_stack 0
		.amdhsa_enable_private_segment 0
		.amdhsa_system_sgpr_workgroup_id_x 1
		.amdhsa_system_sgpr_workgroup_id_y 0
		.amdhsa_system_sgpr_workgroup_id_z 0
		.amdhsa_system_sgpr_workgroup_info 0
		.amdhsa_system_vgpr_workitem_id 0
		.amdhsa_next_free_vgpr 1
		.amdhsa_next_free_sgpr 1
		.amdhsa_named_barrier_count 0
		.amdhsa_reserve_vcc 0
		.amdhsa_float_round_mode_32 0
		.amdhsa_float_round_mode_16_64 0
		.amdhsa_float_denorm_mode_32 3
		.amdhsa_float_denorm_mode_16_64 3
		.amdhsa_fp16_overflow 0
		.amdhsa_memory_ordered 1
		.amdhsa_forward_progress 1
		.amdhsa_inst_pref_size 0
		.amdhsa_round_robin_scheduling 0
		.amdhsa_exception_fp_ieee_invalid_op 0
		.amdhsa_exception_fp_denorm_src 0
		.amdhsa_exception_fp_ieee_div_zero 0
		.amdhsa_exception_fp_ieee_overflow 0
		.amdhsa_exception_fp_ieee_underflow 0
		.amdhsa_exception_fp_ieee_inexact 0
		.amdhsa_exception_int_div_zero 0
	.end_amdhsa_kernel
	.section	.text._ZN7rocprim17ROCPRIM_400000_NS6detail17trampoline_kernelINS0_14default_configENS1_21merge_config_selectorINS0_5tupleIJssEEENS0_10empty_typeEEEZNS1_10merge_implIS3_NS0_12zip_iteratorINS5_IJN6thrust23THRUST_200600_302600_NS6detail15normal_iteratorINSC_10device_ptrIKsEEEESI_EEEEESK_NSA_INS5_IJNSE_INSF_IsEEEESM_EEEEEPS7_SP_SP_NSC_11hip_rocprim7__merge17predicate_wrapperIssNSC_7greaterIsEEEEEE10hipError_tPvRmT0_T1_T2_T3_T4_T5_mmT6_P12ihipStream_tbEUlT_E0_NS1_11comp_targetILNS1_3genE2ELNS1_11target_archE906ELNS1_3gpuE6ELNS1_3repE0EEENS1_30default_config_static_selectorELNS0_4arch9wavefront6targetE0EEEvS10_,"axG",@progbits,_ZN7rocprim17ROCPRIM_400000_NS6detail17trampoline_kernelINS0_14default_configENS1_21merge_config_selectorINS0_5tupleIJssEEENS0_10empty_typeEEEZNS1_10merge_implIS3_NS0_12zip_iteratorINS5_IJN6thrust23THRUST_200600_302600_NS6detail15normal_iteratorINSC_10device_ptrIKsEEEESI_EEEEESK_NSA_INS5_IJNSE_INSF_IsEEEESM_EEEEEPS7_SP_SP_NSC_11hip_rocprim7__merge17predicate_wrapperIssNSC_7greaterIsEEEEEE10hipError_tPvRmT0_T1_T2_T3_T4_T5_mmT6_P12ihipStream_tbEUlT_E0_NS1_11comp_targetILNS1_3genE2ELNS1_11target_archE906ELNS1_3gpuE6ELNS1_3repE0EEENS1_30default_config_static_selectorELNS0_4arch9wavefront6targetE0EEEvS10_,comdat
.Lfunc_end456:
	.size	_ZN7rocprim17ROCPRIM_400000_NS6detail17trampoline_kernelINS0_14default_configENS1_21merge_config_selectorINS0_5tupleIJssEEENS0_10empty_typeEEEZNS1_10merge_implIS3_NS0_12zip_iteratorINS5_IJN6thrust23THRUST_200600_302600_NS6detail15normal_iteratorINSC_10device_ptrIKsEEEESI_EEEEESK_NSA_INS5_IJNSE_INSF_IsEEEESM_EEEEEPS7_SP_SP_NSC_11hip_rocprim7__merge17predicate_wrapperIssNSC_7greaterIsEEEEEE10hipError_tPvRmT0_T1_T2_T3_T4_T5_mmT6_P12ihipStream_tbEUlT_E0_NS1_11comp_targetILNS1_3genE2ELNS1_11target_archE906ELNS1_3gpuE6ELNS1_3repE0EEENS1_30default_config_static_selectorELNS0_4arch9wavefront6targetE0EEEvS10_, .Lfunc_end456-_ZN7rocprim17ROCPRIM_400000_NS6detail17trampoline_kernelINS0_14default_configENS1_21merge_config_selectorINS0_5tupleIJssEEENS0_10empty_typeEEEZNS1_10merge_implIS3_NS0_12zip_iteratorINS5_IJN6thrust23THRUST_200600_302600_NS6detail15normal_iteratorINSC_10device_ptrIKsEEEESI_EEEEESK_NSA_INS5_IJNSE_INSF_IsEEEESM_EEEEEPS7_SP_SP_NSC_11hip_rocprim7__merge17predicate_wrapperIssNSC_7greaterIsEEEEEE10hipError_tPvRmT0_T1_T2_T3_T4_T5_mmT6_P12ihipStream_tbEUlT_E0_NS1_11comp_targetILNS1_3genE2ELNS1_11target_archE906ELNS1_3gpuE6ELNS1_3repE0EEENS1_30default_config_static_selectorELNS0_4arch9wavefront6targetE0EEEvS10_
                                        ; -- End function
	.set _ZN7rocprim17ROCPRIM_400000_NS6detail17trampoline_kernelINS0_14default_configENS1_21merge_config_selectorINS0_5tupleIJssEEENS0_10empty_typeEEEZNS1_10merge_implIS3_NS0_12zip_iteratorINS5_IJN6thrust23THRUST_200600_302600_NS6detail15normal_iteratorINSC_10device_ptrIKsEEEESI_EEEEESK_NSA_INS5_IJNSE_INSF_IsEEEESM_EEEEEPS7_SP_SP_NSC_11hip_rocprim7__merge17predicate_wrapperIssNSC_7greaterIsEEEEEE10hipError_tPvRmT0_T1_T2_T3_T4_T5_mmT6_P12ihipStream_tbEUlT_E0_NS1_11comp_targetILNS1_3genE2ELNS1_11target_archE906ELNS1_3gpuE6ELNS1_3repE0EEENS1_30default_config_static_selectorELNS0_4arch9wavefront6targetE0EEEvS10_.num_vgpr, 0
	.set _ZN7rocprim17ROCPRIM_400000_NS6detail17trampoline_kernelINS0_14default_configENS1_21merge_config_selectorINS0_5tupleIJssEEENS0_10empty_typeEEEZNS1_10merge_implIS3_NS0_12zip_iteratorINS5_IJN6thrust23THRUST_200600_302600_NS6detail15normal_iteratorINSC_10device_ptrIKsEEEESI_EEEEESK_NSA_INS5_IJNSE_INSF_IsEEEESM_EEEEEPS7_SP_SP_NSC_11hip_rocprim7__merge17predicate_wrapperIssNSC_7greaterIsEEEEEE10hipError_tPvRmT0_T1_T2_T3_T4_T5_mmT6_P12ihipStream_tbEUlT_E0_NS1_11comp_targetILNS1_3genE2ELNS1_11target_archE906ELNS1_3gpuE6ELNS1_3repE0EEENS1_30default_config_static_selectorELNS0_4arch9wavefront6targetE0EEEvS10_.num_agpr, 0
	.set _ZN7rocprim17ROCPRIM_400000_NS6detail17trampoline_kernelINS0_14default_configENS1_21merge_config_selectorINS0_5tupleIJssEEENS0_10empty_typeEEEZNS1_10merge_implIS3_NS0_12zip_iteratorINS5_IJN6thrust23THRUST_200600_302600_NS6detail15normal_iteratorINSC_10device_ptrIKsEEEESI_EEEEESK_NSA_INS5_IJNSE_INSF_IsEEEESM_EEEEEPS7_SP_SP_NSC_11hip_rocprim7__merge17predicate_wrapperIssNSC_7greaterIsEEEEEE10hipError_tPvRmT0_T1_T2_T3_T4_T5_mmT6_P12ihipStream_tbEUlT_E0_NS1_11comp_targetILNS1_3genE2ELNS1_11target_archE906ELNS1_3gpuE6ELNS1_3repE0EEENS1_30default_config_static_selectorELNS0_4arch9wavefront6targetE0EEEvS10_.numbered_sgpr, 0
	.set _ZN7rocprim17ROCPRIM_400000_NS6detail17trampoline_kernelINS0_14default_configENS1_21merge_config_selectorINS0_5tupleIJssEEENS0_10empty_typeEEEZNS1_10merge_implIS3_NS0_12zip_iteratorINS5_IJN6thrust23THRUST_200600_302600_NS6detail15normal_iteratorINSC_10device_ptrIKsEEEESI_EEEEESK_NSA_INS5_IJNSE_INSF_IsEEEESM_EEEEEPS7_SP_SP_NSC_11hip_rocprim7__merge17predicate_wrapperIssNSC_7greaterIsEEEEEE10hipError_tPvRmT0_T1_T2_T3_T4_T5_mmT6_P12ihipStream_tbEUlT_E0_NS1_11comp_targetILNS1_3genE2ELNS1_11target_archE906ELNS1_3gpuE6ELNS1_3repE0EEENS1_30default_config_static_selectorELNS0_4arch9wavefront6targetE0EEEvS10_.num_named_barrier, 0
	.set _ZN7rocprim17ROCPRIM_400000_NS6detail17trampoline_kernelINS0_14default_configENS1_21merge_config_selectorINS0_5tupleIJssEEENS0_10empty_typeEEEZNS1_10merge_implIS3_NS0_12zip_iteratorINS5_IJN6thrust23THRUST_200600_302600_NS6detail15normal_iteratorINSC_10device_ptrIKsEEEESI_EEEEESK_NSA_INS5_IJNSE_INSF_IsEEEESM_EEEEEPS7_SP_SP_NSC_11hip_rocprim7__merge17predicate_wrapperIssNSC_7greaterIsEEEEEE10hipError_tPvRmT0_T1_T2_T3_T4_T5_mmT6_P12ihipStream_tbEUlT_E0_NS1_11comp_targetILNS1_3genE2ELNS1_11target_archE906ELNS1_3gpuE6ELNS1_3repE0EEENS1_30default_config_static_selectorELNS0_4arch9wavefront6targetE0EEEvS10_.private_seg_size, 0
	.set _ZN7rocprim17ROCPRIM_400000_NS6detail17trampoline_kernelINS0_14default_configENS1_21merge_config_selectorINS0_5tupleIJssEEENS0_10empty_typeEEEZNS1_10merge_implIS3_NS0_12zip_iteratorINS5_IJN6thrust23THRUST_200600_302600_NS6detail15normal_iteratorINSC_10device_ptrIKsEEEESI_EEEEESK_NSA_INS5_IJNSE_INSF_IsEEEESM_EEEEEPS7_SP_SP_NSC_11hip_rocprim7__merge17predicate_wrapperIssNSC_7greaterIsEEEEEE10hipError_tPvRmT0_T1_T2_T3_T4_T5_mmT6_P12ihipStream_tbEUlT_E0_NS1_11comp_targetILNS1_3genE2ELNS1_11target_archE906ELNS1_3gpuE6ELNS1_3repE0EEENS1_30default_config_static_selectorELNS0_4arch9wavefront6targetE0EEEvS10_.uses_vcc, 0
	.set _ZN7rocprim17ROCPRIM_400000_NS6detail17trampoline_kernelINS0_14default_configENS1_21merge_config_selectorINS0_5tupleIJssEEENS0_10empty_typeEEEZNS1_10merge_implIS3_NS0_12zip_iteratorINS5_IJN6thrust23THRUST_200600_302600_NS6detail15normal_iteratorINSC_10device_ptrIKsEEEESI_EEEEESK_NSA_INS5_IJNSE_INSF_IsEEEESM_EEEEEPS7_SP_SP_NSC_11hip_rocprim7__merge17predicate_wrapperIssNSC_7greaterIsEEEEEE10hipError_tPvRmT0_T1_T2_T3_T4_T5_mmT6_P12ihipStream_tbEUlT_E0_NS1_11comp_targetILNS1_3genE2ELNS1_11target_archE906ELNS1_3gpuE6ELNS1_3repE0EEENS1_30default_config_static_selectorELNS0_4arch9wavefront6targetE0EEEvS10_.uses_flat_scratch, 0
	.set _ZN7rocprim17ROCPRIM_400000_NS6detail17trampoline_kernelINS0_14default_configENS1_21merge_config_selectorINS0_5tupleIJssEEENS0_10empty_typeEEEZNS1_10merge_implIS3_NS0_12zip_iteratorINS5_IJN6thrust23THRUST_200600_302600_NS6detail15normal_iteratorINSC_10device_ptrIKsEEEESI_EEEEESK_NSA_INS5_IJNSE_INSF_IsEEEESM_EEEEEPS7_SP_SP_NSC_11hip_rocprim7__merge17predicate_wrapperIssNSC_7greaterIsEEEEEE10hipError_tPvRmT0_T1_T2_T3_T4_T5_mmT6_P12ihipStream_tbEUlT_E0_NS1_11comp_targetILNS1_3genE2ELNS1_11target_archE906ELNS1_3gpuE6ELNS1_3repE0EEENS1_30default_config_static_selectorELNS0_4arch9wavefront6targetE0EEEvS10_.has_dyn_sized_stack, 0
	.set _ZN7rocprim17ROCPRIM_400000_NS6detail17trampoline_kernelINS0_14default_configENS1_21merge_config_selectorINS0_5tupleIJssEEENS0_10empty_typeEEEZNS1_10merge_implIS3_NS0_12zip_iteratorINS5_IJN6thrust23THRUST_200600_302600_NS6detail15normal_iteratorINSC_10device_ptrIKsEEEESI_EEEEESK_NSA_INS5_IJNSE_INSF_IsEEEESM_EEEEEPS7_SP_SP_NSC_11hip_rocprim7__merge17predicate_wrapperIssNSC_7greaterIsEEEEEE10hipError_tPvRmT0_T1_T2_T3_T4_T5_mmT6_P12ihipStream_tbEUlT_E0_NS1_11comp_targetILNS1_3genE2ELNS1_11target_archE906ELNS1_3gpuE6ELNS1_3repE0EEENS1_30default_config_static_selectorELNS0_4arch9wavefront6targetE0EEEvS10_.has_recursion, 0
	.set _ZN7rocprim17ROCPRIM_400000_NS6detail17trampoline_kernelINS0_14default_configENS1_21merge_config_selectorINS0_5tupleIJssEEENS0_10empty_typeEEEZNS1_10merge_implIS3_NS0_12zip_iteratorINS5_IJN6thrust23THRUST_200600_302600_NS6detail15normal_iteratorINSC_10device_ptrIKsEEEESI_EEEEESK_NSA_INS5_IJNSE_INSF_IsEEEESM_EEEEEPS7_SP_SP_NSC_11hip_rocprim7__merge17predicate_wrapperIssNSC_7greaterIsEEEEEE10hipError_tPvRmT0_T1_T2_T3_T4_T5_mmT6_P12ihipStream_tbEUlT_E0_NS1_11comp_targetILNS1_3genE2ELNS1_11target_archE906ELNS1_3gpuE6ELNS1_3repE0EEENS1_30default_config_static_selectorELNS0_4arch9wavefront6targetE0EEEvS10_.has_indirect_call, 0
	.section	.AMDGPU.csdata,"",@progbits
; Kernel info:
; codeLenInByte = 0
; TotalNumSgprs: 0
; NumVgprs: 0
; ScratchSize: 0
; MemoryBound: 0
; FloatMode: 240
; IeeeMode: 1
; LDSByteSize: 0 bytes/workgroup (compile time only)
; SGPRBlocks: 0
; VGPRBlocks: 0
; NumSGPRsForWavesPerEU: 1
; NumVGPRsForWavesPerEU: 1
; NamedBarCnt: 0
; Occupancy: 16
; WaveLimiterHint : 0
; COMPUTE_PGM_RSRC2:SCRATCH_EN: 0
; COMPUTE_PGM_RSRC2:USER_SGPR: 2
; COMPUTE_PGM_RSRC2:TRAP_HANDLER: 0
; COMPUTE_PGM_RSRC2:TGID_X_EN: 1
; COMPUTE_PGM_RSRC2:TGID_Y_EN: 0
; COMPUTE_PGM_RSRC2:TGID_Z_EN: 0
; COMPUTE_PGM_RSRC2:TIDIG_COMP_CNT: 0
	.section	.text._ZN7rocprim17ROCPRIM_400000_NS6detail17trampoline_kernelINS0_14default_configENS1_21merge_config_selectorINS0_5tupleIJssEEENS0_10empty_typeEEEZNS1_10merge_implIS3_NS0_12zip_iteratorINS5_IJN6thrust23THRUST_200600_302600_NS6detail15normal_iteratorINSC_10device_ptrIKsEEEESI_EEEEESK_NSA_INS5_IJNSE_INSF_IsEEEESM_EEEEEPS7_SP_SP_NSC_11hip_rocprim7__merge17predicate_wrapperIssNSC_7greaterIsEEEEEE10hipError_tPvRmT0_T1_T2_T3_T4_T5_mmT6_P12ihipStream_tbEUlT_E0_NS1_11comp_targetILNS1_3genE10ELNS1_11target_archE1201ELNS1_3gpuE5ELNS1_3repE0EEENS1_30default_config_static_selectorELNS0_4arch9wavefront6targetE0EEEvS10_,"axG",@progbits,_ZN7rocprim17ROCPRIM_400000_NS6detail17trampoline_kernelINS0_14default_configENS1_21merge_config_selectorINS0_5tupleIJssEEENS0_10empty_typeEEEZNS1_10merge_implIS3_NS0_12zip_iteratorINS5_IJN6thrust23THRUST_200600_302600_NS6detail15normal_iteratorINSC_10device_ptrIKsEEEESI_EEEEESK_NSA_INS5_IJNSE_INSF_IsEEEESM_EEEEEPS7_SP_SP_NSC_11hip_rocprim7__merge17predicate_wrapperIssNSC_7greaterIsEEEEEE10hipError_tPvRmT0_T1_T2_T3_T4_T5_mmT6_P12ihipStream_tbEUlT_E0_NS1_11comp_targetILNS1_3genE10ELNS1_11target_archE1201ELNS1_3gpuE5ELNS1_3repE0EEENS1_30default_config_static_selectorELNS0_4arch9wavefront6targetE0EEEvS10_,comdat
	.protected	_ZN7rocprim17ROCPRIM_400000_NS6detail17trampoline_kernelINS0_14default_configENS1_21merge_config_selectorINS0_5tupleIJssEEENS0_10empty_typeEEEZNS1_10merge_implIS3_NS0_12zip_iteratorINS5_IJN6thrust23THRUST_200600_302600_NS6detail15normal_iteratorINSC_10device_ptrIKsEEEESI_EEEEESK_NSA_INS5_IJNSE_INSF_IsEEEESM_EEEEEPS7_SP_SP_NSC_11hip_rocprim7__merge17predicate_wrapperIssNSC_7greaterIsEEEEEE10hipError_tPvRmT0_T1_T2_T3_T4_T5_mmT6_P12ihipStream_tbEUlT_E0_NS1_11comp_targetILNS1_3genE10ELNS1_11target_archE1201ELNS1_3gpuE5ELNS1_3repE0EEENS1_30default_config_static_selectorELNS0_4arch9wavefront6targetE0EEEvS10_ ; -- Begin function _ZN7rocprim17ROCPRIM_400000_NS6detail17trampoline_kernelINS0_14default_configENS1_21merge_config_selectorINS0_5tupleIJssEEENS0_10empty_typeEEEZNS1_10merge_implIS3_NS0_12zip_iteratorINS5_IJN6thrust23THRUST_200600_302600_NS6detail15normal_iteratorINSC_10device_ptrIKsEEEESI_EEEEESK_NSA_INS5_IJNSE_INSF_IsEEEESM_EEEEEPS7_SP_SP_NSC_11hip_rocprim7__merge17predicate_wrapperIssNSC_7greaterIsEEEEEE10hipError_tPvRmT0_T1_T2_T3_T4_T5_mmT6_P12ihipStream_tbEUlT_E0_NS1_11comp_targetILNS1_3genE10ELNS1_11target_archE1201ELNS1_3gpuE5ELNS1_3repE0EEENS1_30default_config_static_selectorELNS0_4arch9wavefront6targetE0EEEvS10_
	.globl	_ZN7rocprim17ROCPRIM_400000_NS6detail17trampoline_kernelINS0_14default_configENS1_21merge_config_selectorINS0_5tupleIJssEEENS0_10empty_typeEEEZNS1_10merge_implIS3_NS0_12zip_iteratorINS5_IJN6thrust23THRUST_200600_302600_NS6detail15normal_iteratorINSC_10device_ptrIKsEEEESI_EEEEESK_NSA_INS5_IJNSE_INSF_IsEEEESM_EEEEEPS7_SP_SP_NSC_11hip_rocprim7__merge17predicate_wrapperIssNSC_7greaterIsEEEEEE10hipError_tPvRmT0_T1_T2_T3_T4_T5_mmT6_P12ihipStream_tbEUlT_E0_NS1_11comp_targetILNS1_3genE10ELNS1_11target_archE1201ELNS1_3gpuE5ELNS1_3repE0EEENS1_30default_config_static_selectorELNS0_4arch9wavefront6targetE0EEEvS10_
	.p2align	8
	.type	_ZN7rocprim17ROCPRIM_400000_NS6detail17trampoline_kernelINS0_14default_configENS1_21merge_config_selectorINS0_5tupleIJssEEENS0_10empty_typeEEEZNS1_10merge_implIS3_NS0_12zip_iteratorINS5_IJN6thrust23THRUST_200600_302600_NS6detail15normal_iteratorINSC_10device_ptrIKsEEEESI_EEEEESK_NSA_INS5_IJNSE_INSF_IsEEEESM_EEEEEPS7_SP_SP_NSC_11hip_rocprim7__merge17predicate_wrapperIssNSC_7greaterIsEEEEEE10hipError_tPvRmT0_T1_T2_T3_T4_T5_mmT6_P12ihipStream_tbEUlT_E0_NS1_11comp_targetILNS1_3genE10ELNS1_11target_archE1201ELNS1_3gpuE5ELNS1_3repE0EEENS1_30default_config_static_selectorELNS0_4arch9wavefront6targetE0EEEvS10_,@function
_ZN7rocprim17ROCPRIM_400000_NS6detail17trampoline_kernelINS0_14default_configENS1_21merge_config_selectorINS0_5tupleIJssEEENS0_10empty_typeEEEZNS1_10merge_implIS3_NS0_12zip_iteratorINS5_IJN6thrust23THRUST_200600_302600_NS6detail15normal_iteratorINSC_10device_ptrIKsEEEESI_EEEEESK_NSA_INS5_IJNSE_INSF_IsEEEESM_EEEEEPS7_SP_SP_NSC_11hip_rocprim7__merge17predicate_wrapperIssNSC_7greaterIsEEEEEE10hipError_tPvRmT0_T1_T2_T3_T4_T5_mmT6_P12ihipStream_tbEUlT_E0_NS1_11comp_targetILNS1_3genE10ELNS1_11target_archE1201ELNS1_3gpuE5ELNS1_3repE0EEENS1_30default_config_static_selectorELNS0_4arch9wavefront6targetE0EEEvS10_: ; @_ZN7rocprim17ROCPRIM_400000_NS6detail17trampoline_kernelINS0_14default_configENS1_21merge_config_selectorINS0_5tupleIJssEEENS0_10empty_typeEEEZNS1_10merge_implIS3_NS0_12zip_iteratorINS5_IJN6thrust23THRUST_200600_302600_NS6detail15normal_iteratorINSC_10device_ptrIKsEEEESI_EEEEESK_NSA_INS5_IJNSE_INSF_IsEEEESM_EEEEEPS7_SP_SP_NSC_11hip_rocprim7__merge17predicate_wrapperIssNSC_7greaterIsEEEEEE10hipError_tPvRmT0_T1_T2_T3_T4_T5_mmT6_P12ihipStream_tbEUlT_E0_NS1_11comp_targetILNS1_3genE10ELNS1_11target_archE1201ELNS1_3gpuE5ELNS1_3repE0EEENS1_30default_config_static_selectorELNS0_4arch9wavefront6targetE0EEEvS10_
; %bb.0:
	.section	.rodata,"a",@progbits
	.p2align	6, 0x0
	.amdhsa_kernel _ZN7rocprim17ROCPRIM_400000_NS6detail17trampoline_kernelINS0_14default_configENS1_21merge_config_selectorINS0_5tupleIJssEEENS0_10empty_typeEEEZNS1_10merge_implIS3_NS0_12zip_iteratorINS5_IJN6thrust23THRUST_200600_302600_NS6detail15normal_iteratorINSC_10device_ptrIKsEEEESI_EEEEESK_NSA_INS5_IJNSE_INSF_IsEEEESM_EEEEEPS7_SP_SP_NSC_11hip_rocprim7__merge17predicate_wrapperIssNSC_7greaterIsEEEEEE10hipError_tPvRmT0_T1_T2_T3_T4_T5_mmT6_P12ihipStream_tbEUlT_E0_NS1_11comp_targetILNS1_3genE10ELNS1_11target_archE1201ELNS1_3gpuE5ELNS1_3repE0EEENS1_30default_config_static_selectorELNS0_4arch9wavefront6targetE0EEEvS10_
		.amdhsa_group_segment_fixed_size 0
		.amdhsa_private_segment_fixed_size 0
		.amdhsa_kernarg_size 112
		.amdhsa_user_sgpr_count 2
		.amdhsa_user_sgpr_dispatch_ptr 0
		.amdhsa_user_sgpr_queue_ptr 0
		.amdhsa_user_sgpr_kernarg_segment_ptr 1
		.amdhsa_user_sgpr_dispatch_id 0
		.amdhsa_user_sgpr_kernarg_preload_length 0
		.amdhsa_user_sgpr_kernarg_preload_offset 0
		.amdhsa_user_sgpr_private_segment_size 0
		.amdhsa_wavefront_size32 1
		.amdhsa_uses_dynamic_stack 0
		.amdhsa_enable_private_segment 0
		.amdhsa_system_sgpr_workgroup_id_x 1
		.amdhsa_system_sgpr_workgroup_id_y 0
		.amdhsa_system_sgpr_workgroup_id_z 0
		.amdhsa_system_sgpr_workgroup_info 0
		.amdhsa_system_vgpr_workitem_id 0
		.amdhsa_next_free_vgpr 1
		.amdhsa_next_free_sgpr 1
		.amdhsa_named_barrier_count 0
		.amdhsa_reserve_vcc 0
		.amdhsa_float_round_mode_32 0
		.amdhsa_float_round_mode_16_64 0
		.amdhsa_float_denorm_mode_32 3
		.amdhsa_float_denorm_mode_16_64 3
		.amdhsa_fp16_overflow 0
		.amdhsa_memory_ordered 1
		.amdhsa_forward_progress 1
		.amdhsa_inst_pref_size 0
		.amdhsa_round_robin_scheduling 0
		.amdhsa_exception_fp_ieee_invalid_op 0
		.amdhsa_exception_fp_denorm_src 0
		.amdhsa_exception_fp_ieee_div_zero 0
		.amdhsa_exception_fp_ieee_overflow 0
		.amdhsa_exception_fp_ieee_underflow 0
		.amdhsa_exception_fp_ieee_inexact 0
		.amdhsa_exception_int_div_zero 0
	.end_amdhsa_kernel
	.section	.text._ZN7rocprim17ROCPRIM_400000_NS6detail17trampoline_kernelINS0_14default_configENS1_21merge_config_selectorINS0_5tupleIJssEEENS0_10empty_typeEEEZNS1_10merge_implIS3_NS0_12zip_iteratorINS5_IJN6thrust23THRUST_200600_302600_NS6detail15normal_iteratorINSC_10device_ptrIKsEEEESI_EEEEESK_NSA_INS5_IJNSE_INSF_IsEEEESM_EEEEEPS7_SP_SP_NSC_11hip_rocprim7__merge17predicate_wrapperIssNSC_7greaterIsEEEEEE10hipError_tPvRmT0_T1_T2_T3_T4_T5_mmT6_P12ihipStream_tbEUlT_E0_NS1_11comp_targetILNS1_3genE10ELNS1_11target_archE1201ELNS1_3gpuE5ELNS1_3repE0EEENS1_30default_config_static_selectorELNS0_4arch9wavefront6targetE0EEEvS10_,"axG",@progbits,_ZN7rocprim17ROCPRIM_400000_NS6detail17trampoline_kernelINS0_14default_configENS1_21merge_config_selectorINS0_5tupleIJssEEENS0_10empty_typeEEEZNS1_10merge_implIS3_NS0_12zip_iteratorINS5_IJN6thrust23THRUST_200600_302600_NS6detail15normal_iteratorINSC_10device_ptrIKsEEEESI_EEEEESK_NSA_INS5_IJNSE_INSF_IsEEEESM_EEEEEPS7_SP_SP_NSC_11hip_rocprim7__merge17predicate_wrapperIssNSC_7greaterIsEEEEEE10hipError_tPvRmT0_T1_T2_T3_T4_T5_mmT6_P12ihipStream_tbEUlT_E0_NS1_11comp_targetILNS1_3genE10ELNS1_11target_archE1201ELNS1_3gpuE5ELNS1_3repE0EEENS1_30default_config_static_selectorELNS0_4arch9wavefront6targetE0EEEvS10_,comdat
.Lfunc_end457:
	.size	_ZN7rocprim17ROCPRIM_400000_NS6detail17trampoline_kernelINS0_14default_configENS1_21merge_config_selectorINS0_5tupleIJssEEENS0_10empty_typeEEEZNS1_10merge_implIS3_NS0_12zip_iteratorINS5_IJN6thrust23THRUST_200600_302600_NS6detail15normal_iteratorINSC_10device_ptrIKsEEEESI_EEEEESK_NSA_INS5_IJNSE_INSF_IsEEEESM_EEEEEPS7_SP_SP_NSC_11hip_rocprim7__merge17predicate_wrapperIssNSC_7greaterIsEEEEEE10hipError_tPvRmT0_T1_T2_T3_T4_T5_mmT6_P12ihipStream_tbEUlT_E0_NS1_11comp_targetILNS1_3genE10ELNS1_11target_archE1201ELNS1_3gpuE5ELNS1_3repE0EEENS1_30default_config_static_selectorELNS0_4arch9wavefront6targetE0EEEvS10_, .Lfunc_end457-_ZN7rocprim17ROCPRIM_400000_NS6detail17trampoline_kernelINS0_14default_configENS1_21merge_config_selectorINS0_5tupleIJssEEENS0_10empty_typeEEEZNS1_10merge_implIS3_NS0_12zip_iteratorINS5_IJN6thrust23THRUST_200600_302600_NS6detail15normal_iteratorINSC_10device_ptrIKsEEEESI_EEEEESK_NSA_INS5_IJNSE_INSF_IsEEEESM_EEEEEPS7_SP_SP_NSC_11hip_rocprim7__merge17predicate_wrapperIssNSC_7greaterIsEEEEEE10hipError_tPvRmT0_T1_T2_T3_T4_T5_mmT6_P12ihipStream_tbEUlT_E0_NS1_11comp_targetILNS1_3genE10ELNS1_11target_archE1201ELNS1_3gpuE5ELNS1_3repE0EEENS1_30default_config_static_selectorELNS0_4arch9wavefront6targetE0EEEvS10_
                                        ; -- End function
	.set _ZN7rocprim17ROCPRIM_400000_NS6detail17trampoline_kernelINS0_14default_configENS1_21merge_config_selectorINS0_5tupleIJssEEENS0_10empty_typeEEEZNS1_10merge_implIS3_NS0_12zip_iteratorINS5_IJN6thrust23THRUST_200600_302600_NS6detail15normal_iteratorINSC_10device_ptrIKsEEEESI_EEEEESK_NSA_INS5_IJNSE_INSF_IsEEEESM_EEEEEPS7_SP_SP_NSC_11hip_rocprim7__merge17predicate_wrapperIssNSC_7greaterIsEEEEEE10hipError_tPvRmT0_T1_T2_T3_T4_T5_mmT6_P12ihipStream_tbEUlT_E0_NS1_11comp_targetILNS1_3genE10ELNS1_11target_archE1201ELNS1_3gpuE5ELNS1_3repE0EEENS1_30default_config_static_selectorELNS0_4arch9wavefront6targetE0EEEvS10_.num_vgpr, 0
	.set _ZN7rocprim17ROCPRIM_400000_NS6detail17trampoline_kernelINS0_14default_configENS1_21merge_config_selectorINS0_5tupleIJssEEENS0_10empty_typeEEEZNS1_10merge_implIS3_NS0_12zip_iteratorINS5_IJN6thrust23THRUST_200600_302600_NS6detail15normal_iteratorINSC_10device_ptrIKsEEEESI_EEEEESK_NSA_INS5_IJNSE_INSF_IsEEEESM_EEEEEPS7_SP_SP_NSC_11hip_rocprim7__merge17predicate_wrapperIssNSC_7greaterIsEEEEEE10hipError_tPvRmT0_T1_T2_T3_T4_T5_mmT6_P12ihipStream_tbEUlT_E0_NS1_11comp_targetILNS1_3genE10ELNS1_11target_archE1201ELNS1_3gpuE5ELNS1_3repE0EEENS1_30default_config_static_selectorELNS0_4arch9wavefront6targetE0EEEvS10_.num_agpr, 0
	.set _ZN7rocprim17ROCPRIM_400000_NS6detail17trampoline_kernelINS0_14default_configENS1_21merge_config_selectorINS0_5tupleIJssEEENS0_10empty_typeEEEZNS1_10merge_implIS3_NS0_12zip_iteratorINS5_IJN6thrust23THRUST_200600_302600_NS6detail15normal_iteratorINSC_10device_ptrIKsEEEESI_EEEEESK_NSA_INS5_IJNSE_INSF_IsEEEESM_EEEEEPS7_SP_SP_NSC_11hip_rocprim7__merge17predicate_wrapperIssNSC_7greaterIsEEEEEE10hipError_tPvRmT0_T1_T2_T3_T4_T5_mmT6_P12ihipStream_tbEUlT_E0_NS1_11comp_targetILNS1_3genE10ELNS1_11target_archE1201ELNS1_3gpuE5ELNS1_3repE0EEENS1_30default_config_static_selectorELNS0_4arch9wavefront6targetE0EEEvS10_.numbered_sgpr, 0
	.set _ZN7rocprim17ROCPRIM_400000_NS6detail17trampoline_kernelINS0_14default_configENS1_21merge_config_selectorINS0_5tupleIJssEEENS0_10empty_typeEEEZNS1_10merge_implIS3_NS0_12zip_iteratorINS5_IJN6thrust23THRUST_200600_302600_NS6detail15normal_iteratorINSC_10device_ptrIKsEEEESI_EEEEESK_NSA_INS5_IJNSE_INSF_IsEEEESM_EEEEEPS7_SP_SP_NSC_11hip_rocprim7__merge17predicate_wrapperIssNSC_7greaterIsEEEEEE10hipError_tPvRmT0_T1_T2_T3_T4_T5_mmT6_P12ihipStream_tbEUlT_E0_NS1_11comp_targetILNS1_3genE10ELNS1_11target_archE1201ELNS1_3gpuE5ELNS1_3repE0EEENS1_30default_config_static_selectorELNS0_4arch9wavefront6targetE0EEEvS10_.num_named_barrier, 0
	.set _ZN7rocprim17ROCPRIM_400000_NS6detail17trampoline_kernelINS0_14default_configENS1_21merge_config_selectorINS0_5tupleIJssEEENS0_10empty_typeEEEZNS1_10merge_implIS3_NS0_12zip_iteratorINS5_IJN6thrust23THRUST_200600_302600_NS6detail15normal_iteratorINSC_10device_ptrIKsEEEESI_EEEEESK_NSA_INS5_IJNSE_INSF_IsEEEESM_EEEEEPS7_SP_SP_NSC_11hip_rocprim7__merge17predicate_wrapperIssNSC_7greaterIsEEEEEE10hipError_tPvRmT0_T1_T2_T3_T4_T5_mmT6_P12ihipStream_tbEUlT_E0_NS1_11comp_targetILNS1_3genE10ELNS1_11target_archE1201ELNS1_3gpuE5ELNS1_3repE0EEENS1_30default_config_static_selectorELNS0_4arch9wavefront6targetE0EEEvS10_.private_seg_size, 0
	.set _ZN7rocprim17ROCPRIM_400000_NS6detail17trampoline_kernelINS0_14default_configENS1_21merge_config_selectorINS0_5tupleIJssEEENS0_10empty_typeEEEZNS1_10merge_implIS3_NS0_12zip_iteratorINS5_IJN6thrust23THRUST_200600_302600_NS6detail15normal_iteratorINSC_10device_ptrIKsEEEESI_EEEEESK_NSA_INS5_IJNSE_INSF_IsEEEESM_EEEEEPS7_SP_SP_NSC_11hip_rocprim7__merge17predicate_wrapperIssNSC_7greaterIsEEEEEE10hipError_tPvRmT0_T1_T2_T3_T4_T5_mmT6_P12ihipStream_tbEUlT_E0_NS1_11comp_targetILNS1_3genE10ELNS1_11target_archE1201ELNS1_3gpuE5ELNS1_3repE0EEENS1_30default_config_static_selectorELNS0_4arch9wavefront6targetE0EEEvS10_.uses_vcc, 0
	.set _ZN7rocprim17ROCPRIM_400000_NS6detail17trampoline_kernelINS0_14default_configENS1_21merge_config_selectorINS0_5tupleIJssEEENS0_10empty_typeEEEZNS1_10merge_implIS3_NS0_12zip_iteratorINS5_IJN6thrust23THRUST_200600_302600_NS6detail15normal_iteratorINSC_10device_ptrIKsEEEESI_EEEEESK_NSA_INS5_IJNSE_INSF_IsEEEESM_EEEEEPS7_SP_SP_NSC_11hip_rocprim7__merge17predicate_wrapperIssNSC_7greaterIsEEEEEE10hipError_tPvRmT0_T1_T2_T3_T4_T5_mmT6_P12ihipStream_tbEUlT_E0_NS1_11comp_targetILNS1_3genE10ELNS1_11target_archE1201ELNS1_3gpuE5ELNS1_3repE0EEENS1_30default_config_static_selectorELNS0_4arch9wavefront6targetE0EEEvS10_.uses_flat_scratch, 0
	.set _ZN7rocprim17ROCPRIM_400000_NS6detail17trampoline_kernelINS0_14default_configENS1_21merge_config_selectorINS0_5tupleIJssEEENS0_10empty_typeEEEZNS1_10merge_implIS3_NS0_12zip_iteratorINS5_IJN6thrust23THRUST_200600_302600_NS6detail15normal_iteratorINSC_10device_ptrIKsEEEESI_EEEEESK_NSA_INS5_IJNSE_INSF_IsEEEESM_EEEEEPS7_SP_SP_NSC_11hip_rocprim7__merge17predicate_wrapperIssNSC_7greaterIsEEEEEE10hipError_tPvRmT0_T1_T2_T3_T4_T5_mmT6_P12ihipStream_tbEUlT_E0_NS1_11comp_targetILNS1_3genE10ELNS1_11target_archE1201ELNS1_3gpuE5ELNS1_3repE0EEENS1_30default_config_static_selectorELNS0_4arch9wavefront6targetE0EEEvS10_.has_dyn_sized_stack, 0
	.set _ZN7rocprim17ROCPRIM_400000_NS6detail17trampoline_kernelINS0_14default_configENS1_21merge_config_selectorINS0_5tupleIJssEEENS0_10empty_typeEEEZNS1_10merge_implIS3_NS0_12zip_iteratorINS5_IJN6thrust23THRUST_200600_302600_NS6detail15normal_iteratorINSC_10device_ptrIKsEEEESI_EEEEESK_NSA_INS5_IJNSE_INSF_IsEEEESM_EEEEEPS7_SP_SP_NSC_11hip_rocprim7__merge17predicate_wrapperIssNSC_7greaterIsEEEEEE10hipError_tPvRmT0_T1_T2_T3_T4_T5_mmT6_P12ihipStream_tbEUlT_E0_NS1_11comp_targetILNS1_3genE10ELNS1_11target_archE1201ELNS1_3gpuE5ELNS1_3repE0EEENS1_30default_config_static_selectorELNS0_4arch9wavefront6targetE0EEEvS10_.has_recursion, 0
	.set _ZN7rocprim17ROCPRIM_400000_NS6detail17trampoline_kernelINS0_14default_configENS1_21merge_config_selectorINS0_5tupleIJssEEENS0_10empty_typeEEEZNS1_10merge_implIS3_NS0_12zip_iteratorINS5_IJN6thrust23THRUST_200600_302600_NS6detail15normal_iteratorINSC_10device_ptrIKsEEEESI_EEEEESK_NSA_INS5_IJNSE_INSF_IsEEEESM_EEEEEPS7_SP_SP_NSC_11hip_rocprim7__merge17predicate_wrapperIssNSC_7greaterIsEEEEEE10hipError_tPvRmT0_T1_T2_T3_T4_T5_mmT6_P12ihipStream_tbEUlT_E0_NS1_11comp_targetILNS1_3genE10ELNS1_11target_archE1201ELNS1_3gpuE5ELNS1_3repE0EEENS1_30default_config_static_selectorELNS0_4arch9wavefront6targetE0EEEvS10_.has_indirect_call, 0
	.section	.AMDGPU.csdata,"",@progbits
; Kernel info:
; codeLenInByte = 0
; TotalNumSgprs: 0
; NumVgprs: 0
; ScratchSize: 0
; MemoryBound: 0
; FloatMode: 240
; IeeeMode: 1
; LDSByteSize: 0 bytes/workgroup (compile time only)
; SGPRBlocks: 0
; VGPRBlocks: 0
; NumSGPRsForWavesPerEU: 1
; NumVGPRsForWavesPerEU: 1
; NamedBarCnt: 0
; Occupancy: 16
; WaveLimiterHint : 0
; COMPUTE_PGM_RSRC2:SCRATCH_EN: 0
; COMPUTE_PGM_RSRC2:USER_SGPR: 2
; COMPUTE_PGM_RSRC2:TRAP_HANDLER: 0
; COMPUTE_PGM_RSRC2:TGID_X_EN: 1
; COMPUTE_PGM_RSRC2:TGID_Y_EN: 0
; COMPUTE_PGM_RSRC2:TGID_Z_EN: 0
; COMPUTE_PGM_RSRC2:TIDIG_COMP_CNT: 0
	.section	.text._ZN7rocprim17ROCPRIM_400000_NS6detail17trampoline_kernelINS0_14default_configENS1_21merge_config_selectorINS0_5tupleIJssEEENS0_10empty_typeEEEZNS1_10merge_implIS3_NS0_12zip_iteratorINS5_IJN6thrust23THRUST_200600_302600_NS6detail15normal_iteratorINSC_10device_ptrIKsEEEESI_EEEEESK_NSA_INS5_IJNSE_INSF_IsEEEESM_EEEEEPS7_SP_SP_NSC_11hip_rocprim7__merge17predicate_wrapperIssNSC_7greaterIsEEEEEE10hipError_tPvRmT0_T1_T2_T3_T4_T5_mmT6_P12ihipStream_tbEUlT_E0_NS1_11comp_targetILNS1_3genE10ELNS1_11target_archE1200ELNS1_3gpuE4ELNS1_3repE0EEENS1_30default_config_static_selectorELNS0_4arch9wavefront6targetE0EEEvS10_,"axG",@progbits,_ZN7rocprim17ROCPRIM_400000_NS6detail17trampoline_kernelINS0_14default_configENS1_21merge_config_selectorINS0_5tupleIJssEEENS0_10empty_typeEEEZNS1_10merge_implIS3_NS0_12zip_iteratorINS5_IJN6thrust23THRUST_200600_302600_NS6detail15normal_iteratorINSC_10device_ptrIKsEEEESI_EEEEESK_NSA_INS5_IJNSE_INSF_IsEEEESM_EEEEEPS7_SP_SP_NSC_11hip_rocprim7__merge17predicate_wrapperIssNSC_7greaterIsEEEEEE10hipError_tPvRmT0_T1_T2_T3_T4_T5_mmT6_P12ihipStream_tbEUlT_E0_NS1_11comp_targetILNS1_3genE10ELNS1_11target_archE1200ELNS1_3gpuE4ELNS1_3repE0EEENS1_30default_config_static_selectorELNS0_4arch9wavefront6targetE0EEEvS10_,comdat
	.protected	_ZN7rocprim17ROCPRIM_400000_NS6detail17trampoline_kernelINS0_14default_configENS1_21merge_config_selectorINS0_5tupleIJssEEENS0_10empty_typeEEEZNS1_10merge_implIS3_NS0_12zip_iteratorINS5_IJN6thrust23THRUST_200600_302600_NS6detail15normal_iteratorINSC_10device_ptrIKsEEEESI_EEEEESK_NSA_INS5_IJNSE_INSF_IsEEEESM_EEEEEPS7_SP_SP_NSC_11hip_rocprim7__merge17predicate_wrapperIssNSC_7greaterIsEEEEEE10hipError_tPvRmT0_T1_T2_T3_T4_T5_mmT6_P12ihipStream_tbEUlT_E0_NS1_11comp_targetILNS1_3genE10ELNS1_11target_archE1200ELNS1_3gpuE4ELNS1_3repE0EEENS1_30default_config_static_selectorELNS0_4arch9wavefront6targetE0EEEvS10_ ; -- Begin function _ZN7rocprim17ROCPRIM_400000_NS6detail17trampoline_kernelINS0_14default_configENS1_21merge_config_selectorINS0_5tupleIJssEEENS0_10empty_typeEEEZNS1_10merge_implIS3_NS0_12zip_iteratorINS5_IJN6thrust23THRUST_200600_302600_NS6detail15normal_iteratorINSC_10device_ptrIKsEEEESI_EEEEESK_NSA_INS5_IJNSE_INSF_IsEEEESM_EEEEEPS7_SP_SP_NSC_11hip_rocprim7__merge17predicate_wrapperIssNSC_7greaterIsEEEEEE10hipError_tPvRmT0_T1_T2_T3_T4_T5_mmT6_P12ihipStream_tbEUlT_E0_NS1_11comp_targetILNS1_3genE10ELNS1_11target_archE1200ELNS1_3gpuE4ELNS1_3repE0EEENS1_30default_config_static_selectorELNS0_4arch9wavefront6targetE0EEEvS10_
	.globl	_ZN7rocprim17ROCPRIM_400000_NS6detail17trampoline_kernelINS0_14default_configENS1_21merge_config_selectorINS0_5tupleIJssEEENS0_10empty_typeEEEZNS1_10merge_implIS3_NS0_12zip_iteratorINS5_IJN6thrust23THRUST_200600_302600_NS6detail15normal_iteratorINSC_10device_ptrIKsEEEESI_EEEEESK_NSA_INS5_IJNSE_INSF_IsEEEESM_EEEEEPS7_SP_SP_NSC_11hip_rocprim7__merge17predicate_wrapperIssNSC_7greaterIsEEEEEE10hipError_tPvRmT0_T1_T2_T3_T4_T5_mmT6_P12ihipStream_tbEUlT_E0_NS1_11comp_targetILNS1_3genE10ELNS1_11target_archE1200ELNS1_3gpuE4ELNS1_3repE0EEENS1_30default_config_static_selectorELNS0_4arch9wavefront6targetE0EEEvS10_
	.p2align	8
	.type	_ZN7rocprim17ROCPRIM_400000_NS6detail17trampoline_kernelINS0_14default_configENS1_21merge_config_selectorINS0_5tupleIJssEEENS0_10empty_typeEEEZNS1_10merge_implIS3_NS0_12zip_iteratorINS5_IJN6thrust23THRUST_200600_302600_NS6detail15normal_iteratorINSC_10device_ptrIKsEEEESI_EEEEESK_NSA_INS5_IJNSE_INSF_IsEEEESM_EEEEEPS7_SP_SP_NSC_11hip_rocprim7__merge17predicate_wrapperIssNSC_7greaterIsEEEEEE10hipError_tPvRmT0_T1_T2_T3_T4_T5_mmT6_P12ihipStream_tbEUlT_E0_NS1_11comp_targetILNS1_3genE10ELNS1_11target_archE1200ELNS1_3gpuE4ELNS1_3repE0EEENS1_30default_config_static_selectorELNS0_4arch9wavefront6targetE0EEEvS10_,@function
_ZN7rocprim17ROCPRIM_400000_NS6detail17trampoline_kernelINS0_14default_configENS1_21merge_config_selectorINS0_5tupleIJssEEENS0_10empty_typeEEEZNS1_10merge_implIS3_NS0_12zip_iteratorINS5_IJN6thrust23THRUST_200600_302600_NS6detail15normal_iteratorINSC_10device_ptrIKsEEEESI_EEEEESK_NSA_INS5_IJNSE_INSF_IsEEEESM_EEEEEPS7_SP_SP_NSC_11hip_rocprim7__merge17predicate_wrapperIssNSC_7greaterIsEEEEEE10hipError_tPvRmT0_T1_T2_T3_T4_T5_mmT6_P12ihipStream_tbEUlT_E0_NS1_11comp_targetILNS1_3genE10ELNS1_11target_archE1200ELNS1_3gpuE4ELNS1_3repE0EEENS1_30default_config_static_selectorELNS0_4arch9wavefront6targetE0EEEvS10_: ; @_ZN7rocprim17ROCPRIM_400000_NS6detail17trampoline_kernelINS0_14default_configENS1_21merge_config_selectorINS0_5tupleIJssEEENS0_10empty_typeEEEZNS1_10merge_implIS3_NS0_12zip_iteratorINS5_IJN6thrust23THRUST_200600_302600_NS6detail15normal_iteratorINSC_10device_ptrIKsEEEESI_EEEEESK_NSA_INS5_IJNSE_INSF_IsEEEESM_EEEEEPS7_SP_SP_NSC_11hip_rocprim7__merge17predicate_wrapperIssNSC_7greaterIsEEEEEE10hipError_tPvRmT0_T1_T2_T3_T4_T5_mmT6_P12ihipStream_tbEUlT_E0_NS1_11comp_targetILNS1_3genE10ELNS1_11target_archE1200ELNS1_3gpuE4ELNS1_3repE0EEENS1_30default_config_static_selectorELNS0_4arch9wavefront6targetE0EEEvS10_
; %bb.0:
	.section	.rodata,"a",@progbits
	.p2align	6, 0x0
	.amdhsa_kernel _ZN7rocprim17ROCPRIM_400000_NS6detail17trampoline_kernelINS0_14default_configENS1_21merge_config_selectorINS0_5tupleIJssEEENS0_10empty_typeEEEZNS1_10merge_implIS3_NS0_12zip_iteratorINS5_IJN6thrust23THRUST_200600_302600_NS6detail15normal_iteratorINSC_10device_ptrIKsEEEESI_EEEEESK_NSA_INS5_IJNSE_INSF_IsEEEESM_EEEEEPS7_SP_SP_NSC_11hip_rocprim7__merge17predicate_wrapperIssNSC_7greaterIsEEEEEE10hipError_tPvRmT0_T1_T2_T3_T4_T5_mmT6_P12ihipStream_tbEUlT_E0_NS1_11comp_targetILNS1_3genE10ELNS1_11target_archE1200ELNS1_3gpuE4ELNS1_3repE0EEENS1_30default_config_static_selectorELNS0_4arch9wavefront6targetE0EEEvS10_
		.amdhsa_group_segment_fixed_size 0
		.amdhsa_private_segment_fixed_size 0
		.amdhsa_kernarg_size 112
		.amdhsa_user_sgpr_count 2
		.amdhsa_user_sgpr_dispatch_ptr 0
		.amdhsa_user_sgpr_queue_ptr 0
		.amdhsa_user_sgpr_kernarg_segment_ptr 1
		.amdhsa_user_sgpr_dispatch_id 0
		.amdhsa_user_sgpr_kernarg_preload_length 0
		.amdhsa_user_sgpr_kernarg_preload_offset 0
		.amdhsa_user_sgpr_private_segment_size 0
		.amdhsa_wavefront_size32 1
		.amdhsa_uses_dynamic_stack 0
		.amdhsa_enable_private_segment 0
		.amdhsa_system_sgpr_workgroup_id_x 1
		.amdhsa_system_sgpr_workgroup_id_y 0
		.amdhsa_system_sgpr_workgroup_id_z 0
		.amdhsa_system_sgpr_workgroup_info 0
		.amdhsa_system_vgpr_workitem_id 0
		.amdhsa_next_free_vgpr 1
		.amdhsa_next_free_sgpr 1
		.amdhsa_named_barrier_count 0
		.amdhsa_reserve_vcc 0
		.amdhsa_float_round_mode_32 0
		.amdhsa_float_round_mode_16_64 0
		.amdhsa_float_denorm_mode_32 3
		.amdhsa_float_denorm_mode_16_64 3
		.amdhsa_fp16_overflow 0
		.amdhsa_memory_ordered 1
		.amdhsa_forward_progress 1
		.amdhsa_inst_pref_size 0
		.amdhsa_round_robin_scheduling 0
		.amdhsa_exception_fp_ieee_invalid_op 0
		.amdhsa_exception_fp_denorm_src 0
		.amdhsa_exception_fp_ieee_div_zero 0
		.amdhsa_exception_fp_ieee_overflow 0
		.amdhsa_exception_fp_ieee_underflow 0
		.amdhsa_exception_fp_ieee_inexact 0
		.amdhsa_exception_int_div_zero 0
	.end_amdhsa_kernel
	.section	.text._ZN7rocprim17ROCPRIM_400000_NS6detail17trampoline_kernelINS0_14default_configENS1_21merge_config_selectorINS0_5tupleIJssEEENS0_10empty_typeEEEZNS1_10merge_implIS3_NS0_12zip_iteratorINS5_IJN6thrust23THRUST_200600_302600_NS6detail15normal_iteratorINSC_10device_ptrIKsEEEESI_EEEEESK_NSA_INS5_IJNSE_INSF_IsEEEESM_EEEEEPS7_SP_SP_NSC_11hip_rocprim7__merge17predicate_wrapperIssNSC_7greaterIsEEEEEE10hipError_tPvRmT0_T1_T2_T3_T4_T5_mmT6_P12ihipStream_tbEUlT_E0_NS1_11comp_targetILNS1_3genE10ELNS1_11target_archE1200ELNS1_3gpuE4ELNS1_3repE0EEENS1_30default_config_static_selectorELNS0_4arch9wavefront6targetE0EEEvS10_,"axG",@progbits,_ZN7rocprim17ROCPRIM_400000_NS6detail17trampoline_kernelINS0_14default_configENS1_21merge_config_selectorINS0_5tupleIJssEEENS0_10empty_typeEEEZNS1_10merge_implIS3_NS0_12zip_iteratorINS5_IJN6thrust23THRUST_200600_302600_NS6detail15normal_iteratorINSC_10device_ptrIKsEEEESI_EEEEESK_NSA_INS5_IJNSE_INSF_IsEEEESM_EEEEEPS7_SP_SP_NSC_11hip_rocprim7__merge17predicate_wrapperIssNSC_7greaterIsEEEEEE10hipError_tPvRmT0_T1_T2_T3_T4_T5_mmT6_P12ihipStream_tbEUlT_E0_NS1_11comp_targetILNS1_3genE10ELNS1_11target_archE1200ELNS1_3gpuE4ELNS1_3repE0EEENS1_30default_config_static_selectorELNS0_4arch9wavefront6targetE0EEEvS10_,comdat
.Lfunc_end458:
	.size	_ZN7rocprim17ROCPRIM_400000_NS6detail17trampoline_kernelINS0_14default_configENS1_21merge_config_selectorINS0_5tupleIJssEEENS0_10empty_typeEEEZNS1_10merge_implIS3_NS0_12zip_iteratorINS5_IJN6thrust23THRUST_200600_302600_NS6detail15normal_iteratorINSC_10device_ptrIKsEEEESI_EEEEESK_NSA_INS5_IJNSE_INSF_IsEEEESM_EEEEEPS7_SP_SP_NSC_11hip_rocprim7__merge17predicate_wrapperIssNSC_7greaterIsEEEEEE10hipError_tPvRmT0_T1_T2_T3_T4_T5_mmT6_P12ihipStream_tbEUlT_E0_NS1_11comp_targetILNS1_3genE10ELNS1_11target_archE1200ELNS1_3gpuE4ELNS1_3repE0EEENS1_30default_config_static_selectorELNS0_4arch9wavefront6targetE0EEEvS10_, .Lfunc_end458-_ZN7rocprim17ROCPRIM_400000_NS6detail17trampoline_kernelINS0_14default_configENS1_21merge_config_selectorINS0_5tupleIJssEEENS0_10empty_typeEEEZNS1_10merge_implIS3_NS0_12zip_iteratorINS5_IJN6thrust23THRUST_200600_302600_NS6detail15normal_iteratorINSC_10device_ptrIKsEEEESI_EEEEESK_NSA_INS5_IJNSE_INSF_IsEEEESM_EEEEEPS7_SP_SP_NSC_11hip_rocprim7__merge17predicate_wrapperIssNSC_7greaterIsEEEEEE10hipError_tPvRmT0_T1_T2_T3_T4_T5_mmT6_P12ihipStream_tbEUlT_E0_NS1_11comp_targetILNS1_3genE10ELNS1_11target_archE1200ELNS1_3gpuE4ELNS1_3repE0EEENS1_30default_config_static_selectorELNS0_4arch9wavefront6targetE0EEEvS10_
                                        ; -- End function
	.set _ZN7rocprim17ROCPRIM_400000_NS6detail17trampoline_kernelINS0_14default_configENS1_21merge_config_selectorINS0_5tupleIJssEEENS0_10empty_typeEEEZNS1_10merge_implIS3_NS0_12zip_iteratorINS5_IJN6thrust23THRUST_200600_302600_NS6detail15normal_iteratorINSC_10device_ptrIKsEEEESI_EEEEESK_NSA_INS5_IJNSE_INSF_IsEEEESM_EEEEEPS7_SP_SP_NSC_11hip_rocprim7__merge17predicate_wrapperIssNSC_7greaterIsEEEEEE10hipError_tPvRmT0_T1_T2_T3_T4_T5_mmT6_P12ihipStream_tbEUlT_E0_NS1_11comp_targetILNS1_3genE10ELNS1_11target_archE1200ELNS1_3gpuE4ELNS1_3repE0EEENS1_30default_config_static_selectorELNS0_4arch9wavefront6targetE0EEEvS10_.num_vgpr, 0
	.set _ZN7rocprim17ROCPRIM_400000_NS6detail17trampoline_kernelINS0_14default_configENS1_21merge_config_selectorINS0_5tupleIJssEEENS0_10empty_typeEEEZNS1_10merge_implIS3_NS0_12zip_iteratorINS5_IJN6thrust23THRUST_200600_302600_NS6detail15normal_iteratorINSC_10device_ptrIKsEEEESI_EEEEESK_NSA_INS5_IJNSE_INSF_IsEEEESM_EEEEEPS7_SP_SP_NSC_11hip_rocprim7__merge17predicate_wrapperIssNSC_7greaterIsEEEEEE10hipError_tPvRmT0_T1_T2_T3_T4_T5_mmT6_P12ihipStream_tbEUlT_E0_NS1_11comp_targetILNS1_3genE10ELNS1_11target_archE1200ELNS1_3gpuE4ELNS1_3repE0EEENS1_30default_config_static_selectorELNS0_4arch9wavefront6targetE0EEEvS10_.num_agpr, 0
	.set _ZN7rocprim17ROCPRIM_400000_NS6detail17trampoline_kernelINS0_14default_configENS1_21merge_config_selectorINS0_5tupleIJssEEENS0_10empty_typeEEEZNS1_10merge_implIS3_NS0_12zip_iteratorINS5_IJN6thrust23THRUST_200600_302600_NS6detail15normal_iteratorINSC_10device_ptrIKsEEEESI_EEEEESK_NSA_INS5_IJNSE_INSF_IsEEEESM_EEEEEPS7_SP_SP_NSC_11hip_rocprim7__merge17predicate_wrapperIssNSC_7greaterIsEEEEEE10hipError_tPvRmT0_T1_T2_T3_T4_T5_mmT6_P12ihipStream_tbEUlT_E0_NS1_11comp_targetILNS1_3genE10ELNS1_11target_archE1200ELNS1_3gpuE4ELNS1_3repE0EEENS1_30default_config_static_selectorELNS0_4arch9wavefront6targetE0EEEvS10_.numbered_sgpr, 0
	.set _ZN7rocprim17ROCPRIM_400000_NS6detail17trampoline_kernelINS0_14default_configENS1_21merge_config_selectorINS0_5tupleIJssEEENS0_10empty_typeEEEZNS1_10merge_implIS3_NS0_12zip_iteratorINS5_IJN6thrust23THRUST_200600_302600_NS6detail15normal_iteratorINSC_10device_ptrIKsEEEESI_EEEEESK_NSA_INS5_IJNSE_INSF_IsEEEESM_EEEEEPS7_SP_SP_NSC_11hip_rocprim7__merge17predicate_wrapperIssNSC_7greaterIsEEEEEE10hipError_tPvRmT0_T1_T2_T3_T4_T5_mmT6_P12ihipStream_tbEUlT_E0_NS1_11comp_targetILNS1_3genE10ELNS1_11target_archE1200ELNS1_3gpuE4ELNS1_3repE0EEENS1_30default_config_static_selectorELNS0_4arch9wavefront6targetE0EEEvS10_.num_named_barrier, 0
	.set _ZN7rocprim17ROCPRIM_400000_NS6detail17trampoline_kernelINS0_14default_configENS1_21merge_config_selectorINS0_5tupleIJssEEENS0_10empty_typeEEEZNS1_10merge_implIS3_NS0_12zip_iteratorINS5_IJN6thrust23THRUST_200600_302600_NS6detail15normal_iteratorINSC_10device_ptrIKsEEEESI_EEEEESK_NSA_INS5_IJNSE_INSF_IsEEEESM_EEEEEPS7_SP_SP_NSC_11hip_rocprim7__merge17predicate_wrapperIssNSC_7greaterIsEEEEEE10hipError_tPvRmT0_T1_T2_T3_T4_T5_mmT6_P12ihipStream_tbEUlT_E0_NS1_11comp_targetILNS1_3genE10ELNS1_11target_archE1200ELNS1_3gpuE4ELNS1_3repE0EEENS1_30default_config_static_selectorELNS0_4arch9wavefront6targetE0EEEvS10_.private_seg_size, 0
	.set _ZN7rocprim17ROCPRIM_400000_NS6detail17trampoline_kernelINS0_14default_configENS1_21merge_config_selectorINS0_5tupleIJssEEENS0_10empty_typeEEEZNS1_10merge_implIS3_NS0_12zip_iteratorINS5_IJN6thrust23THRUST_200600_302600_NS6detail15normal_iteratorINSC_10device_ptrIKsEEEESI_EEEEESK_NSA_INS5_IJNSE_INSF_IsEEEESM_EEEEEPS7_SP_SP_NSC_11hip_rocprim7__merge17predicate_wrapperIssNSC_7greaterIsEEEEEE10hipError_tPvRmT0_T1_T2_T3_T4_T5_mmT6_P12ihipStream_tbEUlT_E0_NS1_11comp_targetILNS1_3genE10ELNS1_11target_archE1200ELNS1_3gpuE4ELNS1_3repE0EEENS1_30default_config_static_selectorELNS0_4arch9wavefront6targetE0EEEvS10_.uses_vcc, 0
	.set _ZN7rocprim17ROCPRIM_400000_NS6detail17trampoline_kernelINS0_14default_configENS1_21merge_config_selectorINS0_5tupleIJssEEENS0_10empty_typeEEEZNS1_10merge_implIS3_NS0_12zip_iteratorINS5_IJN6thrust23THRUST_200600_302600_NS6detail15normal_iteratorINSC_10device_ptrIKsEEEESI_EEEEESK_NSA_INS5_IJNSE_INSF_IsEEEESM_EEEEEPS7_SP_SP_NSC_11hip_rocprim7__merge17predicate_wrapperIssNSC_7greaterIsEEEEEE10hipError_tPvRmT0_T1_T2_T3_T4_T5_mmT6_P12ihipStream_tbEUlT_E0_NS1_11comp_targetILNS1_3genE10ELNS1_11target_archE1200ELNS1_3gpuE4ELNS1_3repE0EEENS1_30default_config_static_selectorELNS0_4arch9wavefront6targetE0EEEvS10_.uses_flat_scratch, 0
	.set _ZN7rocprim17ROCPRIM_400000_NS6detail17trampoline_kernelINS0_14default_configENS1_21merge_config_selectorINS0_5tupleIJssEEENS0_10empty_typeEEEZNS1_10merge_implIS3_NS0_12zip_iteratorINS5_IJN6thrust23THRUST_200600_302600_NS6detail15normal_iteratorINSC_10device_ptrIKsEEEESI_EEEEESK_NSA_INS5_IJNSE_INSF_IsEEEESM_EEEEEPS7_SP_SP_NSC_11hip_rocprim7__merge17predicate_wrapperIssNSC_7greaterIsEEEEEE10hipError_tPvRmT0_T1_T2_T3_T4_T5_mmT6_P12ihipStream_tbEUlT_E0_NS1_11comp_targetILNS1_3genE10ELNS1_11target_archE1200ELNS1_3gpuE4ELNS1_3repE0EEENS1_30default_config_static_selectorELNS0_4arch9wavefront6targetE0EEEvS10_.has_dyn_sized_stack, 0
	.set _ZN7rocprim17ROCPRIM_400000_NS6detail17trampoline_kernelINS0_14default_configENS1_21merge_config_selectorINS0_5tupleIJssEEENS0_10empty_typeEEEZNS1_10merge_implIS3_NS0_12zip_iteratorINS5_IJN6thrust23THRUST_200600_302600_NS6detail15normal_iteratorINSC_10device_ptrIKsEEEESI_EEEEESK_NSA_INS5_IJNSE_INSF_IsEEEESM_EEEEEPS7_SP_SP_NSC_11hip_rocprim7__merge17predicate_wrapperIssNSC_7greaterIsEEEEEE10hipError_tPvRmT0_T1_T2_T3_T4_T5_mmT6_P12ihipStream_tbEUlT_E0_NS1_11comp_targetILNS1_3genE10ELNS1_11target_archE1200ELNS1_3gpuE4ELNS1_3repE0EEENS1_30default_config_static_selectorELNS0_4arch9wavefront6targetE0EEEvS10_.has_recursion, 0
	.set _ZN7rocprim17ROCPRIM_400000_NS6detail17trampoline_kernelINS0_14default_configENS1_21merge_config_selectorINS0_5tupleIJssEEENS0_10empty_typeEEEZNS1_10merge_implIS3_NS0_12zip_iteratorINS5_IJN6thrust23THRUST_200600_302600_NS6detail15normal_iteratorINSC_10device_ptrIKsEEEESI_EEEEESK_NSA_INS5_IJNSE_INSF_IsEEEESM_EEEEEPS7_SP_SP_NSC_11hip_rocprim7__merge17predicate_wrapperIssNSC_7greaterIsEEEEEE10hipError_tPvRmT0_T1_T2_T3_T4_T5_mmT6_P12ihipStream_tbEUlT_E0_NS1_11comp_targetILNS1_3genE10ELNS1_11target_archE1200ELNS1_3gpuE4ELNS1_3repE0EEENS1_30default_config_static_selectorELNS0_4arch9wavefront6targetE0EEEvS10_.has_indirect_call, 0
	.section	.AMDGPU.csdata,"",@progbits
; Kernel info:
; codeLenInByte = 0
; TotalNumSgprs: 0
; NumVgprs: 0
; ScratchSize: 0
; MemoryBound: 0
; FloatMode: 240
; IeeeMode: 1
; LDSByteSize: 0 bytes/workgroup (compile time only)
; SGPRBlocks: 0
; VGPRBlocks: 0
; NumSGPRsForWavesPerEU: 1
; NumVGPRsForWavesPerEU: 1
; NamedBarCnt: 0
; Occupancy: 16
; WaveLimiterHint : 0
; COMPUTE_PGM_RSRC2:SCRATCH_EN: 0
; COMPUTE_PGM_RSRC2:USER_SGPR: 2
; COMPUTE_PGM_RSRC2:TRAP_HANDLER: 0
; COMPUTE_PGM_RSRC2:TGID_X_EN: 1
; COMPUTE_PGM_RSRC2:TGID_Y_EN: 0
; COMPUTE_PGM_RSRC2:TGID_Z_EN: 0
; COMPUTE_PGM_RSRC2:TIDIG_COMP_CNT: 0
	.section	.text._ZN7rocprim17ROCPRIM_400000_NS6detail17trampoline_kernelINS0_14default_configENS1_21merge_config_selectorINS0_5tupleIJssEEENS0_10empty_typeEEEZNS1_10merge_implIS3_NS0_12zip_iteratorINS5_IJN6thrust23THRUST_200600_302600_NS6detail15normal_iteratorINSC_10device_ptrIKsEEEESI_EEEEESK_NSA_INS5_IJNSE_INSF_IsEEEESM_EEEEEPS7_SP_SP_NSC_11hip_rocprim7__merge17predicate_wrapperIssNSC_7greaterIsEEEEEE10hipError_tPvRmT0_T1_T2_T3_T4_T5_mmT6_P12ihipStream_tbEUlT_E0_NS1_11comp_targetILNS1_3genE9ELNS1_11target_archE1100ELNS1_3gpuE3ELNS1_3repE0EEENS1_30default_config_static_selectorELNS0_4arch9wavefront6targetE0EEEvS10_,"axG",@progbits,_ZN7rocprim17ROCPRIM_400000_NS6detail17trampoline_kernelINS0_14default_configENS1_21merge_config_selectorINS0_5tupleIJssEEENS0_10empty_typeEEEZNS1_10merge_implIS3_NS0_12zip_iteratorINS5_IJN6thrust23THRUST_200600_302600_NS6detail15normal_iteratorINSC_10device_ptrIKsEEEESI_EEEEESK_NSA_INS5_IJNSE_INSF_IsEEEESM_EEEEEPS7_SP_SP_NSC_11hip_rocprim7__merge17predicate_wrapperIssNSC_7greaterIsEEEEEE10hipError_tPvRmT0_T1_T2_T3_T4_T5_mmT6_P12ihipStream_tbEUlT_E0_NS1_11comp_targetILNS1_3genE9ELNS1_11target_archE1100ELNS1_3gpuE3ELNS1_3repE0EEENS1_30default_config_static_selectorELNS0_4arch9wavefront6targetE0EEEvS10_,comdat
	.protected	_ZN7rocprim17ROCPRIM_400000_NS6detail17trampoline_kernelINS0_14default_configENS1_21merge_config_selectorINS0_5tupleIJssEEENS0_10empty_typeEEEZNS1_10merge_implIS3_NS0_12zip_iteratorINS5_IJN6thrust23THRUST_200600_302600_NS6detail15normal_iteratorINSC_10device_ptrIKsEEEESI_EEEEESK_NSA_INS5_IJNSE_INSF_IsEEEESM_EEEEEPS7_SP_SP_NSC_11hip_rocprim7__merge17predicate_wrapperIssNSC_7greaterIsEEEEEE10hipError_tPvRmT0_T1_T2_T3_T4_T5_mmT6_P12ihipStream_tbEUlT_E0_NS1_11comp_targetILNS1_3genE9ELNS1_11target_archE1100ELNS1_3gpuE3ELNS1_3repE0EEENS1_30default_config_static_selectorELNS0_4arch9wavefront6targetE0EEEvS10_ ; -- Begin function _ZN7rocprim17ROCPRIM_400000_NS6detail17trampoline_kernelINS0_14default_configENS1_21merge_config_selectorINS0_5tupleIJssEEENS0_10empty_typeEEEZNS1_10merge_implIS3_NS0_12zip_iteratorINS5_IJN6thrust23THRUST_200600_302600_NS6detail15normal_iteratorINSC_10device_ptrIKsEEEESI_EEEEESK_NSA_INS5_IJNSE_INSF_IsEEEESM_EEEEEPS7_SP_SP_NSC_11hip_rocprim7__merge17predicate_wrapperIssNSC_7greaterIsEEEEEE10hipError_tPvRmT0_T1_T2_T3_T4_T5_mmT6_P12ihipStream_tbEUlT_E0_NS1_11comp_targetILNS1_3genE9ELNS1_11target_archE1100ELNS1_3gpuE3ELNS1_3repE0EEENS1_30default_config_static_selectorELNS0_4arch9wavefront6targetE0EEEvS10_
	.globl	_ZN7rocprim17ROCPRIM_400000_NS6detail17trampoline_kernelINS0_14default_configENS1_21merge_config_selectorINS0_5tupleIJssEEENS0_10empty_typeEEEZNS1_10merge_implIS3_NS0_12zip_iteratorINS5_IJN6thrust23THRUST_200600_302600_NS6detail15normal_iteratorINSC_10device_ptrIKsEEEESI_EEEEESK_NSA_INS5_IJNSE_INSF_IsEEEESM_EEEEEPS7_SP_SP_NSC_11hip_rocprim7__merge17predicate_wrapperIssNSC_7greaterIsEEEEEE10hipError_tPvRmT0_T1_T2_T3_T4_T5_mmT6_P12ihipStream_tbEUlT_E0_NS1_11comp_targetILNS1_3genE9ELNS1_11target_archE1100ELNS1_3gpuE3ELNS1_3repE0EEENS1_30default_config_static_selectorELNS0_4arch9wavefront6targetE0EEEvS10_
	.p2align	8
	.type	_ZN7rocprim17ROCPRIM_400000_NS6detail17trampoline_kernelINS0_14default_configENS1_21merge_config_selectorINS0_5tupleIJssEEENS0_10empty_typeEEEZNS1_10merge_implIS3_NS0_12zip_iteratorINS5_IJN6thrust23THRUST_200600_302600_NS6detail15normal_iteratorINSC_10device_ptrIKsEEEESI_EEEEESK_NSA_INS5_IJNSE_INSF_IsEEEESM_EEEEEPS7_SP_SP_NSC_11hip_rocprim7__merge17predicate_wrapperIssNSC_7greaterIsEEEEEE10hipError_tPvRmT0_T1_T2_T3_T4_T5_mmT6_P12ihipStream_tbEUlT_E0_NS1_11comp_targetILNS1_3genE9ELNS1_11target_archE1100ELNS1_3gpuE3ELNS1_3repE0EEENS1_30default_config_static_selectorELNS0_4arch9wavefront6targetE0EEEvS10_,@function
_ZN7rocprim17ROCPRIM_400000_NS6detail17trampoline_kernelINS0_14default_configENS1_21merge_config_selectorINS0_5tupleIJssEEENS0_10empty_typeEEEZNS1_10merge_implIS3_NS0_12zip_iteratorINS5_IJN6thrust23THRUST_200600_302600_NS6detail15normal_iteratorINSC_10device_ptrIKsEEEESI_EEEEESK_NSA_INS5_IJNSE_INSF_IsEEEESM_EEEEEPS7_SP_SP_NSC_11hip_rocprim7__merge17predicate_wrapperIssNSC_7greaterIsEEEEEE10hipError_tPvRmT0_T1_T2_T3_T4_T5_mmT6_P12ihipStream_tbEUlT_E0_NS1_11comp_targetILNS1_3genE9ELNS1_11target_archE1100ELNS1_3gpuE3ELNS1_3repE0EEENS1_30default_config_static_selectorELNS0_4arch9wavefront6targetE0EEEvS10_: ; @_ZN7rocprim17ROCPRIM_400000_NS6detail17trampoline_kernelINS0_14default_configENS1_21merge_config_selectorINS0_5tupleIJssEEENS0_10empty_typeEEEZNS1_10merge_implIS3_NS0_12zip_iteratorINS5_IJN6thrust23THRUST_200600_302600_NS6detail15normal_iteratorINSC_10device_ptrIKsEEEESI_EEEEESK_NSA_INS5_IJNSE_INSF_IsEEEESM_EEEEEPS7_SP_SP_NSC_11hip_rocprim7__merge17predicate_wrapperIssNSC_7greaterIsEEEEEE10hipError_tPvRmT0_T1_T2_T3_T4_T5_mmT6_P12ihipStream_tbEUlT_E0_NS1_11comp_targetILNS1_3genE9ELNS1_11target_archE1100ELNS1_3gpuE3ELNS1_3repE0EEENS1_30default_config_static_selectorELNS0_4arch9wavefront6targetE0EEEvS10_
; %bb.0:
	.section	.rodata,"a",@progbits
	.p2align	6, 0x0
	.amdhsa_kernel _ZN7rocprim17ROCPRIM_400000_NS6detail17trampoline_kernelINS0_14default_configENS1_21merge_config_selectorINS0_5tupleIJssEEENS0_10empty_typeEEEZNS1_10merge_implIS3_NS0_12zip_iteratorINS5_IJN6thrust23THRUST_200600_302600_NS6detail15normal_iteratorINSC_10device_ptrIKsEEEESI_EEEEESK_NSA_INS5_IJNSE_INSF_IsEEEESM_EEEEEPS7_SP_SP_NSC_11hip_rocprim7__merge17predicate_wrapperIssNSC_7greaterIsEEEEEE10hipError_tPvRmT0_T1_T2_T3_T4_T5_mmT6_P12ihipStream_tbEUlT_E0_NS1_11comp_targetILNS1_3genE9ELNS1_11target_archE1100ELNS1_3gpuE3ELNS1_3repE0EEENS1_30default_config_static_selectorELNS0_4arch9wavefront6targetE0EEEvS10_
		.amdhsa_group_segment_fixed_size 0
		.amdhsa_private_segment_fixed_size 0
		.amdhsa_kernarg_size 112
		.amdhsa_user_sgpr_count 2
		.amdhsa_user_sgpr_dispatch_ptr 0
		.amdhsa_user_sgpr_queue_ptr 0
		.amdhsa_user_sgpr_kernarg_segment_ptr 1
		.amdhsa_user_sgpr_dispatch_id 0
		.amdhsa_user_sgpr_kernarg_preload_length 0
		.amdhsa_user_sgpr_kernarg_preload_offset 0
		.amdhsa_user_sgpr_private_segment_size 0
		.amdhsa_wavefront_size32 1
		.amdhsa_uses_dynamic_stack 0
		.amdhsa_enable_private_segment 0
		.amdhsa_system_sgpr_workgroup_id_x 1
		.amdhsa_system_sgpr_workgroup_id_y 0
		.amdhsa_system_sgpr_workgroup_id_z 0
		.amdhsa_system_sgpr_workgroup_info 0
		.amdhsa_system_vgpr_workitem_id 0
		.amdhsa_next_free_vgpr 1
		.amdhsa_next_free_sgpr 1
		.amdhsa_named_barrier_count 0
		.amdhsa_reserve_vcc 0
		.amdhsa_float_round_mode_32 0
		.amdhsa_float_round_mode_16_64 0
		.amdhsa_float_denorm_mode_32 3
		.amdhsa_float_denorm_mode_16_64 3
		.amdhsa_fp16_overflow 0
		.amdhsa_memory_ordered 1
		.amdhsa_forward_progress 1
		.amdhsa_inst_pref_size 0
		.amdhsa_round_robin_scheduling 0
		.amdhsa_exception_fp_ieee_invalid_op 0
		.amdhsa_exception_fp_denorm_src 0
		.amdhsa_exception_fp_ieee_div_zero 0
		.amdhsa_exception_fp_ieee_overflow 0
		.amdhsa_exception_fp_ieee_underflow 0
		.amdhsa_exception_fp_ieee_inexact 0
		.amdhsa_exception_int_div_zero 0
	.end_amdhsa_kernel
	.section	.text._ZN7rocprim17ROCPRIM_400000_NS6detail17trampoline_kernelINS0_14default_configENS1_21merge_config_selectorINS0_5tupleIJssEEENS0_10empty_typeEEEZNS1_10merge_implIS3_NS0_12zip_iteratorINS5_IJN6thrust23THRUST_200600_302600_NS6detail15normal_iteratorINSC_10device_ptrIKsEEEESI_EEEEESK_NSA_INS5_IJNSE_INSF_IsEEEESM_EEEEEPS7_SP_SP_NSC_11hip_rocprim7__merge17predicate_wrapperIssNSC_7greaterIsEEEEEE10hipError_tPvRmT0_T1_T2_T3_T4_T5_mmT6_P12ihipStream_tbEUlT_E0_NS1_11comp_targetILNS1_3genE9ELNS1_11target_archE1100ELNS1_3gpuE3ELNS1_3repE0EEENS1_30default_config_static_selectorELNS0_4arch9wavefront6targetE0EEEvS10_,"axG",@progbits,_ZN7rocprim17ROCPRIM_400000_NS6detail17trampoline_kernelINS0_14default_configENS1_21merge_config_selectorINS0_5tupleIJssEEENS0_10empty_typeEEEZNS1_10merge_implIS3_NS0_12zip_iteratorINS5_IJN6thrust23THRUST_200600_302600_NS6detail15normal_iteratorINSC_10device_ptrIKsEEEESI_EEEEESK_NSA_INS5_IJNSE_INSF_IsEEEESM_EEEEEPS7_SP_SP_NSC_11hip_rocprim7__merge17predicate_wrapperIssNSC_7greaterIsEEEEEE10hipError_tPvRmT0_T1_T2_T3_T4_T5_mmT6_P12ihipStream_tbEUlT_E0_NS1_11comp_targetILNS1_3genE9ELNS1_11target_archE1100ELNS1_3gpuE3ELNS1_3repE0EEENS1_30default_config_static_selectorELNS0_4arch9wavefront6targetE0EEEvS10_,comdat
.Lfunc_end459:
	.size	_ZN7rocprim17ROCPRIM_400000_NS6detail17trampoline_kernelINS0_14default_configENS1_21merge_config_selectorINS0_5tupleIJssEEENS0_10empty_typeEEEZNS1_10merge_implIS3_NS0_12zip_iteratorINS5_IJN6thrust23THRUST_200600_302600_NS6detail15normal_iteratorINSC_10device_ptrIKsEEEESI_EEEEESK_NSA_INS5_IJNSE_INSF_IsEEEESM_EEEEEPS7_SP_SP_NSC_11hip_rocprim7__merge17predicate_wrapperIssNSC_7greaterIsEEEEEE10hipError_tPvRmT0_T1_T2_T3_T4_T5_mmT6_P12ihipStream_tbEUlT_E0_NS1_11comp_targetILNS1_3genE9ELNS1_11target_archE1100ELNS1_3gpuE3ELNS1_3repE0EEENS1_30default_config_static_selectorELNS0_4arch9wavefront6targetE0EEEvS10_, .Lfunc_end459-_ZN7rocprim17ROCPRIM_400000_NS6detail17trampoline_kernelINS0_14default_configENS1_21merge_config_selectorINS0_5tupleIJssEEENS0_10empty_typeEEEZNS1_10merge_implIS3_NS0_12zip_iteratorINS5_IJN6thrust23THRUST_200600_302600_NS6detail15normal_iteratorINSC_10device_ptrIKsEEEESI_EEEEESK_NSA_INS5_IJNSE_INSF_IsEEEESM_EEEEEPS7_SP_SP_NSC_11hip_rocprim7__merge17predicate_wrapperIssNSC_7greaterIsEEEEEE10hipError_tPvRmT0_T1_T2_T3_T4_T5_mmT6_P12ihipStream_tbEUlT_E0_NS1_11comp_targetILNS1_3genE9ELNS1_11target_archE1100ELNS1_3gpuE3ELNS1_3repE0EEENS1_30default_config_static_selectorELNS0_4arch9wavefront6targetE0EEEvS10_
                                        ; -- End function
	.set _ZN7rocprim17ROCPRIM_400000_NS6detail17trampoline_kernelINS0_14default_configENS1_21merge_config_selectorINS0_5tupleIJssEEENS0_10empty_typeEEEZNS1_10merge_implIS3_NS0_12zip_iteratorINS5_IJN6thrust23THRUST_200600_302600_NS6detail15normal_iteratorINSC_10device_ptrIKsEEEESI_EEEEESK_NSA_INS5_IJNSE_INSF_IsEEEESM_EEEEEPS7_SP_SP_NSC_11hip_rocprim7__merge17predicate_wrapperIssNSC_7greaterIsEEEEEE10hipError_tPvRmT0_T1_T2_T3_T4_T5_mmT6_P12ihipStream_tbEUlT_E0_NS1_11comp_targetILNS1_3genE9ELNS1_11target_archE1100ELNS1_3gpuE3ELNS1_3repE0EEENS1_30default_config_static_selectorELNS0_4arch9wavefront6targetE0EEEvS10_.num_vgpr, 0
	.set _ZN7rocprim17ROCPRIM_400000_NS6detail17trampoline_kernelINS0_14default_configENS1_21merge_config_selectorINS0_5tupleIJssEEENS0_10empty_typeEEEZNS1_10merge_implIS3_NS0_12zip_iteratorINS5_IJN6thrust23THRUST_200600_302600_NS6detail15normal_iteratorINSC_10device_ptrIKsEEEESI_EEEEESK_NSA_INS5_IJNSE_INSF_IsEEEESM_EEEEEPS7_SP_SP_NSC_11hip_rocprim7__merge17predicate_wrapperIssNSC_7greaterIsEEEEEE10hipError_tPvRmT0_T1_T2_T3_T4_T5_mmT6_P12ihipStream_tbEUlT_E0_NS1_11comp_targetILNS1_3genE9ELNS1_11target_archE1100ELNS1_3gpuE3ELNS1_3repE0EEENS1_30default_config_static_selectorELNS0_4arch9wavefront6targetE0EEEvS10_.num_agpr, 0
	.set _ZN7rocprim17ROCPRIM_400000_NS6detail17trampoline_kernelINS0_14default_configENS1_21merge_config_selectorINS0_5tupleIJssEEENS0_10empty_typeEEEZNS1_10merge_implIS3_NS0_12zip_iteratorINS5_IJN6thrust23THRUST_200600_302600_NS6detail15normal_iteratorINSC_10device_ptrIKsEEEESI_EEEEESK_NSA_INS5_IJNSE_INSF_IsEEEESM_EEEEEPS7_SP_SP_NSC_11hip_rocprim7__merge17predicate_wrapperIssNSC_7greaterIsEEEEEE10hipError_tPvRmT0_T1_T2_T3_T4_T5_mmT6_P12ihipStream_tbEUlT_E0_NS1_11comp_targetILNS1_3genE9ELNS1_11target_archE1100ELNS1_3gpuE3ELNS1_3repE0EEENS1_30default_config_static_selectorELNS0_4arch9wavefront6targetE0EEEvS10_.numbered_sgpr, 0
	.set _ZN7rocprim17ROCPRIM_400000_NS6detail17trampoline_kernelINS0_14default_configENS1_21merge_config_selectorINS0_5tupleIJssEEENS0_10empty_typeEEEZNS1_10merge_implIS3_NS0_12zip_iteratorINS5_IJN6thrust23THRUST_200600_302600_NS6detail15normal_iteratorINSC_10device_ptrIKsEEEESI_EEEEESK_NSA_INS5_IJNSE_INSF_IsEEEESM_EEEEEPS7_SP_SP_NSC_11hip_rocprim7__merge17predicate_wrapperIssNSC_7greaterIsEEEEEE10hipError_tPvRmT0_T1_T2_T3_T4_T5_mmT6_P12ihipStream_tbEUlT_E0_NS1_11comp_targetILNS1_3genE9ELNS1_11target_archE1100ELNS1_3gpuE3ELNS1_3repE0EEENS1_30default_config_static_selectorELNS0_4arch9wavefront6targetE0EEEvS10_.num_named_barrier, 0
	.set _ZN7rocprim17ROCPRIM_400000_NS6detail17trampoline_kernelINS0_14default_configENS1_21merge_config_selectorINS0_5tupleIJssEEENS0_10empty_typeEEEZNS1_10merge_implIS3_NS0_12zip_iteratorINS5_IJN6thrust23THRUST_200600_302600_NS6detail15normal_iteratorINSC_10device_ptrIKsEEEESI_EEEEESK_NSA_INS5_IJNSE_INSF_IsEEEESM_EEEEEPS7_SP_SP_NSC_11hip_rocprim7__merge17predicate_wrapperIssNSC_7greaterIsEEEEEE10hipError_tPvRmT0_T1_T2_T3_T4_T5_mmT6_P12ihipStream_tbEUlT_E0_NS1_11comp_targetILNS1_3genE9ELNS1_11target_archE1100ELNS1_3gpuE3ELNS1_3repE0EEENS1_30default_config_static_selectorELNS0_4arch9wavefront6targetE0EEEvS10_.private_seg_size, 0
	.set _ZN7rocprim17ROCPRIM_400000_NS6detail17trampoline_kernelINS0_14default_configENS1_21merge_config_selectorINS0_5tupleIJssEEENS0_10empty_typeEEEZNS1_10merge_implIS3_NS0_12zip_iteratorINS5_IJN6thrust23THRUST_200600_302600_NS6detail15normal_iteratorINSC_10device_ptrIKsEEEESI_EEEEESK_NSA_INS5_IJNSE_INSF_IsEEEESM_EEEEEPS7_SP_SP_NSC_11hip_rocprim7__merge17predicate_wrapperIssNSC_7greaterIsEEEEEE10hipError_tPvRmT0_T1_T2_T3_T4_T5_mmT6_P12ihipStream_tbEUlT_E0_NS1_11comp_targetILNS1_3genE9ELNS1_11target_archE1100ELNS1_3gpuE3ELNS1_3repE0EEENS1_30default_config_static_selectorELNS0_4arch9wavefront6targetE0EEEvS10_.uses_vcc, 0
	.set _ZN7rocprim17ROCPRIM_400000_NS6detail17trampoline_kernelINS0_14default_configENS1_21merge_config_selectorINS0_5tupleIJssEEENS0_10empty_typeEEEZNS1_10merge_implIS3_NS0_12zip_iteratorINS5_IJN6thrust23THRUST_200600_302600_NS6detail15normal_iteratorINSC_10device_ptrIKsEEEESI_EEEEESK_NSA_INS5_IJNSE_INSF_IsEEEESM_EEEEEPS7_SP_SP_NSC_11hip_rocprim7__merge17predicate_wrapperIssNSC_7greaterIsEEEEEE10hipError_tPvRmT0_T1_T2_T3_T4_T5_mmT6_P12ihipStream_tbEUlT_E0_NS1_11comp_targetILNS1_3genE9ELNS1_11target_archE1100ELNS1_3gpuE3ELNS1_3repE0EEENS1_30default_config_static_selectorELNS0_4arch9wavefront6targetE0EEEvS10_.uses_flat_scratch, 0
	.set _ZN7rocprim17ROCPRIM_400000_NS6detail17trampoline_kernelINS0_14default_configENS1_21merge_config_selectorINS0_5tupleIJssEEENS0_10empty_typeEEEZNS1_10merge_implIS3_NS0_12zip_iteratorINS5_IJN6thrust23THRUST_200600_302600_NS6detail15normal_iteratorINSC_10device_ptrIKsEEEESI_EEEEESK_NSA_INS5_IJNSE_INSF_IsEEEESM_EEEEEPS7_SP_SP_NSC_11hip_rocprim7__merge17predicate_wrapperIssNSC_7greaterIsEEEEEE10hipError_tPvRmT0_T1_T2_T3_T4_T5_mmT6_P12ihipStream_tbEUlT_E0_NS1_11comp_targetILNS1_3genE9ELNS1_11target_archE1100ELNS1_3gpuE3ELNS1_3repE0EEENS1_30default_config_static_selectorELNS0_4arch9wavefront6targetE0EEEvS10_.has_dyn_sized_stack, 0
	.set _ZN7rocprim17ROCPRIM_400000_NS6detail17trampoline_kernelINS0_14default_configENS1_21merge_config_selectorINS0_5tupleIJssEEENS0_10empty_typeEEEZNS1_10merge_implIS3_NS0_12zip_iteratorINS5_IJN6thrust23THRUST_200600_302600_NS6detail15normal_iteratorINSC_10device_ptrIKsEEEESI_EEEEESK_NSA_INS5_IJNSE_INSF_IsEEEESM_EEEEEPS7_SP_SP_NSC_11hip_rocprim7__merge17predicate_wrapperIssNSC_7greaterIsEEEEEE10hipError_tPvRmT0_T1_T2_T3_T4_T5_mmT6_P12ihipStream_tbEUlT_E0_NS1_11comp_targetILNS1_3genE9ELNS1_11target_archE1100ELNS1_3gpuE3ELNS1_3repE0EEENS1_30default_config_static_selectorELNS0_4arch9wavefront6targetE0EEEvS10_.has_recursion, 0
	.set _ZN7rocprim17ROCPRIM_400000_NS6detail17trampoline_kernelINS0_14default_configENS1_21merge_config_selectorINS0_5tupleIJssEEENS0_10empty_typeEEEZNS1_10merge_implIS3_NS0_12zip_iteratorINS5_IJN6thrust23THRUST_200600_302600_NS6detail15normal_iteratorINSC_10device_ptrIKsEEEESI_EEEEESK_NSA_INS5_IJNSE_INSF_IsEEEESM_EEEEEPS7_SP_SP_NSC_11hip_rocprim7__merge17predicate_wrapperIssNSC_7greaterIsEEEEEE10hipError_tPvRmT0_T1_T2_T3_T4_T5_mmT6_P12ihipStream_tbEUlT_E0_NS1_11comp_targetILNS1_3genE9ELNS1_11target_archE1100ELNS1_3gpuE3ELNS1_3repE0EEENS1_30default_config_static_selectorELNS0_4arch9wavefront6targetE0EEEvS10_.has_indirect_call, 0
	.section	.AMDGPU.csdata,"",@progbits
; Kernel info:
; codeLenInByte = 0
; TotalNumSgprs: 0
; NumVgprs: 0
; ScratchSize: 0
; MemoryBound: 0
; FloatMode: 240
; IeeeMode: 1
; LDSByteSize: 0 bytes/workgroup (compile time only)
; SGPRBlocks: 0
; VGPRBlocks: 0
; NumSGPRsForWavesPerEU: 1
; NumVGPRsForWavesPerEU: 1
; NamedBarCnt: 0
; Occupancy: 16
; WaveLimiterHint : 0
; COMPUTE_PGM_RSRC2:SCRATCH_EN: 0
; COMPUTE_PGM_RSRC2:USER_SGPR: 2
; COMPUTE_PGM_RSRC2:TRAP_HANDLER: 0
; COMPUTE_PGM_RSRC2:TGID_X_EN: 1
; COMPUTE_PGM_RSRC2:TGID_Y_EN: 0
; COMPUTE_PGM_RSRC2:TGID_Z_EN: 0
; COMPUTE_PGM_RSRC2:TIDIG_COMP_CNT: 0
	.section	.text._ZN7rocprim17ROCPRIM_400000_NS6detail17trampoline_kernelINS0_14default_configENS1_21merge_config_selectorINS0_5tupleIJssEEENS0_10empty_typeEEEZNS1_10merge_implIS3_NS0_12zip_iteratorINS5_IJN6thrust23THRUST_200600_302600_NS6detail15normal_iteratorINSC_10device_ptrIKsEEEESI_EEEEESK_NSA_INS5_IJNSE_INSF_IsEEEESM_EEEEEPS7_SP_SP_NSC_11hip_rocprim7__merge17predicate_wrapperIssNSC_7greaterIsEEEEEE10hipError_tPvRmT0_T1_T2_T3_T4_T5_mmT6_P12ihipStream_tbEUlT_E0_NS1_11comp_targetILNS1_3genE8ELNS1_11target_archE1030ELNS1_3gpuE2ELNS1_3repE0EEENS1_30default_config_static_selectorELNS0_4arch9wavefront6targetE0EEEvS10_,"axG",@progbits,_ZN7rocprim17ROCPRIM_400000_NS6detail17trampoline_kernelINS0_14default_configENS1_21merge_config_selectorINS0_5tupleIJssEEENS0_10empty_typeEEEZNS1_10merge_implIS3_NS0_12zip_iteratorINS5_IJN6thrust23THRUST_200600_302600_NS6detail15normal_iteratorINSC_10device_ptrIKsEEEESI_EEEEESK_NSA_INS5_IJNSE_INSF_IsEEEESM_EEEEEPS7_SP_SP_NSC_11hip_rocprim7__merge17predicate_wrapperIssNSC_7greaterIsEEEEEE10hipError_tPvRmT0_T1_T2_T3_T4_T5_mmT6_P12ihipStream_tbEUlT_E0_NS1_11comp_targetILNS1_3genE8ELNS1_11target_archE1030ELNS1_3gpuE2ELNS1_3repE0EEENS1_30default_config_static_selectorELNS0_4arch9wavefront6targetE0EEEvS10_,comdat
	.protected	_ZN7rocprim17ROCPRIM_400000_NS6detail17trampoline_kernelINS0_14default_configENS1_21merge_config_selectorINS0_5tupleIJssEEENS0_10empty_typeEEEZNS1_10merge_implIS3_NS0_12zip_iteratorINS5_IJN6thrust23THRUST_200600_302600_NS6detail15normal_iteratorINSC_10device_ptrIKsEEEESI_EEEEESK_NSA_INS5_IJNSE_INSF_IsEEEESM_EEEEEPS7_SP_SP_NSC_11hip_rocprim7__merge17predicate_wrapperIssNSC_7greaterIsEEEEEE10hipError_tPvRmT0_T1_T2_T3_T4_T5_mmT6_P12ihipStream_tbEUlT_E0_NS1_11comp_targetILNS1_3genE8ELNS1_11target_archE1030ELNS1_3gpuE2ELNS1_3repE0EEENS1_30default_config_static_selectorELNS0_4arch9wavefront6targetE0EEEvS10_ ; -- Begin function _ZN7rocprim17ROCPRIM_400000_NS6detail17trampoline_kernelINS0_14default_configENS1_21merge_config_selectorINS0_5tupleIJssEEENS0_10empty_typeEEEZNS1_10merge_implIS3_NS0_12zip_iteratorINS5_IJN6thrust23THRUST_200600_302600_NS6detail15normal_iteratorINSC_10device_ptrIKsEEEESI_EEEEESK_NSA_INS5_IJNSE_INSF_IsEEEESM_EEEEEPS7_SP_SP_NSC_11hip_rocprim7__merge17predicate_wrapperIssNSC_7greaterIsEEEEEE10hipError_tPvRmT0_T1_T2_T3_T4_T5_mmT6_P12ihipStream_tbEUlT_E0_NS1_11comp_targetILNS1_3genE8ELNS1_11target_archE1030ELNS1_3gpuE2ELNS1_3repE0EEENS1_30default_config_static_selectorELNS0_4arch9wavefront6targetE0EEEvS10_
	.globl	_ZN7rocprim17ROCPRIM_400000_NS6detail17trampoline_kernelINS0_14default_configENS1_21merge_config_selectorINS0_5tupleIJssEEENS0_10empty_typeEEEZNS1_10merge_implIS3_NS0_12zip_iteratorINS5_IJN6thrust23THRUST_200600_302600_NS6detail15normal_iteratorINSC_10device_ptrIKsEEEESI_EEEEESK_NSA_INS5_IJNSE_INSF_IsEEEESM_EEEEEPS7_SP_SP_NSC_11hip_rocprim7__merge17predicate_wrapperIssNSC_7greaterIsEEEEEE10hipError_tPvRmT0_T1_T2_T3_T4_T5_mmT6_P12ihipStream_tbEUlT_E0_NS1_11comp_targetILNS1_3genE8ELNS1_11target_archE1030ELNS1_3gpuE2ELNS1_3repE0EEENS1_30default_config_static_selectorELNS0_4arch9wavefront6targetE0EEEvS10_
	.p2align	8
	.type	_ZN7rocprim17ROCPRIM_400000_NS6detail17trampoline_kernelINS0_14default_configENS1_21merge_config_selectorINS0_5tupleIJssEEENS0_10empty_typeEEEZNS1_10merge_implIS3_NS0_12zip_iteratorINS5_IJN6thrust23THRUST_200600_302600_NS6detail15normal_iteratorINSC_10device_ptrIKsEEEESI_EEEEESK_NSA_INS5_IJNSE_INSF_IsEEEESM_EEEEEPS7_SP_SP_NSC_11hip_rocprim7__merge17predicate_wrapperIssNSC_7greaterIsEEEEEE10hipError_tPvRmT0_T1_T2_T3_T4_T5_mmT6_P12ihipStream_tbEUlT_E0_NS1_11comp_targetILNS1_3genE8ELNS1_11target_archE1030ELNS1_3gpuE2ELNS1_3repE0EEENS1_30default_config_static_selectorELNS0_4arch9wavefront6targetE0EEEvS10_,@function
_ZN7rocprim17ROCPRIM_400000_NS6detail17trampoline_kernelINS0_14default_configENS1_21merge_config_selectorINS0_5tupleIJssEEENS0_10empty_typeEEEZNS1_10merge_implIS3_NS0_12zip_iteratorINS5_IJN6thrust23THRUST_200600_302600_NS6detail15normal_iteratorINSC_10device_ptrIKsEEEESI_EEEEESK_NSA_INS5_IJNSE_INSF_IsEEEESM_EEEEEPS7_SP_SP_NSC_11hip_rocprim7__merge17predicate_wrapperIssNSC_7greaterIsEEEEEE10hipError_tPvRmT0_T1_T2_T3_T4_T5_mmT6_P12ihipStream_tbEUlT_E0_NS1_11comp_targetILNS1_3genE8ELNS1_11target_archE1030ELNS1_3gpuE2ELNS1_3repE0EEENS1_30default_config_static_selectorELNS0_4arch9wavefront6targetE0EEEvS10_: ; @_ZN7rocprim17ROCPRIM_400000_NS6detail17trampoline_kernelINS0_14default_configENS1_21merge_config_selectorINS0_5tupleIJssEEENS0_10empty_typeEEEZNS1_10merge_implIS3_NS0_12zip_iteratorINS5_IJN6thrust23THRUST_200600_302600_NS6detail15normal_iteratorINSC_10device_ptrIKsEEEESI_EEEEESK_NSA_INS5_IJNSE_INSF_IsEEEESM_EEEEEPS7_SP_SP_NSC_11hip_rocprim7__merge17predicate_wrapperIssNSC_7greaterIsEEEEEE10hipError_tPvRmT0_T1_T2_T3_T4_T5_mmT6_P12ihipStream_tbEUlT_E0_NS1_11comp_targetILNS1_3genE8ELNS1_11target_archE1030ELNS1_3gpuE2ELNS1_3repE0EEENS1_30default_config_static_selectorELNS0_4arch9wavefront6targetE0EEEvS10_
; %bb.0:
	.section	.rodata,"a",@progbits
	.p2align	6, 0x0
	.amdhsa_kernel _ZN7rocprim17ROCPRIM_400000_NS6detail17trampoline_kernelINS0_14default_configENS1_21merge_config_selectorINS0_5tupleIJssEEENS0_10empty_typeEEEZNS1_10merge_implIS3_NS0_12zip_iteratorINS5_IJN6thrust23THRUST_200600_302600_NS6detail15normal_iteratorINSC_10device_ptrIKsEEEESI_EEEEESK_NSA_INS5_IJNSE_INSF_IsEEEESM_EEEEEPS7_SP_SP_NSC_11hip_rocprim7__merge17predicate_wrapperIssNSC_7greaterIsEEEEEE10hipError_tPvRmT0_T1_T2_T3_T4_T5_mmT6_P12ihipStream_tbEUlT_E0_NS1_11comp_targetILNS1_3genE8ELNS1_11target_archE1030ELNS1_3gpuE2ELNS1_3repE0EEENS1_30default_config_static_selectorELNS0_4arch9wavefront6targetE0EEEvS10_
		.amdhsa_group_segment_fixed_size 0
		.amdhsa_private_segment_fixed_size 0
		.amdhsa_kernarg_size 112
		.amdhsa_user_sgpr_count 2
		.amdhsa_user_sgpr_dispatch_ptr 0
		.amdhsa_user_sgpr_queue_ptr 0
		.amdhsa_user_sgpr_kernarg_segment_ptr 1
		.amdhsa_user_sgpr_dispatch_id 0
		.amdhsa_user_sgpr_kernarg_preload_length 0
		.amdhsa_user_sgpr_kernarg_preload_offset 0
		.amdhsa_user_sgpr_private_segment_size 0
		.amdhsa_wavefront_size32 1
		.amdhsa_uses_dynamic_stack 0
		.amdhsa_enable_private_segment 0
		.amdhsa_system_sgpr_workgroup_id_x 1
		.amdhsa_system_sgpr_workgroup_id_y 0
		.amdhsa_system_sgpr_workgroup_id_z 0
		.amdhsa_system_sgpr_workgroup_info 0
		.amdhsa_system_vgpr_workitem_id 0
		.amdhsa_next_free_vgpr 1
		.amdhsa_next_free_sgpr 1
		.amdhsa_named_barrier_count 0
		.amdhsa_reserve_vcc 0
		.amdhsa_float_round_mode_32 0
		.amdhsa_float_round_mode_16_64 0
		.amdhsa_float_denorm_mode_32 3
		.amdhsa_float_denorm_mode_16_64 3
		.amdhsa_fp16_overflow 0
		.amdhsa_memory_ordered 1
		.amdhsa_forward_progress 1
		.amdhsa_inst_pref_size 0
		.amdhsa_round_robin_scheduling 0
		.amdhsa_exception_fp_ieee_invalid_op 0
		.amdhsa_exception_fp_denorm_src 0
		.amdhsa_exception_fp_ieee_div_zero 0
		.amdhsa_exception_fp_ieee_overflow 0
		.amdhsa_exception_fp_ieee_underflow 0
		.amdhsa_exception_fp_ieee_inexact 0
		.amdhsa_exception_int_div_zero 0
	.end_amdhsa_kernel
	.section	.text._ZN7rocprim17ROCPRIM_400000_NS6detail17trampoline_kernelINS0_14default_configENS1_21merge_config_selectorINS0_5tupleIJssEEENS0_10empty_typeEEEZNS1_10merge_implIS3_NS0_12zip_iteratorINS5_IJN6thrust23THRUST_200600_302600_NS6detail15normal_iteratorINSC_10device_ptrIKsEEEESI_EEEEESK_NSA_INS5_IJNSE_INSF_IsEEEESM_EEEEEPS7_SP_SP_NSC_11hip_rocprim7__merge17predicate_wrapperIssNSC_7greaterIsEEEEEE10hipError_tPvRmT0_T1_T2_T3_T4_T5_mmT6_P12ihipStream_tbEUlT_E0_NS1_11comp_targetILNS1_3genE8ELNS1_11target_archE1030ELNS1_3gpuE2ELNS1_3repE0EEENS1_30default_config_static_selectorELNS0_4arch9wavefront6targetE0EEEvS10_,"axG",@progbits,_ZN7rocprim17ROCPRIM_400000_NS6detail17trampoline_kernelINS0_14default_configENS1_21merge_config_selectorINS0_5tupleIJssEEENS0_10empty_typeEEEZNS1_10merge_implIS3_NS0_12zip_iteratorINS5_IJN6thrust23THRUST_200600_302600_NS6detail15normal_iteratorINSC_10device_ptrIKsEEEESI_EEEEESK_NSA_INS5_IJNSE_INSF_IsEEEESM_EEEEEPS7_SP_SP_NSC_11hip_rocprim7__merge17predicate_wrapperIssNSC_7greaterIsEEEEEE10hipError_tPvRmT0_T1_T2_T3_T4_T5_mmT6_P12ihipStream_tbEUlT_E0_NS1_11comp_targetILNS1_3genE8ELNS1_11target_archE1030ELNS1_3gpuE2ELNS1_3repE0EEENS1_30default_config_static_selectorELNS0_4arch9wavefront6targetE0EEEvS10_,comdat
.Lfunc_end460:
	.size	_ZN7rocprim17ROCPRIM_400000_NS6detail17trampoline_kernelINS0_14default_configENS1_21merge_config_selectorINS0_5tupleIJssEEENS0_10empty_typeEEEZNS1_10merge_implIS3_NS0_12zip_iteratorINS5_IJN6thrust23THRUST_200600_302600_NS6detail15normal_iteratorINSC_10device_ptrIKsEEEESI_EEEEESK_NSA_INS5_IJNSE_INSF_IsEEEESM_EEEEEPS7_SP_SP_NSC_11hip_rocprim7__merge17predicate_wrapperIssNSC_7greaterIsEEEEEE10hipError_tPvRmT0_T1_T2_T3_T4_T5_mmT6_P12ihipStream_tbEUlT_E0_NS1_11comp_targetILNS1_3genE8ELNS1_11target_archE1030ELNS1_3gpuE2ELNS1_3repE0EEENS1_30default_config_static_selectorELNS0_4arch9wavefront6targetE0EEEvS10_, .Lfunc_end460-_ZN7rocprim17ROCPRIM_400000_NS6detail17trampoline_kernelINS0_14default_configENS1_21merge_config_selectorINS0_5tupleIJssEEENS0_10empty_typeEEEZNS1_10merge_implIS3_NS0_12zip_iteratorINS5_IJN6thrust23THRUST_200600_302600_NS6detail15normal_iteratorINSC_10device_ptrIKsEEEESI_EEEEESK_NSA_INS5_IJNSE_INSF_IsEEEESM_EEEEEPS7_SP_SP_NSC_11hip_rocprim7__merge17predicate_wrapperIssNSC_7greaterIsEEEEEE10hipError_tPvRmT0_T1_T2_T3_T4_T5_mmT6_P12ihipStream_tbEUlT_E0_NS1_11comp_targetILNS1_3genE8ELNS1_11target_archE1030ELNS1_3gpuE2ELNS1_3repE0EEENS1_30default_config_static_selectorELNS0_4arch9wavefront6targetE0EEEvS10_
                                        ; -- End function
	.set _ZN7rocprim17ROCPRIM_400000_NS6detail17trampoline_kernelINS0_14default_configENS1_21merge_config_selectorINS0_5tupleIJssEEENS0_10empty_typeEEEZNS1_10merge_implIS3_NS0_12zip_iteratorINS5_IJN6thrust23THRUST_200600_302600_NS6detail15normal_iteratorINSC_10device_ptrIKsEEEESI_EEEEESK_NSA_INS5_IJNSE_INSF_IsEEEESM_EEEEEPS7_SP_SP_NSC_11hip_rocprim7__merge17predicate_wrapperIssNSC_7greaterIsEEEEEE10hipError_tPvRmT0_T1_T2_T3_T4_T5_mmT6_P12ihipStream_tbEUlT_E0_NS1_11comp_targetILNS1_3genE8ELNS1_11target_archE1030ELNS1_3gpuE2ELNS1_3repE0EEENS1_30default_config_static_selectorELNS0_4arch9wavefront6targetE0EEEvS10_.num_vgpr, 0
	.set _ZN7rocprim17ROCPRIM_400000_NS6detail17trampoline_kernelINS0_14default_configENS1_21merge_config_selectorINS0_5tupleIJssEEENS0_10empty_typeEEEZNS1_10merge_implIS3_NS0_12zip_iteratorINS5_IJN6thrust23THRUST_200600_302600_NS6detail15normal_iteratorINSC_10device_ptrIKsEEEESI_EEEEESK_NSA_INS5_IJNSE_INSF_IsEEEESM_EEEEEPS7_SP_SP_NSC_11hip_rocprim7__merge17predicate_wrapperIssNSC_7greaterIsEEEEEE10hipError_tPvRmT0_T1_T2_T3_T4_T5_mmT6_P12ihipStream_tbEUlT_E0_NS1_11comp_targetILNS1_3genE8ELNS1_11target_archE1030ELNS1_3gpuE2ELNS1_3repE0EEENS1_30default_config_static_selectorELNS0_4arch9wavefront6targetE0EEEvS10_.num_agpr, 0
	.set _ZN7rocprim17ROCPRIM_400000_NS6detail17trampoline_kernelINS0_14default_configENS1_21merge_config_selectorINS0_5tupleIJssEEENS0_10empty_typeEEEZNS1_10merge_implIS3_NS0_12zip_iteratorINS5_IJN6thrust23THRUST_200600_302600_NS6detail15normal_iteratorINSC_10device_ptrIKsEEEESI_EEEEESK_NSA_INS5_IJNSE_INSF_IsEEEESM_EEEEEPS7_SP_SP_NSC_11hip_rocprim7__merge17predicate_wrapperIssNSC_7greaterIsEEEEEE10hipError_tPvRmT0_T1_T2_T3_T4_T5_mmT6_P12ihipStream_tbEUlT_E0_NS1_11comp_targetILNS1_3genE8ELNS1_11target_archE1030ELNS1_3gpuE2ELNS1_3repE0EEENS1_30default_config_static_selectorELNS0_4arch9wavefront6targetE0EEEvS10_.numbered_sgpr, 0
	.set _ZN7rocprim17ROCPRIM_400000_NS6detail17trampoline_kernelINS0_14default_configENS1_21merge_config_selectorINS0_5tupleIJssEEENS0_10empty_typeEEEZNS1_10merge_implIS3_NS0_12zip_iteratorINS5_IJN6thrust23THRUST_200600_302600_NS6detail15normal_iteratorINSC_10device_ptrIKsEEEESI_EEEEESK_NSA_INS5_IJNSE_INSF_IsEEEESM_EEEEEPS7_SP_SP_NSC_11hip_rocprim7__merge17predicate_wrapperIssNSC_7greaterIsEEEEEE10hipError_tPvRmT0_T1_T2_T3_T4_T5_mmT6_P12ihipStream_tbEUlT_E0_NS1_11comp_targetILNS1_3genE8ELNS1_11target_archE1030ELNS1_3gpuE2ELNS1_3repE0EEENS1_30default_config_static_selectorELNS0_4arch9wavefront6targetE0EEEvS10_.num_named_barrier, 0
	.set _ZN7rocprim17ROCPRIM_400000_NS6detail17trampoline_kernelINS0_14default_configENS1_21merge_config_selectorINS0_5tupleIJssEEENS0_10empty_typeEEEZNS1_10merge_implIS3_NS0_12zip_iteratorINS5_IJN6thrust23THRUST_200600_302600_NS6detail15normal_iteratorINSC_10device_ptrIKsEEEESI_EEEEESK_NSA_INS5_IJNSE_INSF_IsEEEESM_EEEEEPS7_SP_SP_NSC_11hip_rocprim7__merge17predicate_wrapperIssNSC_7greaterIsEEEEEE10hipError_tPvRmT0_T1_T2_T3_T4_T5_mmT6_P12ihipStream_tbEUlT_E0_NS1_11comp_targetILNS1_3genE8ELNS1_11target_archE1030ELNS1_3gpuE2ELNS1_3repE0EEENS1_30default_config_static_selectorELNS0_4arch9wavefront6targetE0EEEvS10_.private_seg_size, 0
	.set _ZN7rocprim17ROCPRIM_400000_NS6detail17trampoline_kernelINS0_14default_configENS1_21merge_config_selectorINS0_5tupleIJssEEENS0_10empty_typeEEEZNS1_10merge_implIS3_NS0_12zip_iteratorINS5_IJN6thrust23THRUST_200600_302600_NS6detail15normal_iteratorINSC_10device_ptrIKsEEEESI_EEEEESK_NSA_INS5_IJNSE_INSF_IsEEEESM_EEEEEPS7_SP_SP_NSC_11hip_rocprim7__merge17predicate_wrapperIssNSC_7greaterIsEEEEEE10hipError_tPvRmT0_T1_T2_T3_T4_T5_mmT6_P12ihipStream_tbEUlT_E0_NS1_11comp_targetILNS1_3genE8ELNS1_11target_archE1030ELNS1_3gpuE2ELNS1_3repE0EEENS1_30default_config_static_selectorELNS0_4arch9wavefront6targetE0EEEvS10_.uses_vcc, 0
	.set _ZN7rocprim17ROCPRIM_400000_NS6detail17trampoline_kernelINS0_14default_configENS1_21merge_config_selectorINS0_5tupleIJssEEENS0_10empty_typeEEEZNS1_10merge_implIS3_NS0_12zip_iteratorINS5_IJN6thrust23THRUST_200600_302600_NS6detail15normal_iteratorINSC_10device_ptrIKsEEEESI_EEEEESK_NSA_INS5_IJNSE_INSF_IsEEEESM_EEEEEPS7_SP_SP_NSC_11hip_rocprim7__merge17predicate_wrapperIssNSC_7greaterIsEEEEEE10hipError_tPvRmT0_T1_T2_T3_T4_T5_mmT6_P12ihipStream_tbEUlT_E0_NS1_11comp_targetILNS1_3genE8ELNS1_11target_archE1030ELNS1_3gpuE2ELNS1_3repE0EEENS1_30default_config_static_selectorELNS0_4arch9wavefront6targetE0EEEvS10_.uses_flat_scratch, 0
	.set _ZN7rocprim17ROCPRIM_400000_NS6detail17trampoline_kernelINS0_14default_configENS1_21merge_config_selectorINS0_5tupleIJssEEENS0_10empty_typeEEEZNS1_10merge_implIS3_NS0_12zip_iteratorINS5_IJN6thrust23THRUST_200600_302600_NS6detail15normal_iteratorINSC_10device_ptrIKsEEEESI_EEEEESK_NSA_INS5_IJNSE_INSF_IsEEEESM_EEEEEPS7_SP_SP_NSC_11hip_rocprim7__merge17predicate_wrapperIssNSC_7greaterIsEEEEEE10hipError_tPvRmT0_T1_T2_T3_T4_T5_mmT6_P12ihipStream_tbEUlT_E0_NS1_11comp_targetILNS1_3genE8ELNS1_11target_archE1030ELNS1_3gpuE2ELNS1_3repE0EEENS1_30default_config_static_selectorELNS0_4arch9wavefront6targetE0EEEvS10_.has_dyn_sized_stack, 0
	.set _ZN7rocprim17ROCPRIM_400000_NS6detail17trampoline_kernelINS0_14default_configENS1_21merge_config_selectorINS0_5tupleIJssEEENS0_10empty_typeEEEZNS1_10merge_implIS3_NS0_12zip_iteratorINS5_IJN6thrust23THRUST_200600_302600_NS6detail15normal_iteratorINSC_10device_ptrIKsEEEESI_EEEEESK_NSA_INS5_IJNSE_INSF_IsEEEESM_EEEEEPS7_SP_SP_NSC_11hip_rocprim7__merge17predicate_wrapperIssNSC_7greaterIsEEEEEE10hipError_tPvRmT0_T1_T2_T3_T4_T5_mmT6_P12ihipStream_tbEUlT_E0_NS1_11comp_targetILNS1_3genE8ELNS1_11target_archE1030ELNS1_3gpuE2ELNS1_3repE0EEENS1_30default_config_static_selectorELNS0_4arch9wavefront6targetE0EEEvS10_.has_recursion, 0
	.set _ZN7rocprim17ROCPRIM_400000_NS6detail17trampoline_kernelINS0_14default_configENS1_21merge_config_selectorINS0_5tupleIJssEEENS0_10empty_typeEEEZNS1_10merge_implIS3_NS0_12zip_iteratorINS5_IJN6thrust23THRUST_200600_302600_NS6detail15normal_iteratorINSC_10device_ptrIKsEEEESI_EEEEESK_NSA_INS5_IJNSE_INSF_IsEEEESM_EEEEEPS7_SP_SP_NSC_11hip_rocprim7__merge17predicate_wrapperIssNSC_7greaterIsEEEEEE10hipError_tPvRmT0_T1_T2_T3_T4_T5_mmT6_P12ihipStream_tbEUlT_E0_NS1_11comp_targetILNS1_3genE8ELNS1_11target_archE1030ELNS1_3gpuE2ELNS1_3repE0EEENS1_30default_config_static_selectorELNS0_4arch9wavefront6targetE0EEEvS10_.has_indirect_call, 0
	.section	.AMDGPU.csdata,"",@progbits
; Kernel info:
; codeLenInByte = 0
; TotalNumSgprs: 0
; NumVgprs: 0
; ScratchSize: 0
; MemoryBound: 0
; FloatMode: 240
; IeeeMode: 1
; LDSByteSize: 0 bytes/workgroup (compile time only)
; SGPRBlocks: 0
; VGPRBlocks: 0
; NumSGPRsForWavesPerEU: 1
; NumVGPRsForWavesPerEU: 1
; NamedBarCnt: 0
; Occupancy: 16
; WaveLimiterHint : 0
; COMPUTE_PGM_RSRC2:SCRATCH_EN: 0
; COMPUTE_PGM_RSRC2:USER_SGPR: 2
; COMPUTE_PGM_RSRC2:TRAP_HANDLER: 0
; COMPUTE_PGM_RSRC2:TGID_X_EN: 1
; COMPUTE_PGM_RSRC2:TGID_Y_EN: 0
; COMPUTE_PGM_RSRC2:TGID_Z_EN: 0
; COMPUTE_PGM_RSRC2:TIDIG_COMP_CNT: 0
	.section	.text._ZN7rocprim17ROCPRIM_400000_NS6detail17trampoline_kernelINS0_14default_configENS1_21merge_config_selectorINS0_5tupleIJyyEEENS0_10empty_typeEEEZNS1_10merge_implIS3_NS0_12zip_iteratorINS5_IJN6thrust23THRUST_200600_302600_NS6detail15normal_iteratorINSC_10device_ptrIKyEEEESI_EEEEESK_NSA_INS5_IJNSE_INSF_IyEEEESM_EEEEEPS7_SP_SP_NSC_11hip_rocprim7__merge17predicate_wrapperIyyNSC_4lessImEEEEEE10hipError_tPvRmT0_T1_T2_T3_T4_T5_mmT6_P12ihipStream_tbEUlT_E_NS1_11comp_targetILNS1_3genE0ELNS1_11target_archE4294967295ELNS1_3gpuE0ELNS1_3repE0EEENS1_30default_config_static_selectorELNS0_4arch9wavefront6targetE0EEEvS10_,"axG",@progbits,_ZN7rocprim17ROCPRIM_400000_NS6detail17trampoline_kernelINS0_14default_configENS1_21merge_config_selectorINS0_5tupleIJyyEEENS0_10empty_typeEEEZNS1_10merge_implIS3_NS0_12zip_iteratorINS5_IJN6thrust23THRUST_200600_302600_NS6detail15normal_iteratorINSC_10device_ptrIKyEEEESI_EEEEESK_NSA_INS5_IJNSE_INSF_IyEEEESM_EEEEEPS7_SP_SP_NSC_11hip_rocprim7__merge17predicate_wrapperIyyNSC_4lessImEEEEEE10hipError_tPvRmT0_T1_T2_T3_T4_T5_mmT6_P12ihipStream_tbEUlT_E_NS1_11comp_targetILNS1_3genE0ELNS1_11target_archE4294967295ELNS1_3gpuE0ELNS1_3repE0EEENS1_30default_config_static_selectorELNS0_4arch9wavefront6targetE0EEEvS10_,comdat
	.protected	_ZN7rocprim17ROCPRIM_400000_NS6detail17trampoline_kernelINS0_14default_configENS1_21merge_config_selectorINS0_5tupleIJyyEEENS0_10empty_typeEEEZNS1_10merge_implIS3_NS0_12zip_iteratorINS5_IJN6thrust23THRUST_200600_302600_NS6detail15normal_iteratorINSC_10device_ptrIKyEEEESI_EEEEESK_NSA_INS5_IJNSE_INSF_IyEEEESM_EEEEEPS7_SP_SP_NSC_11hip_rocprim7__merge17predicate_wrapperIyyNSC_4lessImEEEEEE10hipError_tPvRmT0_T1_T2_T3_T4_T5_mmT6_P12ihipStream_tbEUlT_E_NS1_11comp_targetILNS1_3genE0ELNS1_11target_archE4294967295ELNS1_3gpuE0ELNS1_3repE0EEENS1_30default_config_static_selectorELNS0_4arch9wavefront6targetE0EEEvS10_ ; -- Begin function _ZN7rocprim17ROCPRIM_400000_NS6detail17trampoline_kernelINS0_14default_configENS1_21merge_config_selectorINS0_5tupleIJyyEEENS0_10empty_typeEEEZNS1_10merge_implIS3_NS0_12zip_iteratorINS5_IJN6thrust23THRUST_200600_302600_NS6detail15normal_iteratorINSC_10device_ptrIKyEEEESI_EEEEESK_NSA_INS5_IJNSE_INSF_IyEEEESM_EEEEEPS7_SP_SP_NSC_11hip_rocprim7__merge17predicate_wrapperIyyNSC_4lessImEEEEEE10hipError_tPvRmT0_T1_T2_T3_T4_T5_mmT6_P12ihipStream_tbEUlT_E_NS1_11comp_targetILNS1_3genE0ELNS1_11target_archE4294967295ELNS1_3gpuE0ELNS1_3repE0EEENS1_30default_config_static_selectorELNS0_4arch9wavefront6targetE0EEEvS10_
	.globl	_ZN7rocprim17ROCPRIM_400000_NS6detail17trampoline_kernelINS0_14default_configENS1_21merge_config_selectorINS0_5tupleIJyyEEENS0_10empty_typeEEEZNS1_10merge_implIS3_NS0_12zip_iteratorINS5_IJN6thrust23THRUST_200600_302600_NS6detail15normal_iteratorINSC_10device_ptrIKyEEEESI_EEEEESK_NSA_INS5_IJNSE_INSF_IyEEEESM_EEEEEPS7_SP_SP_NSC_11hip_rocprim7__merge17predicate_wrapperIyyNSC_4lessImEEEEEE10hipError_tPvRmT0_T1_T2_T3_T4_T5_mmT6_P12ihipStream_tbEUlT_E_NS1_11comp_targetILNS1_3genE0ELNS1_11target_archE4294967295ELNS1_3gpuE0ELNS1_3repE0EEENS1_30default_config_static_selectorELNS0_4arch9wavefront6targetE0EEEvS10_
	.p2align	8
	.type	_ZN7rocprim17ROCPRIM_400000_NS6detail17trampoline_kernelINS0_14default_configENS1_21merge_config_selectorINS0_5tupleIJyyEEENS0_10empty_typeEEEZNS1_10merge_implIS3_NS0_12zip_iteratorINS5_IJN6thrust23THRUST_200600_302600_NS6detail15normal_iteratorINSC_10device_ptrIKyEEEESI_EEEEESK_NSA_INS5_IJNSE_INSF_IyEEEESM_EEEEEPS7_SP_SP_NSC_11hip_rocprim7__merge17predicate_wrapperIyyNSC_4lessImEEEEEE10hipError_tPvRmT0_T1_T2_T3_T4_T5_mmT6_P12ihipStream_tbEUlT_E_NS1_11comp_targetILNS1_3genE0ELNS1_11target_archE4294967295ELNS1_3gpuE0ELNS1_3repE0EEENS1_30default_config_static_selectorELNS0_4arch9wavefront6targetE0EEEvS10_,@function
_ZN7rocprim17ROCPRIM_400000_NS6detail17trampoline_kernelINS0_14default_configENS1_21merge_config_selectorINS0_5tupleIJyyEEENS0_10empty_typeEEEZNS1_10merge_implIS3_NS0_12zip_iteratorINS5_IJN6thrust23THRUST_200600_302600_NS6detail15normal_iteratorINSC_10device_ptrIKyEEEESI_EEEEESK_NSA_INS5_IJNSE_INSF_IyEEEESM_EEEEEPS7_SP_SP_NSC_11hip_rocprim7__merge17predicate_wrapperIyyNSC_4lessImEEEEEE10hipError_tPvRmT0_T1_T2_T3_T4_T5_mmT6_P12ihipStream_tbEUlT_E_NS1_11comp_targetILNS1_3genE0ELNS1_11target_archE4294967295ELNS1_3gpuE0ELNS1_3repE0EEENS1_30default_config_static_selectorELNS0_4arch9wavefront6targetE0EEEvS10_: ; @_ZN7rocprim17ROCPRIM_400000_NS6detail17trampoline_kernelINS0_14default_configENS1_21merge_config_selectorINS0_5tupleIJyyEEENS0_10empty_typeEEEZNS1_10merge_implIS3_NS0_12zip_iteratorINS5_IJN6thrust23THRUST_200600_302600_NS6detail15normal_iteratorINSC_10device_ptrIKyEEEESI_EEEEESK_NSA_INS5_IJNSE_INSF_IyEEEESM_EEEEEPS7_SP_SP_NSC_11hip_rocprim7__merge17predicate_wrapperIyyNSC_4lessImEEEEEE10hipError_tPvRmT0_T1_T2_T3_T4_T5_mmT6_P12ihipStream_tbEUlT_E_NS1_11comp_targetILNS1_3genE0ELNS1_11target_archE4294967295ELNS1_3gpuE0ELNS1_3repE0EEENS1_30default_config_static_selectorELNS0_4arch9wavefront6targetE0EEEvS10_
; %bb.0:
	s_clause 0x2
	s_load_b32 s4, s[0:1], 0x38
	s_load_b32 s2, s[0:1], 0x4c
	s_load_b128 s[8:11], s[0:1], 0x28
	s_getreg_b32 s7, hwreg(HW_REG_IB_STS2, 6, 4)
	s_wait_kmcnt 0x0
	s_cvt_f32_u32 s3, s4
	s_and_b32 s6, s2, 0xffff
	s_and_b32 s2, ttmp6, 15
	s_delay_alu instid0(SALU_CYCLE_1) | instskip(SKIP_1) | instid1(SALU_CYCLE_1)
	v_rcp_iflag_f32_e32 v1, s3
	s_bfe_u32 s3, ttmp6, 0x4000c
	s_add_co_i32 s3, s3, 1
	s_delay_alu instid0(SALU_CYCLE_1) | instskip(NEXT) | instid1(SALU_CYCLE_1)
	s_mul_i32 s3, ttmp9, s3
	s_add_co_i32 s2, s2, s3
	v_nop
	s_delay_alu instid0(TRANS32_DEP_1)
	v_readfirstlane_b32 s5, v1
	s_cmp_eq_u32 s7, 0
	s_cselect_b32 s7, ttmp9, s2
	s_sub_co_i32 s12, 0, s4
	s_mul_f32 s5, s5, 0x4f7ffffe
	s_add_nc_u64 s[2:3], s[10:11], s[8:9]
	v_mad_u32 v6, s7, s6, v0
	s_add_co_i32 s13, s4, s2
	s_cvt_u32_f32 s5, s5
	s_add_co_i32 s13, s13, -1
	s_delay_alu instid0(SALU_CYCLE_2) | instskip(NEXT) | instid1(SALU_CYCLE_1)
	s_mul_i32 s12, s12, s5
	s_mul_hi_u32 s12, s5, s12
	s_delay_alu instid0(SALU_CYCLE_1) | instskip(NEXT) | instid1(SALU_CYCLE_1)
	s_add_co_i32 s5, s5, s12
	s_mul_hi_u32 s5, s13, s5
	s_delay_alu instid0(SALU_CYCLE_1) | instskip(SKIP_2) | instid1(SALU_CYCLE_1)
	s_mul_i32 s12, s5, s4
	s_add_co_i32 s7, s5, 1
	s_sub_co_i32 s6, s13, s12
	s_sub_co_i32 s12, s6, s4
	s_cmp_ge_u32 s6, s4
	s_cselect_b32 s5, s7, s5
	s_cselect_b32 s6, s12, s6
	s_add_co_i32 s7, s5, 1
	s_cmp_ge_u32 s6, s4
	s_cselect_b32 s5, s7, s5
	s_delay_alu instid0(SALU_CYCLE_1)
	v_cmp_ge_u32_e32 vcc_lo, s5, v6
	s_and_saveexec_b32 s5, vcc_lo
	s_cbranch_execz .LBB461_6
; %bb.1:
	v_mul_lo_u32 v0, v6, s4
	v_mov_b32_e32 v1, 0
	s_load_b128 s[4:7], s[0:1], 0x0
	s_delay_alu instid0(VALU_DEP_1) | instskip(SKIP_1) | instid1(VALU_DEP_1)
	v_min_u64 v[4:5], v[0:1], s[2:3]
	s_mov_b32 s2, exec_lo
	v_max_u64 v[0:1], v[4:5], s[10:11]
	v_min_u64 v[2:3], v[4:5], s[8:9]
	s_delay_alu instid0(VALU_DEP_2) | instskip(NEXT) | instid1(VALU_DEP_1)
	v_sub_nc_u64_e64 v[0:1], v[0:1], s[10:11]
	v_cmpx_lt_u64_e64 v[0:1], v[2:3]
	s_cbranch_execz .LBB461_5
; %bb.2:
	s_wait_xcnt 0x0
	s_load_b64 s[0:1], s[0:1], 0x18
	s_wait_kmcnt 0x0
	v_lshl_add_u64 v[4:5], v[4:5], 3, s[0:1]
	s_mov_b32 s0, 0
.LBB461_3:                              ; =>This Inner Loop Header: Depth=1
	v_add_nc_u64_e32 v[8:9], v[2:3], v[0:1]
	s_delay_alu instid0(VALU_DEP_1) | instskip(NEXT) | instid1(VALU_DEP_1)
	v_lshrrev_b64 v[8:9], 1, v[8:9]
	v_lshlrev_b64_e32 v[10:11], 3, v[8:9]
	s_delay_alu instid0(VALU_DEP_1) | instskip(NEXT) | instid1(VALU_DEP_2)
	v_xor_b32_e32 v13, -1, v11
	v_xor_b32_e32 v12, -8, v10
	v_add_nc_u64_e32 v[10:11], s[6:7], v[10:11]
	s_delay_alu instid0(VALU_DEP_2)
	v_add_nc_u64_e32 v[12:13], v[4:5], v[12:13]
	global_load_b64 v[14:15], v[10:11], off
	global_load_b64 v[16:17], v[12:13], off
	s_wait_xcnt 0x1
	v_add_nc_u64_e32 v[10:11], 1, v[8:9]
	s_wait_loadcnt 0x0
	v_cmp_lt_u64_e32 vcc_lo, v[16:17], v[14:15]
	v_dual_cndmask_b32 v3, v3, v9 :: v_dual_cndmask_b32 v2, v2, v8
	s_delay_alu instid0(VALU_DEP_3) | instskip(NEXT) | instid1(VALU_DEP_1)
	v_dual_cndmask_b32 v1, v11, v1 :: v_dual_cndmask_b32 v0, v10, v0
	v_cmp_ge_u64_e32 vcc_lo, v[0:1], v[2:3]
	s_or_b32 s0, vcc_lo, s0
	s_delay_alu instid0(SALU_CYCLE_1)
	s_and_not1_b32 exec_lo, exec_lo, s0
	s_cbranch_execnz .LBB461_3
; %bb.4:
	s_or_b32 exec_lo, exec_lo, s0
.LBB461_5:
	s_delay_alu instid0(SALU_CYCLE_1)
	s_or_b32 exec_lo, exec_lo, s2
	s_wait_kmcnt 0x0
	global_store_b32 v6, v0, s[4:5] scale_offset
.LBB461_6:
	s_endpgm
	.section	.rodata,"a",@progbits
	.p2align	6, 0x0
	.amdhsa_kernel _ZN7rocprim17ROCPRIM_400000_NS6detail17trampoline_kernelINS0_14default_configENS1_21merge_config_selectorINS0_5tupleIJyyEEENS0_10empty_typeEEEZNS1_10merge_implIS3_NS0_12zip_iteratorINS5_IJN6thrust23THRUST_200600_302600_NS6detail15normal_iteratorINSC_10device_ptrIKyEEEESI_EEEEESK_NSA_INS5_IJNSE_INSF_IyEEEESM_EEEEEPS7_SP_SP_NSC_11hip_rocprim7__merge17predicate_wrapperIyyNSC_4lessImEEEEEE10hipError_tPvRmT0_T1_T2_T3_T4_T5_mmT6_P12ihipStream_tbEUlT_E_NS1_11comp_targetILNS1_3genE0ELNS1_11target_archE4294967295ELNS1_3gpuE0ELNS1_3repE0EEENS1_30default_config_static_selectorELNS0_4arch9wavefront6targetE0EEEvS10_
		.amdhsa_group_segment_fixed_size 0
		.amdhsa_private_segment_fixed_size 0
		.amdhsa_kernarg_size 320
		.amdhsa_user_sgpr_count 2
		.amdhsa_user_sgpr_dispatch_ptr 0
		.amdhsa_user_sgpr_queue_ptr 0
		.amdhsa_user_sgpr_kernarg_segment_ptr 1
		.amdhsa_user_sgpr_dispatch_id 0
		.amdhsa_user_sgpr_kernarg_preload_length 0
		.amdhsa_user_sgpr_kernarg_preload_offset 0
		.amdhsa_user_sgpr_private_segment_size 0
		.amdhsa_wavefront_size32 1
		.amdhsa_uses_dynamic_stack 0
		.amdhsa_enable_private_segment 0
		.amdhsa_system_sgpr_workgroup_id_x 1
		.amdhsa_system_sgpr_workgroup_id_y 0
		.amdhsa_system_sgpr_workgroup_id_z 0
		.amdhsa_system_sgpr_workgroup_info 0
		.amdhsa_system_vgpr_workitem_id 0
		.amdhsa_next_free_vgpr 18
		.amdhsa_next_free_sgpr 14
		.amdhsa_named_barrier_count 0
		.amdhsa_reserve_vcc 1
		.amdhsa_float_round_mode_32 0
		.amdhsa_float_round_mode_16_64 0
		.amdhsa_float_denorm_mode_32 3
		.amdhsa_float_denorm_mode_16_64 3
		.amdhsa_fp16_overflow 0
		.amdhsa_memory_ordered 1
		.amdhsa_forward_progress 1
		.amdhsa_inst_pref_size 4
		.amdhsa_round_robin_scheduling 0
		.amdhsa_exception_fp_ieee_invalid_op 0
		.amdhsa_exception_fp_denorm_src 0
		.amdhsa_exception_fp_ieee_div_zero 0
		.amdhsa_exception_fp_ieee_overflow 0
		.amdhsa_exception_fp_ieee_underflow 0
		.amdhsa_exception_fp_ieee_inexact 0
		.amdhsa_exception_int_div_zero 0
	.end_amdhsa_kernel
	.section	.text._ZN7rocprim17ROCPRIM_400000_NS6detail17trampoline_kernelINS0_14default_configENS1_21merge_config_selectorINS0_5tupleIJyyEEENS0_10empty_typeEEEZNS1_10merge_implIS3_NS0_12zip_iteratorINS5_IJN6thrust23THRUST_200600_302600_NS6detail15normal_iteratorINSC_10device_ptrIKyEEEESI_EEEEESK_NSA_INS5_IJNSE_INSF_IyEEEESM_EEEEEPS7_SP_SP_NSC_11hip_rocprim7__merge17predicate_wrapperIyyNSC_4lessImEEEEEE10hipError_tPvRmT0_T1_T2_T3_T4_T5_mmT6_P12ihipStream_tbEUlT_E_NS1_11comp_targetILNS1_3genE0ELNS1_11target_archE4294967295ELNS1_3gpuE0ELNS1_3repE0EEENS1_30default_config_static_selectorELNS0_4arch9wavefront6targetE0EEEvS10_,"axG",@progbits,_ZN7rocprim17ROCPRIM_400000_NS6detail17trampoline_kernelINS0_14default_configENS1_21merge_config_selectorINS0_5tupleIJyyEEENS0_10empty_typeEEEZNS1_10merge_implIS3_NS0_12zip_iteratorINS5_IJN6thrust23THRUST_200600_302600_NS6detail15normal_iteratorINSC_10device_ptrIKyEEEESI_EEEEESK_NSA_INS5_IJNSE_INSF_IyEEEESM_EEEEEPS7_SP_SP_NSC_11hip_rocprim7__merge17predicate_wrapperIyyNSC_4lessImEEEEEE10hipError_tPvRmT0_T1_T2_T3_T4_T5_mmT6_P12ihipStream_tbEUlT_E_NS1_11comp_targetILNS1_3genE0ELNS1_11target_archE4294967295ELNS1_3gpuE0ELNS1_3repE0EEENS1_30default_config_static_selectorELNS0_4arch9wavefront6targetE0EEEvS10_,comdat
.Lfunc_end461:
	.size	_ZN7rocprim17ROCPRIM_400000_NS6detail17trampoline_kernelINS0_14default_configENS1_21merge_config_selectorINS0_5tupleIJyyEEENS0_10empty_typeEEEZNS1_10merge_implIS3_NS0_12zip_iteratorINS5_IJN6thrust23THRUST_200600_302600_NS6detail15normal_iteratorINSC_10device_ptrIKyEEEESI_EEEEESK_NSA_INS5_IJNSE_INSF_IyEEEESM_EEEEEPS7_SP_SP_NSC_11hip_rocprim7__merge17predicate_wrapperIyyNSC_4lessImEEEEEE10hipError_tPvRmT0_T1_T2_T3_T4_T5_mmT6_P12ihipStream_tbEUlT_E_NS1_11comp_targetILNS1_3genE0ELNS1_11target_archE4294967295ELNS1_3gpuE0ELNS1_3repE0EEENS1_30default_config_static_selectorELNS0_4arch9wavefront6targetE0EEEvS10_, .Lfunc_end461-_ZN7rocprim17ROCPRIM_400000_NS6detail17trampoline_kernelINS0_14default_configENS1_21merge_config_selectorINS0_5tupleIJyyEEENS0_10empty_typeEEEZNS1_10merge_implIS3_NS0_12zip_iteratorINS5_IJN6thrust23THRUST_200600_302600_NS6detail15normal_iteratorINSC_10device_ptrIKyEEEESI_EEEEESK_NSA_INS5_IJNSE_INSF_IyEEEESM_EEEEEPS7_SP_SP_NSC_11hip_rocprim7__merge17predicate_wrapperIyyNSC_4lessImEEEEEE10hipError_tPvRmT0_T1_T2_T3_T4_T5_mmT6_P12ihipStream_tbEUlT_E_NS1_11comp_targetILNS1_3genE0ELNS1_11target_archE4294967295ELNS1_3gpuE0ELNS1_3repE0EEENS1_30default_config_static_selectorELNS0_4arch9wavefront6targetE0EEEvS10_
                                        ; -- End function
	.set _ZN7rocprim17ROCPRIM_400000_NS6detail17trampoline_kernelINS0_14default_configENS1_21merge_config_selectorINS0_5tupleIJyyEEENS0_10empty_typeEEEZNS1_10merge_implIS3_NS0_12zip_iteratorINS5_IJN6thrust23THRUST_200600_302600_NS6detail15normal_iteratorINSC_10device_ptrIKyEEEESI_EEEEESK_NSA_INS5_IJNSE_INSF_IyEEEESM_EEEEEPS7_SP_SP_NSC_11hip_rocprim7__merge17predicate_wrapperIyyNSC_4lessImEEEEEE10hipError_tPvRmT0_T1_T2_T3_T4_T5_mmT6_P12ihipStream_tbEUlT_E_NS1_11comp_targetILNS1_3genE0ELNS1_11target_archE4294967295ELNS1_3gpuE0ELNS1_3repE0EEENS1_30default_config_static_selectorELNS0_4arch9wavefront6targetE0EEEvS10_.num_vgpr, 18
	.set _ZN7rocprim17ROCPRIM_400000_NS6detail17trampoline_kernelINS0_14default_configENS1_21merge_config_selectorINS0_5tupleIJyyEEENS0_10empty_typeEEEZNS1_10merge_implIS3_NS0_12zip_iteratorINS5_IJN6thrust23THRUST_200600_302600_NS6detail15normal_iteratorINSC_10device_ptrIKyEEEESI_EEEEESK_NSA_INS5_IJNSE_INSF_IyEEEESM_EEEEEPS7_SP_SP_NSC_11hip_rocprim7__merge17predicate_wrapperIyyNSC_4lessImEEEEEE10hipError_tPvRmT0_T1_T2_T3_T4_T5_mmT6_P12ihipStream_tbEUlT_E_NS1_11comp_targetILNS1_3genE0ELNS1_11target_archE4294967295ELNS1_3gpuE0ELNS1_3repE0EEENS1_30default_config_static_selectorELNS0_4arch9wavefront6targetE0EEEvS10_.num_agpr, 0
	.set _ZN7rocprim17ROCPRIM_400000_NS6detail17trampoline_kernelINS0_14default_configENS1_21merge_config_selectorINS0_5tupleIJyyEEENS0_10empty_typeEEEZNS1_10merge_implIS3_NS0_12zip_iteratorINS5_IJN6thrust23THRUST_200600_302600_NS6detail15normal_iteratorINSC_10device_ptrIKyEEEESI_EEEEESK_NSA_INS5_IJNSE_INSF_IyEEEESM_EEEEEPS7_SP_SP_NSC_11hip_rocprim7__merge17predicate_wrapperIyyNSC_4lessImEEEEEE10hipError_tPvRmT0_T1_T2_T3_T4_T5_mmT6_P12ihipStream_tbEUlT_E_NS1_11comp_targetILNS1_3genE0ELNS1_11target_archE4294967295ELNS1_3gpuE0ELNS1_3repE0EEENS1_30default_config_static_selectorELNS0_4arch9wavefront6targetE0EEEvS10_.numbered_sgpr, 14
	.set _ZN7rocprim17ROCPRIM_400000_NS6detail17trampoline_kernelINS0_14default_configENS1_21merge_config_selectorINS0_5tupleIJyyEEENS0_10empty_typeEEEZNS1_10merge_implIS3_NS0_12zip_iteratorINS5_IJN6thrust23THRUST_200600_302600_NS6detail15normal_iteratorINSC_10device_ptrIKyEEEESI_EEEEESK_NSA_INS5_IJNSE_INSF_IyEEEESM_EEEEEPS7_SP_SP_NSC_11hip_rocprim7__merge17predicate_wrapperIyyNSC_4lessImEEEEEE10hipError_tPvRmT0_T1_T2_T3_T4_T5_mmT6_P12ihipStream_tbEUlT_E_NS1_11comp_targetILNS1_3genE0ELNS1_11target_archE4294967295ELNS1_3gpuE0ELNS1_3repE0EEENS1_30default_config_static_selectorELNS0_4arch9wavefront6targetE0EEEvS10_.num_named_barrier, 0
	.set _ZN7rocprim17ROCPRIM_400000_NS6detail17trampoline_kernelINS0_14default_configENS1_21merge_config_selectorINS0_5tupleIJyyEEENS0_10empty_typeEEEZNS1_10merge_implIS3_NS0_12zip_iteratorINS5_IJN6thrust23THRUST_200600_302600_NS6detail15normal_iteratorINSC_10device_ptrIKyEEEESI_EEEEESK_NSA_INS5_IJNSE_INSF_IyEEEESM_EEEEEPS7_SP_SP_NSC_11hip_rocprim7__merge17predicate_wrapperIyyNSC_4lessImEEEEEE10hipError_tPvRmT0_T1_T2_T3_T4_T5_mmT6_P12ihipStream_tbEUlT_E_NS1_11comp_targetILNS1_3genE0ELNS1_11target_archE4294967295ELNS1_3gpuE0ELNS1_3repE0EEENS1_30default_config_static_selectorELNS0_4arch9wavefront6targetE0EEEvS10_.private_seg_size, 0
	.set _ZN7rocprim17ROCPRIM_400000_NS6detail17trampoline_kernelINS0_14default_configENS1_21merge_config_selectorINS0_5tupleIJyyEEENS0_10empty_typeEEEZNS1_10merge_implIS3_NS0_12zip_iteratorINS5_IJN6thrust23THRUST_200600_302600_NS6detail15normal_iteratorINSC_10device_ptrIKyEEEESI_EEEEESK_NSA_INS5_IJNSE_INSF_IyEEEESM_EEEEEPS7_SP_SP_NSC_11hip_rocprim7__merge17predicate_wrapperIyyNSC_4lessImEEEEEE10hipError_tPvRmT0_T1_T2_T3_T4_T5_mmT6_P12ihipStream_tbEUlT_E_NS1_11comp_targetILNS1_3genE0ELNS1_11target_archE4294967295ELNS1_3gpuE0ELNS1_3repE0EEENS1_30default_config_static_selectorELNS0_4arch9wavefront6targetE0EEEvS10_.uses_vcc, 1
	.set _ZN7rocprim17ROCPRIM_400000_NS6detail17trampoline_kernelINS0_14default_configENS1_21merge_config_selectorINS0_5tupleIJyyEEENS0_10empty_typeEEEZNS1_10merge_implIS3_NS0_12zip_iteratorINS5_IJN6thrust23THRUST_200600_302600_NS6detail15normal_iteratorINSC_10device_ptrIKyEEEESI_EEEEESK_NSA_INS5_IJNSE_INSF_IyEEEESM_EEEEEPS7_SP_SP_NSC_11hip_rocprim7__merge17predicate_wrapperIyyNSC_4lessImEEEEEE10hipError_tPvRmT0_T1_T2_T3_T4_T5_mmT6_P12ihipStream_tbEUlT_E_NS1_11comp_targetILNS1_3genE0ELNS1_11target_archE4294967295ELNS1_3gpuE0ELNS1_3repE0EEENS1_30default_config_static_selectorELNS0_4arch9wavefront6targetE0EEEvS10_.uses_flat_scratch, 0
	.set _ZN7rocprim17ROCPRIM_400000_NS6detail17trampoline_kernelINS0_14default_configENS1_21merge_config_selectorINS0_5tupleIJyyEEENS0_10empty_typeEEEZNS1_10merge_implIS3_NS0_12zip_iteratorINS5_IJN6thrust23THRUST_200600_302600_NS6detail15normal_iteratorINSC_10device_ptrIKyEEEESI_EEEEESK_NSA_INS5_IJNSE_INSF_IyEEEESM_EEEEEPS7_SP_SP_NSC_11hip_rocprim7__merge17predicate_wrapperIyyNSC_4lessImEEEEEE10hipError_tPvRmT0_T1_T2_T3_T4_T5_mmT6_P12ihipStream_tbEUlT_E_NS1_11comp_targetILNS1_3genE0ELNS1_11target_archE4294967295ELNS1_3gpuE0ELNS1_3repE0EEENS1_30default_config_static_selectorELNS0_4arch9wavefront6targetE0EEEvS10_.has_dyn_sized_stack, 0
	.set _ZN7rocprim17ROCPRIM_400000_NS6detail17trampoline_kernelINS0_14default_configENS1_21merge_config_selectorINS0_5tupleIJyyEEENS0_10empty_typeEEEZNS1_10merge_implIS3_NS0_12zip_iteratorINS5_IJN6thrust23THRUST_200600_302600_NS6detail15normal_iteratorINSC_10device_ptrIKyEEEESI_EEEEESK_NSA_INS5_IJNSE_INSF_IyEEEESM_EEEEEPS7_SP_SP_NSC_11hip_rocprim7__merge17predicate_wrapperIyyNSC_4lessImEEEEEE10hipError_tPvRmT0_T1_T2_T3_T4_T5_mmT6_P12ihipStream_tbEUlT_E_NS1_11comp_targetILNS1_3genE0ELNS1_11target_archE4294967295ELNS1_3gpuE0ELNS1_3repE0EEENS1_30default_config_static_selectorELNS0_4arch9wavefront6targetE0EEEvS10_.has_recursion, 0
	.set _ZN7rocprim17ROCPRIM_400000_NS6detail17trampoline_kernelINS0_14default_configENS1_21merge_config_selectorINS0_5tupleIJyyEEENS0_10empty_typeEEEZNS1_10merge_implIS3_NS0_12zip_iteratorINS5_IJN6thrust23THRUST_200600_302600_NS6detail15normal_iteratorINSC_10device_ptrIKyEEEESI_EEEEESK_NSA_INS5_IJNSE_INSF_IyEEEESM_EEEEEPS7_SP_SP_NSC_11hip_rocprim7__merge17predicate_wrapperIyyNSC_4lessImEEEEEE10hipError_tPvRmT0_T1_T2_T3_T4_T5_mmT6_P12ihipStream_tbEUlT_E_NS1_11comp_targetILNS1_3genE0ELNS1_11target_archE4294967295ELNS1_3gpuE0ELNS1_3repE0EEENS1_30default_config_static_selectorELNS0_4arch9wavefront6targetE0EEEvS10_.has_indirect_call, 0
	.section	.AMDGPU.csdata,"",@progbits
; Kernel info:
; codeLenInByte = 484
; TotalNumSgprs: 16
; NumVgprs: 18
; ScratchSize: 0
; MemoryBound: 0
; FloatMode: 240
; IeeeMode: 1
; LDSByteSize: 0 bytes/workgroup (compile time only)
; SGPRBlocks: 0
; VGPRBlocks: 1
; NumSGPRsForWavesPerEU: 16
; NumVGPRsForWavesPerEU: 18
; NamedBarCnt: 0
; Occupancy: 16
; WaveLimiterHint : 0
; COMPUTE_PGM_RSRC2:SCRATCH_EN: 0
; COMPUTE_PGM_RSRC2:USER_SGPR: 2
; COMPUTE_PGM_RSRC2:TRAP_HANDLER: 0
; COMPUTE_PGM_RSRC2:TGID_X_EN: 1
; COMPUTE_PGM_RSRC2:TGID_Y_EN: 0
; COMPUTE_PGM_RSRC2:TGID_Z_EN: 0
; COMPUTE_PGM_RSRC2:TIDIG_COMP_CNT: 0
	.section	.text._ZN7rocprim17ROCPRIM_400000_NS6detail17trampoline_kernelINS0_14default_configENS1_21merge_config_selectorINS0_5tupleIJyyEEENS0_10empty_typeEEEZNS1_10merge_implIS3_NS0_12zip_iteratorINS5_IJN6thrust23THRUST_200600_302600_NS6detail15normal_iteratorINSC_10device_ptrIKyEEEESI_EEEEESK_NSA_INS5_IJNSE_INSF_IyEEEESM_EEEEEPS7_SP_SP_NSC_11hip_rocprim7__merge17predicate_wrapperIyyNSC_4lessImEEEEEE10hipError_tPvRmT0_T1_T2_T3_T4_T5_mmT6_P12ihipStream_tbEUlT_E_NS1_11comp_targetILNS1_3genE5ELNS1_11target_archE942ELNS1_3gpuE9ELNS1_3repE0EEENS1_30default_config_static_selectorELNS0_4arch9wavefront6targetE0EEEvS10_,"axG",@progbits,_ZN7rocprim17ROCPRIM_400000_NS6detail17trampoline_kernelINS0_14default_configENS1_21merge_config_selectorINS0_5tupleIJyyEEENS0_10empty_typeEEEZNS1_10merge_implIS3_NS0_12zip_iteratorINS5_IJN6thrust23THRUST_200600_302600_NS6detail15normal_iteratorINSC_10device_ptrIKyEEEESI_EEEEESK_NSA_INS5_IJNSE_INSF_IyEEEESM_EEEEEPS7_SP_SP_NSC_11hip_rocprim7__merge17predicate_wrapperIyyNSC_4lessImEEEEEE10hipError_tPvRmT0_T1_T2_T3_T4_T5_mmT6_P12ihipStream_tbEUlT_E_NS1_11comp_targetILNS1_3genE5ELNS1_11target_archE942ELNS1_3gpuE9ELNS1_3repE0EEENS1_30default_config_static_selectorELNS0_4arch9wavefront6targetE0EEEvS10_,comdat
	.protected	_ZN7rocprim17ROCPRIM_400000_NS6detail17trampoline_kernelINS0_14default_configENS1_21merge_config_selectorINS0_5tupleIJyyEEENS0_10empty_typeEEEZNS1_10merge_implIS3_NS0_12zip_iteratorINS5_IJN6thrust23THRUST_200600_302600_NS6detail15normal_iteratorINSC_10device_ptrIKyEEEESI_EEEEESK_NSA_INS5_IJNSE_INSF_IyEEEESM_EEEEEPS7_SP_SP_NSC_11hip_rocprim7__merge17predicate_wrapperIyyNSC_4lessImEEEEEE10hipError_tPvRmT0_T1_T2_T3_T4_T5_mmT6_P12ihipStream_tbEUlT_E_NS1_11comp_targetILNS1_3genE5ELNS1_11target_archE942ELNS1_3gpuE9ELNS1_3repE0EEENS1_30default_config_static_selectorELNS0_4arch9wavefront6targetE0EEEvS10_ ; -- Begin function _ZN7rocprim17ROCPRIM_400000_NS6detail17trampoline_kernelINS0_14default_configENS1_21merge_config_selectorINS0_5tupleIJyyEEENS0_10empty_typeEEEZNS1_10merge_implIS3_NS0_12zip_iteratorINS5_IJN6thrust23THRUST_200600_302600_NS6detail15normal_iteratorINSC_10device_ptrIKyEEEESI_EEEEESK_NSA_INS5_IJNSE_INSF_IyEEEESM_EEEEEPS7_SP_SP_NSC_11hip_rocprim7__merge17predicate_wrapperIyyNSC_4lessImEEEEEE10hipError_tPvRmT0_T1_T2_T3_T4_T5_mmT6_P12ihipStream_tbEUlT_E_NS1_11comp_targetILNS1_3genE5ELNS1_11target_archE942ELNS1_3gpuE9ELNS1_3repE0EEENS1_30default_config_static_selectorELNS0_4arch9wavefront6targetE0EEEvS10_
	.globl	_ZN7rocprim17ROCPRIM_400000_NS6detail17trampoline_kernelINS0_14default_configENS1_21merge_config_selectorINS0_5tupleIJyyEEENS0_10empty_typeEEEZNS1_10merge_implIS3_NS0_12zip_iteratorINS5_IJN6thrust23THRUST_200600_302600_NS6detail15normal_iteratorINSC_10device_ptrIKyEEEESI_EEEEESK_NSA_INS5_IJNSE_INSF_IyEEEESM_EEEEEPS7_SP_SP_NSC_11hip_rocprim7__merge17predicate_wrapperIyyNSC_4lessImEEEEEE10hipError_tPvRmT0_T1_T2_T3_T4_T5_mmT6_P12ihipStream_tbEUlT_E_NS1_11comp_targetILNS1_3genE5ELNS1_11target_archE942ELNS1_3gpuE9ELNS1_3repE0EEENS1_30default_config_static_selectorELNS0_4arch9wavefront6targetE0EEEvS10_
	.p2align	8
	.type	_ZN7rocprim17ROCPRIM_400000_NS6detail17trampoline_kernelINS0_14default_configENS1_21merge_config_selectorINS0_5tupleIJyyEEENS0_10empty_typeEEEZNS1_10merge_implIS3_NS0_12zip_iteratorINS5_IJN6thrust23THRUST_200600_302600_NS6detail15normal_iteratorINSC_10device_ptrIKyEEEESI_EEEEESK_NSA_INS5_IJNSE_INSF_IyEEEESM_EEEEEPS7_SP_SP_NSC_11hip_rocprim7__merge17predicate_wrapperIyyNSC_4lessImEEEEEE10hipError_tPvRmT0_T1_T2_T3_T4_T5_mmT6_P12ihipStream_tbEUlT_E_NS1_11comp_targetILNS1_3genE5ELNS1_11target_archE942ELNS1_3gpuE9ELNS1_3repE0EEENS1_30default_config_static_selectorELNS0_4arch9wavefront6targetE0EEEvS10_,@function
_ZN7rocprim17ROCPRIM_400000_NS6detail17trampoline_kernelINS0_14default_configENS1_21merge_config_selectorINS0_5tupleIJyyEEENS0_10empty_typeEEEZNS1_10merge_implIS3_NS0_12zip_iteratorINS5_IJN6thrust23THRUST_200600_302600_NS6detail15normal_iteratorINSC_10device_ptrIKyEEEESI_EEEEESK_NSA_INS5_IJNSE_INSF_IyEEEESM_EEEEEPS7_SP_SP_NSC_11hip_rocprim7__merge17predicate_wrapperIyyNSC_4lessImEEEEEE10hipError_tPvRmT0_T1_T2_T3_T4_T5_mmT6_P12ihipStream_tbEUlT_E_NS1_11comp_targetILNS1_3genE5ELNS1_11target_archE942ELNS1_3gpuE9ELNS1_3repE0EEENS1_30default_config_static_selectorELNS0_4arch9wavefront6targetE0EEEvS10_: ; @_ZN7rocprim17ROCPRIM_400000_NS6detail17trampoline_kernelINS0_14default_configENS1_21merge_config_selectorINS0_5tupleIJyyEEENS0_10empty_typeEEEZNS1_10merge_implIS3_NS0_12zip_iteratorINS5_IJN6thrust23THRUST_200600_302600_NS6detail15normal_iteratorINSC_10device_ptrIKyEEEESI_EEEEESK_NSA_INS5_IJNSE_INSF_IyEEEESM_EEEEEPS7_SP_SP_NSC_11hip_rocprim7__merge17predicate_wrapperIyyNSC_4lessImEEEEEE10hipError_tPvRmT0_T1_T2_T3_T4_T5_mmT6_P12ihipStream_tbEUlT_E_NS1_11comp_targetILNS1_3genE5ELNS1_11target_archE942ELNS1_3gpuE9ELNS1_3repE0EEENS1_30default_config_static_selectorELNS0_4arch9wavefront6targetE0EEEvS10_
; %bb.0:
	.section	.rodata,"a",@progbits
	.p2align	6, 0x0
	.amdhsa_kernel _ZN7rocprim17ROCPRIM_400000_NS6detail17trampoline_kernelINS0_14default_configENS1_21merge_config_selectorINS0_5tupleIJyyEEENS0_10empty_typeEEEZNS1_10merge_implIS3_NS0_12zip_iteratorINS5_IJN6thrust23THRUST_200600_302600_NS6detail15normal_iteratorINSC_10device_ptrIKyEEEESI_EEEEESK_NSA_INS5_IJNSE_INSF_IyEEEESM_EEEEEPS7_SP_SP_NSC_11hip_rocprim7__merge17predicate_wrapperIyyNSC_4lessImEEEEEE10hipError_tPvRmT0_T1_T2_T3_T4_T5_mmT6_P12ihipStream_tbEUlT_E_NS1_11comp_targetILNS1_3genE5ELNS1_11target_archE942ELNS1_3gpuE9ELNS1_3repE0EEENS1_30default_config_static_selectorELNS0_4arch9wavefront6targetE0EEEvS10_
		.amdhsa_group_segment_fixed_size 0
		.amdhsa_private_segment_fixed_size 0
		.amdhsa_kernarg_size 64
		.amdhsa_user_sgpr_count 2
		.amdhsa_user_sgpr_dispatch_ptr 0
		.amdhsa_user_sgpr_queue_ptr 0
		.amdhsa_user_sgpr_kernarg_segment_ptr 1
		.amdhsa_user_sgpr_dispatch_id 0
		.amdhsa_user_sgpr_kernarg_preload_length 0
		.amdhsa_user_sgpr_kernarg_preload_offset 0
		.amdhsa_user_sgpr_private_segment_size 0
		.amdhsa_wavefront_size32 1
		.amdhsa_uses_dynamic_stack 0
		.amdhsa_enable_private_segment 0
		.amdhsa_system_sgpr_workgroup_id_x 1
		.amdhsa_system_sgpr_workgroup_id_y 0
		.amdhsa_system_sgpr_workgroup_id_z 0
		.amdhsa_system_sgpr_workgroup_info 0
		.amdhsa_system_vgpr_workitem_id 0
		.amdhsa_next_free_vgpr 1
		.amdhsa_next_free_sgpr 1
		.amdhsa_named_barrier_count 0
		.amdhsa_reserve_vcc 0
		.amdhsa_float_round_mode_32 0
		.amdhsa_float_round_mode_16_64 0
		.amdhsa_float_denorm_mode_32 3
		.amdhsa_float_denorm_mode_16_64 3
		.amdhsa_fp16_overflow 0
		.amdhsa_memory_ordered 1
		.amdhsa_forward_progress 1
		.amdhsa_inst_pref_size 0
		.amdhsa_round_robin_scheduling 0
		.amdhsa_exception_fp_ieee_invalid_op 0
		.amdhsa_exception_fp_denorm_src 0
		.amdhsa_exception_fp_ieee_div_zero 0
		.amdhsa_exception_fp_ieee_overflow 0
		.amdhsa_exception_fp_ieee_underflow 0
		.amdhsa_exception_fp_ieee_inexact 0
		.amdhsa_exception_int_div_zero 0
	.end_amdhsa_kernel
	.section	.text._ZN7rocprim17ROCPRIM_400000_NS6detail17trampoline_kernelINS0_14default_configENS1_21merge_config_selectorINS0_5tupleIJyyEEENS0_10empty_typeEEEZNS1_10merge_implIS3_NS0_12zip_iteratorINS5_IJN6thrust23THRUST_200600_302600_NS6detail15normal_iteratorINSC_10device_ptrIKyEEEESI_EEEEESK_NSA_INS5_IJNSE_INSF_IyEEEESM_EEEEEPS7_SP_SP_NSC_11hip_rocprim7__merge17predicate_wrapperIyyNSC_4lessImEEEEEE10hipError_tPvRmT0_T1_T2_T3_T4_T5_mmT6_P12ihipStream_tbEUlT_E_NS1_11comp_targetILNS1_3genE5ELNS1_11target_archE942ELNS1_3gpuE9ELNS1_3repE0EEENS1_30default_config_static_selectorELNS0_4arch9wavefront6targetE0EEEvS10_,"axG",@progbits,_ZN7rocprim17ROCPRIM_400000_NS6detail17trampoline_kernelINS0_14default_configENS1_21merge_config_selectorINS0_5tupleIJyyEEENS0_10empty_typeEEEZNS1_10merge_implIS3_NS0_12zip_iteratorINS5_IJN6thrust23THRUST_200600_302600_NS6detail15normal_iteratorINSC_10device_ptrIKyEEEESI_EEEEESK_NSA_INS5_IJNSE_INSF_IyEEEESM_EEEEEPS7_SP_SP_NSC_11hip_rocprim7__merge17predicate_wrapperIyyNSC_4lessImEEEEEE10hipError_tPvRmT0_T1_T2_T3_T4_T5_mmT6_P12ihipStream_tbEUlT_E_NS1_11comp_targetILNS1_3genE5ELNS1_11target_archE942ELNS1_3gpuE9ELNS1_3repE0EEENS1_30default_config_static_selectorELNS0_4arch9wavefront6targetE0EEEvS10_,comdat
.Lfunc_end462:
	.size	_ZN7rocprim17ROCPRIM_400000_NS6detail17trampoline_kernelINS0_14default_configENS1_21merge_config_selectorINS0_5tupleIJyyEEENS0_10empty_typeEEEZNS1_10merge_implIS3_NS0_12zip_iteratorINS5_IJN6thrust23THRUST_200600_302600_NS6detail15normal_iteratorINSC_10device_ptrIKyEEEESI_EEEEESK_NSA_INS5_IJNSE_INSF_IyEEEESM_EEEEEPS7_SP_SP_NSC_11hip_rocprim7__merge17predicate_wrapperIyyNSC_4lessImEEEEEE10hipError_tPvRmT0_T1_T2_T3_T4_T5_mmT6_P12ihipStream_tbEUlT_E_NS1_11comp_targetILNS1_3genE5ELNS1_11target_archE942ELNS1_3gpuE9ELNS1_3repE0EEENS1_30default_config_static_selectorELNS0_4arch9wavefront6targetE0EEEvS10_, .Lfunc_end462-_ZN7rocprim17ROCPRIM_400000_NS6detail17trampoline_kernelINS0_14default_configENS1_21merge_config_selectorINS0_5tupleIJyyEEENS0_10empty_typeEEEZNS1_10merge_implIS3_NS0_12zip_iteratorINS5_IJN6thrust23THRUST_200600_302600_NS6detail15normal_iteratorINSC_10device_ptrIKyEEEESI_EEEEESK_NSA_INS5_IJNSE_INSF_IyEEEESM_EEEEEPS7_SP_SP_NSC_11hip_rocprim7__merge17predicate_wrapperIyyNSC_4lessImEEEEEE10hipError_tPvRmT0_T1_T2_T3_T4_T5_mmT6_P12ihipStream_tbEUlT_E_NS1_11comp_targetILNS1_3genE5ELNS1_11target_archE942ELNS1_3gpuE9ELNS1_3repE0EEENS1_30default_config_static_selectorELNS0_4arch9wavefront6targetE0EEEvS10_
                                        ; -- End function
	.set _ZN7rocprim17ROCPRIM_400000_NS6detail17trampoline_kernelINS0_14default_configENS1_21merge_config_selectorINS0_5tupleIJyyEEENS0_10empty_typeEEEZNS1_10merge_implIS3_NS0_12zip_iteratorINS5_IJN6thrust23THRUST_200600_302600_NS6detail15normal_iteratorINSC_10device_ptrIKyEEEESI_EEEEESK_NSA_INS5_IJNSE_INSF_IyEEEESM_EEEEEPS7_SP_SP_NSC_11hip_rocprim7__merge17predicate_wrapperIyyNSC_4lessImEEEEEE10hipError_tPvRmT0_T1_T2_T3_T4_T5_mmT6_P12ihipStream_tbEUlT_E_NS1_11comp_targetILNS1_3genE5ELNS1_11target_archE942ELNS1_3gpuE9ELNS1_3repE0EEENS1_30default_config_static_selectorELNS0_4arch9wavefront6targetE0EEEvS10_.num_vgpr, 0
	.set _ZN7rocprim17ROCPRIM_400000_NS6detail17trampoline_kernelINS0_14default_configENS1_21merge_config_selectorINS0_5tupleIJyyEEENS0_10empty_typeEEEZNS1_10merge_implIS3_NS0_12zip_iteratorINS5_IJN6thrust23THRUST_200600_302600_NS6detail15normal_iteratorINSC_10device_ptrIKyEEEESI_EEEEESK_NSA_INS5_IJNSE_INSF_IyEEEESM_EEEEEPS7_SP_SP_NSC_11hip_rocprim7__merge17predicate_wrapperIyyNSC_4lessImEEEEEE10hipError_tPvRmT0_T1_T2_T3_T4_T5_mmT6_P12ihipStream_tbEUlT_E_NS1_11comp_targetILNS1_3genE5ELNS1_11target_archE942ELNS1_3gpuE9ELNS1_3repE0EEENS1_30default_config_static_selectorELNS0_4arch9wavefront6targetE0EEEvS10_.num_agpr, 0
	.set _ZN7rocprim17ROCPRIM_400000_NS6detail17trampoline_kernelINS0_14default_configENS1_21merge_config_selectorINS0_5tupleIJyyEEENS0_10empty_typeEEEZNS1_10merge_implIS3_NS0_12zip_iteratorINS5_IJN6thrust23THRUST_200600_302600_NS6detail15normal_iteratorINSC_10device_ptrIKyEEEESI_EEEEESK_NSA_INS5_IJNSE_INSF_IyEEEESM_EEEEEPS7_SP_SP_NSC_11hip_rocprim7__merge17predicate_wrapperIyyNSC_4lessImEEEEEE10hipError_tPvRmT0_T1_T2_T3_T4_T5_mmT6_P12ihipStream_tbEUlT_E_NS1_11comp_targetILNS1_3genE5ELNS1_11target_archE942ELNS1_3gpuE9ELNS1_3repE0EEENS1_30default_config_static_selectorELNS0_4arch9wavefront6targetE0EEEvS10_.numbered_sgpr, 0
	.set _ZN7rocprim17ROCPRIM_400000_NS6detail17trampoline_kernelINS0_14default_configENS1_21merge_config_selectorINS0_5tupleIJyyEEENS0_10empty_typeEEEZNS1_10merge_implIS3_NS0_12zip_iteratorINS5_IJN6thrust23THRUST_200600_302600_NS6detail15normal_iteratorINSC_10device_ptrIKyEEEESI_EEEEESK_NSA_INS5_IJNSE_INSF_IyEEEESM_EEEEEPS7_SP_SP_NSC_11hip_rocprim7__merge17predicate_wrapperIyyNSC_4lessImEEEEEE10hipError_tPvRmT0_T1_T2_T3_T4_T5_mmT6_P12ihipStream_tbEUlT_E_NS1_11comp_targetILNS1_3genE5ELNS1_11target_archE942ELNS1_3gpuE9ELNS1_3repE0EEENS1_30default_config_static_selectorELNS0_4arch9wavefront6targetE0EEEvS10_.num_named_barrier, 0
	.set _ZN7rocprim17ROCPRIM_400000_NS6detail17trampoline_kernelINS0_14default_configENS1_21merge_config_selectorINS0_5tupleIJyyEEENS0_10empty_typeEEEZNS1_10merge_implIS3_NS0_12zip_iteratorINS5_IJN6thrust23THRUST_200600_302600_NS6detail15normal_iteratorINSC_10device_ptrIKyEEEESI_EEEEESK_NSA_INS5_IJNSE_INSF_IyEEEESM_EEEEEPS7_SP_SP_NSC_11hip_rocprim7__merge17predicate_wrapperIyyNSC_4lessImEEEEEE10hipError_tPvRmT0_T1_T2_T3_T4_T5_mmT6_P12ihipStream_tbEUlT_E_NS1_11comp_targetILNS1_3genE5ELNS1_11target_archE942ELNS1_3gpuE9ELNS1_3repE0EEENS1_30default_config_static_selectorELNS0_4arch9wavefront6targetE0EEEvS10_.private_seg_size, 0
	.set _ZN7rocprim17ROCPRIM_400000_NS6detail17trampoline_kernelINS0_14default_configENS1_21merge_config_selectorINS0_5tupleIJyyEEENS0_10empty_typeEEEZNS1_10merge_implIS3_NS0_12zip_iteratorINS5_IJN6thrust23THRUST_200600_302600_NS6detail15normal_iteratorINSC_10device_ptrIKyEEEESI_EEEEESK_NSA_INS5_IJNSE_INSF_IyEEEESM_EEEEEPS7_SP_SP_NSC_11hip_rocprim7__merge17predicate_wrapperIyyNSC_4lessImEEEEEE10hipError_tPvRmT0_T1_T2_T3_T4_T5_mmT6_P12ihipStream_tbEUlT_E_NS1_11comp_targetILNS1_3genE5ELNS1_11target_archE942ELNS1_3gpuE9ELNS1_3repE0EEENS1_30default_config_static_selectorELNS0_4arch9wavefront6targetE0EEEvS10_.uses_vcc, 0
	.set _ZN7rocprim17ROCPRIM_400000_NS6detail17trampoline_kernelINS0_14default_configENS1_21merge_config_selectorINS0_5tupleIJyyEEENS0_10empty_typeEEEZNS1_10merge_implIS3_NS0_12zip_iteratorINS5_IJN6thrust23THRUST_200600_302600_NS6detail15normal_iteratorINSC_10device_ptrIKyEEEESI_EEEEESK_NSA_INS5_IJNSE_INSF_IyEEEESM_EEEEEPS7_SP_SP_NSC_11hip_rocprim7__merge17predicate_wrapperIyyNSC_4lessImEEEEEE10hipError_tPvRmT0_T1_T2_T3_T4_T5_mmT6_P12ihipStream_tbEUlT_E_NS1_11comp_targetILNS1_3genE5ELNS1_11target_archE942ELNS1_3gpuE9ELNS1_3repE0EEENS1_30default_config_static_selectorELNS0_4arch9wavefront6targetE0EEEvS10_.uses_flat_scratch, 0
	.set _ZN7rocprim17ROCPRIM_400000_NS6detail17trampoline_kernelINS0_14default_configENS1_21merge_config_selectorINS0_5tupleIJyyEEENS0_10empty_typeEEEZNS1_10merge_implIS3_NS0_12zip_iteratorINS5_IJN6thrust23THRUST_200600_302600_NS6detail15normal_iteratorINSC_10device_ptrIKyEEEESI_EEEEESK_NSA_INS5_IJNSE_INSF_IyEEEESM_EEEEEPS7_SP_SP_NSC_11hip_rocprim7__merge17predicate_wrapperIyyNSC_4lessImEEEEEE10hipError_tPvRmT0_T1_T2_T3_T4_T5_mmT6_P12ihipStream_tbEUlT_E_NS1_11comp_targetILNS1_3genE5ELNS1_11target_archE942ELNS1_3gpuE9ELNS1_3repE0EEENS1_30default_config_static_selectorELNS0_4arch9wavefront6targetE0EEEvS10_.has_dyn_sized_stack, 0
	.set _ZN7rocprim17ROCPRIM_400000_NS6detail17trampoline_kernelINS0_14default_configENS1_21merge_config_selectorINS0_5tupleIJyyEEENS0_10empty_typeEEEZNS1_10merge_implIS3_NS0_12zip_iteratorINS5_IJN6thrust23THRUST_200600_302600_NS6detail15normal_iteratorINSC_10device_ptrIKyEEEESI_EEEEESK_NSA_INS5_IJNSE_INSF_IyEEEESM_EEEEEPS7_SP_SP_NSC_11hip_rocprim7__merge17predicate_wrapperIyyNSC_4lessImEEEEEE10hipError_tPvRmT0_T1_T2_T3_T4_T5_mmT6_P12ihipStream_tbEUlT_E_NS1_11comp_targetILNS1_3genE5ELNS1_11target_archE942ELNS1_3gpuE9ELNS1_3repE0EEENS1_30default_config_static_selectorELNS0_4arch9wavefront6targetE0EEEvS10_.has_recursion, 0
	.set _ZN7rocprim17ROCPRIM_400000_NS6detail17trampoline_kernelINS0_14default_configENS1_21merge_config_selectorINS0_5tupleIJyyEEENS0_10empty_typeEEEZNS1_10merge_implIS3_NS0_12zip_iteratorINS5_IJN6thrust23THRUST_200600_302600_NS6detail15normal_iteratorINSC_10device_ptrIKyEEEESI_EEEEESK_NSA_INS5_IJNSE_INSF_IyEEEESM_EEEEEPS7_SP_SP_NSC_11hip_rocprim7__merge17predicate_wrapperIyyNSC_4lessImEEEEEE10hipError_tPvRmT0_T1_T2_T3_T4_T5_mmT6_P12ihipStream_tbEUlT_E_NS1_11comp_targetILNS1_3genE5ELNS1_11target_archE942ELNS1_3gpuE9ELNS1_3repE0EEENS1_30default_config_static_selectorELNS0_4arch9wavefront6targetE0EEEvS10_.has_indirect_call, 0
	.section	.AMDGPU.csdata,"",@progbits
; Kernel info:
; codeLenInByte = 0
; TotalNumSgprs: 0
; NumVgprs: 0
; ScratchSize: 0
; MemoryBound: 0
; FloatMode: 240
; IeeeMode: 1
; LDSByteSize: 0 bytes/workgroup (compile time only)
; SGPRBlocks: 0
; VGPRBlocks: 0
; NumSGPRsForWavesPerEU: 1
; NumVGPRsForWavesPerEU: 1
; NamedBarCnt: 0
; Occupancy: 16
; WaveLimiterHint : 0
; COMPUTE_PGM_RSRC2:SCRATCH_EN: 0
; COMPUTE_PGM_RSRC2:USER_SGPR: 2
; COMPUTE_PGM_RSRC2:TRAP_HANDLER: 0
; COMPUTE_PGM_RSRC2:TGID_X_EN: 1
; COMPUTE_PGM_RSRC2:TGID_Y_EN: 0
; COMPUTE_PGM_RSRC2:TGID_Z_EN: 0
; COMPUTE_PGM_RSRC2:TIDIG_COMP_CNT: 0
	.section	.text._ZN7rocprim17ROCPRIM_400000_NS6detail17trampoline_kernelINS0_14default_configENS1_21merge_config_selectorINS0_5tupleIJyyEEENS0_10empty_typeEEEZNS1_10merge_implIS3_NS0_12zip_iteratorINS5_IJN6thrust23THRUST_200600_302600_NS6detail15normal_iteratorINSC_10device_ptrIKyEEEESI_EEEEESK_NSA_INS5_IJNSE_INSF_IyEEEESM_EEEEEPS7_SP_SP_NSC_11hip_rocprim7__merge17predicate_wrapperIyyNSC_4lessImEEEEEE10hipError_tPvRmT0_T1_T2_T3_T4_T5_mmT6_P12ihipStream_tbEUlT_E_NS1_11comp_targetILNS1_3genE4ELNS1_11target_archE910ELNS1_3gpuE8ELNS1_3repE0EEENS1_30default_config_static_selectorELNS0_4arch9wavefront6targetE0EEEvS10_,"axG",@progbits,_ZN7rocprim17ROCPRIM_400000_NS6detail17trampoline_kernelINS0_14default_configENS1_21merge_config_selectorINS0_5tupleIJyyEEENS0_10empty_typeEEEZNS1_10merge_implIS3_NS0_12zip_iteratorINS5_IJN6thrust23THRUST_200600_302600_NS6detail15normal_iteratorINSC_10device_ptrIKyEEEESI_EEEEESK_NSA_INS5_IJNSE_INSF_IyEEEESM_EEEEEPS7_SP_SP_NSC_11hip_rocprim7__merge17predicate_wrapperIyyNSC_4lessImEEEEEE10hipError_tPvRmT0_T1_T2_T3_T4_T5_mmT6_P12ihipStream_tbEUlT_E_NS1_11comp_targetILNS1_3genE4ELNS1_11target_archE910ELNS1_3gpuE8ELNS1_3repE0EEENS1_30default_config_static_selectorELNS0_4arch9wavefront6targetE0EEEvS10_,comdat
	.protected	_ZN7rocprim17ROCPRIM_400000_NS6detail17trampoline_kernelINS0_14default_configENS1_21merge_config_selectorINS0_5tupleIJyyEEENS0_10empty_typeEEEZNS1_10merge_implIS3_NS0_12zip_iteratorINS5_IJN6thrust23THRUST_200600_302600_NS6detail15normal_iteratorINSC_10device_ptrIKyEEEESI_EEEEESK_NSA_INS5_IJNSE_INSF_IyEEEESM_EEEEEPS7_SP_SP_NSC_11hip_rocprim7__merge17predicate_wrapperIyyNSC_4lessImEEEEEE10hipError_tPvRmT0_T1_T2_T3_T4_T5_mmT6_P12ihipStream_tbEUlT_E_NS1_11comp_targetILNS1_3genE4ELNS1_11target_archE910ELNS1_3gpuE8ELNS1_3repE0EEENS1_30default_config_static_selectorELNS0_4arch9wavefront6targetE0EEEvS10_ ; -- Begin function _ZN7rocprim17ROCPRIM_400000_NS6detail17trampoline_kernelINS0_14default_configENS1_21merge_config_selectorINS0_5tupleIJyyEEENS0_10empty_typeEEEZNS1_10merge_implIS3_NS0_12zip_iteratorINS5_IJN6thrust23THRUST_200600_302600_NS6detail15normal_iteratorINSC_10device_ptrIKyEEEESI_EEEEESK_NSA_INS5_IJNSE_INSF_IyEEEESM_EEEEEPS7_SP_SP_NSC_11hip_rocprim7__merge17predicate_wrapperIyyNSC_4lessImEEEEEE10hipError_tPvRmT0_T1_T2_T3_T4_T5_mmT6_P12ihipStream_tbEUlT_E_NS1_11comp_targetILNS1_3genE4ELNS1_11target_archE910ELNS1_3gpuE8ELNS1_3repE0EEENS1_30default_config_static_selectorELNS0_4arch9wavefront6targetE0EEEvS10_
	.globl	_ZN7rocprim17ROCPRIM_400000_NS6detail17trampoline_kernelINS0_14default_configENS1_21merge_config_selectorINS0_5tupleIJyyEEENS0_10empty_typeEEEZNS1_10merge_implIS3_NS0_12zip_iteratorINS5_IJN6thrust23THRUST_200600_302600_NS6detail15normal_iteratorINSC_10device_ptrIKyEEEESI_EEEEESK_NSA_INS5_IJNSE_INSF_IyEEEESM_EEEEEPS7_SP_SP_NSC_11hip_rocprim7__merge17predicate_wrapperIyyNSC_4lessImEEEEEE10hipError_tPvRmT0_T1_T2_T3_T4_T5_mmT6_P12ihipStream_tbEUlT_E_NS1_11comp_targetILNS1_3genE4ELNS1_11target_archE910ELNS1_3gpuE8ELNS1_3repE0EEENS1_30default_config_static_selectorELNS0_4arch9wavefront6targetE0EEEvS10_
	.p2align	8
	.type	_ZN7rocprim17ROCPRIM_400000_NS6detail17trampoline_kernelINS0_14default_configENS1_21merge_config_selectorINS0_5tupleIJyyEEENS0_10empty_typeEEEZNS1_10merge_implIS3_NS0_12zip_iteratorINS5_IJN6thrust23THRUST_200600_302600_NS6detail15normal_iteratorINSC_10device_ptrIKyEEEESI_EEEEESK_NSA_INS5_IJNSE_INSF_IyEEEESM_EEEEEPS7_SP_SP_NSC_11hip_rocprim7__merge17predicate_wrapperIyyNSC_4lessImEEEEEE10hipError_tPvRmT0_T1_T2_T3_T4_T5_mmT6_P12ihipStream_tbEUlT_E_NS1_11comp_targetILNS1_3genE4ELNS1_11target_archE910ELNS1_3gpuE8ELNS1_3repE0EEENS1_30default_config_static_selectorELNS0_4arch9wavefront6targetE0EEEvS10_,@function
_ZN7rocprim17ROCPRIM_400000_NS6detail17trampoline_kernelINS0_14default_configENS1_21merge_config_selectorINS0_5tupleIJyyEEENS0_10empty_typeEEEZNS1_10merge_implIS3_NS0_12zip_iteratorINS5_IJN6thrust23THRUST_200600_302600_NS6detail15normal_iteratorINSC_10device_ptrIKyEEEESI_EEEEESK_NSA_INS5_IJNSE_INSF_IyEEEESM_EEEEEPS7_SP_SP_NSC_11hip_rocprim7__merge17predicate_wrapperIyyNSC_4lessImEEEEEE10hipError_tPvRmT0_T1_T2_T3_T4_T5_mmT6_P12ihipStream_tbEUlT_E_NS1_11comp_targetILNS1_3genE4ELNS1_11target_archE910ELNS1_3gpuE8ELNS1_3repE0EEENS1_30default_config_static_selectorELNS0_4arch9wavefront6targetE0EEEvS10_: ; @_ZN7rocprim17ROCPRIM_400000_NS6detail17trampoline_kernelINS0_14default_configENS1_21merge_config_selectorINS0_5tupleIJyyEEENS0_10empty_typeEEEZNS1_10merge_implIS3_NS0_12zip_iteratorINS5_IJN6thrust23THRUST_200600_302600_NS6detail15normal_iteratorINSC_10device_ptrIKyEEEESI_EEEEESK_NSA_INS5_IJNSE_INSF_IyEEEESM_EEEEEPS7_SP_SP_NSC_11hip_rocprim7__merge17predicate_wrapperIyyNSC_4lessImEEEEEE10hipError_tPvRmT0_T1_T2_T3_T4_T5_mmT6_P12ihipStream_tbEUlT_E_NS1_11comp_targetILNS1_3genE4ELNS1_11target_archE910ELNS1_3gpuE8ELNS1_3repE0EEENS1_30default_config_static_selectorELNS0_4arch9wavefront6targetE0EEEvS10_
; %bb.0:
	.section	.rodata,"a",@progbits
	.p2align	6, 0x0
	.amdhsa_kernel _ZN7rocprim17ROCPRIM_400000_NS6detail17trampoline_kernelINS0_14default_configENS1_21merge_config_selectorINS0_5tupleIJyyEEENS0_10empty_typeEEEZNS1_10merge_implIS3_NS0_12zip_iteratorINS5_IJN6thrust23THRUST_200600_302600_NS6detail15normal_iteratorINSC_10device_ptrIKyEEEESI_EEEEESK_NSA_INS5_IJNSE_INSF_IyEEEESM_EEEEEPS7_SP_SP_NSC_11hip_rocprim7__merge17predicate_wrapperIyyNSC_4lessImEEEEEE10hipError_tPvRmT0_T1_T2_T3_T4_T5_mmT6_P12ihipStream_tbEUlT_E_NS1_11comp_targetILNS1_3genE4ELNS1_11target_archE910ELNS1_3gpuE8ELNS1_3repE0EEENS1_30default_config_static_selectorELNS0_4arch9wavefront6targetE0EEEvS10_
		.amdhsa_group_segment_fixed_size 0
		.amdhsa_private_segment_fixed_size 0
		.amdhsa_kernarg_size 64
		.amdhsa_user_sgpr_count 2
		.amdhsa_user_sgpr_dispatch_ptr 0
		.amdhsa_user_sgpr_queue_ptr 0
		.amdhsa_user_sgpr_kernarg_segment_ptr 1
		.amdhsa_user_sgpr_dispatch_id 0
		.amdhsa_user_sgpr_kernarg_preload_length 0
		.amdhsa_user_sgpr_kernarg_preload_offset 0
		.amdhsa_user_sgpr_private_segment_size 0
		.amdhsa_wavefront_size32 1
		.amdhsa_uses_dynamic_stack 0
		.amdhsa_enable_private_segment 0
		.amdhsa_system_sgpr_workgroup_id_x 1
		.amdhsa_system_sgpr_workgroup_id_y 0
		.amdhsa_system_sgpr_workgroup_id_z 0
		.amdhsa_system_sgpr_workgroup_info 0
		.amdhsa_system_vgpr_workitem_id 0
		.amdhsa_next_free_vgpr 1
		.amdhsa_next_free_sgpr 1
		.amdhsa_named_barrier_count 0
		.amdhsa_reserve_vcc 0
		.amdhsa_float_round_mode_32 0
		.amdhsa_float_round_mode_16_64 0
		.amdhsa_float_denorm_mode_32 3
		.amdhsa_float_denorm_mode_16_64 3
		.amdhsa_fp16_overflow 0
		.amdhsa_memory_ordered 1
		.amdhsa_forward_progress 1
		.amdhsa_inst_pref_size 0
		.amdhsa_round_robin_scheduling 0
		.amdhsa_exception_fp_ieee_invalid_op 0
		.amdhsa_exception_fp_denorm_src 0
		.amdhsa_exception_fp_ieee_div_zero 0
		.amdhsa_exception_fp_ieee_overflow 0
		.amdhsa_exception_fp_ieee_underflow 0
		.amdhsa_exception_fp_ieee_inexact 0
		.amdhsa_exception_int_div_zero 0
	.end_amdhsa_kernel
	.section	.text._ZN7rocprim17ROCPRIM_400000_NS6detail17trampoline_kernelINS0_14default_configENS1_21merge_config_selectorINS0_5tupleIJyyEEENS0_10empty_typeEEEZNS1_10merge_implIS3_NS0_12zip_iteratorINS5_IJN6thrust23THRUST_200600_302600_NS6detail15normal_iteratorINSC_10device_ptrIKyEEEESI_EEEEESK_NSA_INS5_IJNSE_INSF_IyEEEESM_EEEEEPS7_SP_SP_NSC_11hip_rocprim7__merge17predicate_wrapperIyyNSC_4lessImEEEEEE10hipError_tPvRmT0_T1_T2_T3_T4_T5_mmT6_P12ihipStream_tbEUlT_E_NS1_11comp_targetILNS1_3genE4ELNS1_11target_archE910ELNS1_3gpuE8ELNS1_3repE0EEENS1_30default_config_static_selectorELNS0_4arch9wavefront6targetE0EEEvS10_,"axG",@progbits,_ZN7rocprim17ROCPRIM_400000_NS6detail17trampoline_kernelINS0_14default_configENS1_21merge_config_selectorINS0_5tupleIJyyEEENS0_10empty_typeEEEZNS1_10merge_implIS3_NS0_12zip_iteratorINS5_IJN6thrust23THRUST_200600_302600_NS6detail15normal_iteratorINSC_10device_ptrIKyEEEESI_EEEEESK_NSA_INS5_IJNSE_INSF_IyEEEESM_EEEEEPS7_SP_SP_NSC_11hip_rocprim7__merge17predicate_wrapperIyyNSC_4lessImEEEEEE10hipError_tPvRmT0_T1_T2_T3_T4_T5_mmT6_P12ihipStream_tbEUlT_E_NS1_11comp_targetILNS1_3genE4ELNS1_11target_archE910ELNS1_3gpuE8ELNS1_3repE0EEENS1_30default_config_static_selectorELNS0_4arch9wavefront6targetE0EEEvS10_,comdat
.Lfunc_end463:
	.size	_ZN7rocprim17ROCPRIM_400000_NS6detail17trampoline_kernelINS0_14default_configENS1_21merge_config_selectorINS0_5tupleIJyyEEENS0_10empty_typeEEEZNS1_10merge_implIS3_NS0_12zip_iteratorINS5_IJN6thrust23THRUST_200600_302600_NS6detail15normal_iteratorINSC_10device_ptrIKyEEEESI_EEEEESK_NSA_INS5_IJNSE_INSF_IyEEEESM_EEEEEPS7_SP_SP_NSC_11hip_rocprim7__merge17predicate_wrapperIyyNSC_4lessImEEEEEE10hipError_tPvRmT0_T1_T2_T3_T4_T5_mmT6_P12ihipStream_tbEUlT_E_NS1_11comp_targetILNS1_3genE4ELNS1_11target_archE910ELNS1_3gpuE8ELNS1_3repE0EEENS1_30default_config_static_selectorELNS0_4arch9wavefront6targetE0EEEvS10_, .Lfunc_end463-_ZN7rocprim17ROCPRIM_400000_NS6detail17trampoline_kernelINS0_14default_configENS1_21merge_config_selectorINS0_5tupleIJyyEEENS0_10empty_typeEEEZNS1_10merge_implIS3_NS0_12zip_iteratorINS5_IJN6thrust23THRUST_200600_302600_NS6detail15normal_iteratorINSC_10device_ptrIKyEEEESI_EEEEESK_NSA_INS5_IJNSE_INSF_IyEEEESM_EEEEEPS7_SP_SP_NSC_11hip_rocprim7__merge17predicate_wrapperIyyNSC_4lessImEEEEEE10hipError_tPvRmT0_T1_T2_T3_T4_T5_mmT6_P12ihipStream_tbEUlT_E_NS1_11comp_targetILNS1_3genE4ELNS1_11target_archE910ELNS1_3gpuE8ELNS1_3repE0EEENS1_30default_config_static_selectorELNS0_4arch9wavefront6targetE0EEEvS10_
                                        ; -- End function
	.set _ZN7rocprim17ROCPRIM_400000_NS6detail17trampoline_kernelINS0_14default_configENS1_21merge_config_selectorINS0_5tupleIJyyEEENS0_10empty_typeEEEZNS1_10merge_implIS3_NS0_12zip_iteratorINS5_IJN6thrust23THRUST_200600_302600_NS6detail15normal_iteratorINSC_10device_ptrIKyEEEESI_EEEEESK_NSA_INS5_IJNSE_INSF_IyEEEESM_EEEEEPS7_SP_SP_NSC_11hip_rocprim7__merge17predicate_wrapperIyyNSC_4lessImEEEEEE10hipError_tPvRmT0_T1_T2_T3_T4_T5_mmT6_P12ihipStream_tbEUlT_E_NS1_11comp_targetILNS1_3genE4ELNS1_11target_archE910ELNS1_3gpuE8ELNS1_3repE0EEENS1_30default_config_static_selectorELNS0_4arch9wavefront6targetE0EEEvS10_.num_vgpr, 0
	.set _ZN7rocprim17ROCPRIM_400000_NS6detail17trampoline_kernelINS0_14default_configENS1_21merge_config_selectorINS0_5tupleIJyyEEENS0_10empty_typeEEEZNS1_10merge_implIS3_NS0_12zip_iteratorINS5_IJN6thrust23THRUST_200600_302600_NS6detail15normal_iteratorINSC_10device_ptrIKyEEEESI_EEEEESK_NSA_INS5_IJNSE_INSF_IyEEEESM_EEEEEPS7_SP_SP_NSC_11hip_rocprim7__merge17predicate_wrapperIyyNSC_4lessImEEEEEE10hipError_tPvRmT0_T1_T2_T3_T4_T5_mmT6_P12ihipStream_tbEUlT_E_NS1_11comp_targetILNS1_3genE4ELNS1_11target_archE910ELNS1_3gpuE8ELNS1_3repE0EEENS1_30default_config_static_selectorELNS0_4arch9wavefront6targetE0EEEvS10_.num_agpr, 0
	.set _ZN7rocprim17ROCPRIM_400000_NS6detail17trampoline_kernelINS0_14default_configENS1_21merge_config_selectorINS0_5tupleIJyyEEENS0_10empty_typeEEEZNS1_10merge_implIS3_NS0_12zip_iteratorINS5_IJN6thrust23THRUST_200600_302600_NS6detail15normal_iteratorINSC_10device_ptrIKyEEEESI_EEEEESK_NSA_INS5_IJNSE_INSF_IyEEEESM_EEEEEPS7_SP_SP_NSC_11hip_rocprim7__merge17predicate_wrapperIyyNSC_4lessImEEEEEE10hipError_tPvRmT0_T1_T2_T3_T4_T5_mmT6_P12ihipStream_tbEUlT_E_NS1_11comp_targetILNS1_3genE4ELNS1_11target_archE910ELNS1_3gpuE8ELNS1_3repE0EEENS1_30default_config_static_selectorELNS0_4arch9wavefront6targetE0EEEvS10_.numbered_sgpr, 0
	.set _ZN7rocprim17ROCPRIM_400000_NS6detail17trampoline_kernelINS0_14default_configENS1_21merge_config_selectorINS0_5tupleIJyyEEENS0_10empty_typeEEEZNS1_10merge_implIS3_NS0_12zip_iteratorINS5_IJN6thrust23THRUST_200600_302600_NS6detail15normal_iteratorINSC_10device_ptrIKyEEEESI_EEEEESK_NSA_INS5_IJNSE_INSF_IyEEEESM_EEEEEPS7_SP_SP_NSC_11hip_rocprim7__merge17predicate_wrapperIyyNSC_4lessImEEEEEE10hipError_tPvRmT0_T1_T2_T3_T4_T5_mmT6_P12ihipStream_tbEUlT_E_NS1_11comp_targetILNS1_3genE4ELNS1_11target_archE910ELNS1_3gpuE8ELNS1_3repE0EEENS1_30default_config_static_selectorELNS0_4arch9wavefront6targetE0EEEvS10_.num_named_barrier, 0
	.set _ZN7rocprim17ROCPRIM_400000_NS6detail17trampoline_kernelINS0_14default_configENS1_21merge_config_selectorINS0_5tupleIJyyEEENS0_10empty_typeEEEZNS1_10merge_implIS3_NS0_12zip_iteratorINS5_IJN6thrust23THRUST_200600_302600_NS6detail15normal_iteratorINSC_10device_ptrIKyEEEESI_EEEEESK_NSA_INS5_IJNSE_INSF_IyEEEESM_EEEEEPS7_SP_SP_NSC_11hip_rocprim7__merge17predicate_wrapperIyyNSC_4lessImEEEEEE10hipError_tPvRmT0_T1_T2_T3_T4_T5_mmT6_P12ihipStream_tbEUlT_E_NS1_11comp_targetILNS1_3genE4ELNS1_11target_archE910ELNS1_3gpuE8ELNS1_3repE0EEENS1_30default_config_static_selectorELNS0_4arch9wavefront6targetE0EEEvS10_.private_seg_size, 0
	.set _ZN7rocprim17ROCPRIM_400000_NS6detail17trampoline_kernelINS0_14default_configENS1_21merge_config_selectorINS0_5tupleIJyyEEENS0_10empty_typeEEEZNS1_10merge_implIS3_NS0_12zip_iteratorINS5_IJN6thrust23THRUST_200600_302600_NS6detail15normal_iteratorINSC_10device_ptrIKyEEEESI_EEEEESK_NSA_INS5_IJNSE_INSF_IyEEEESM_EEEEEPS7_SP_SP_NSC_11hip_rocprim7__merge17predicate_wrapperIyyNSC_4lessImEEEEEE10hipError_tPvRmT0_T1_T2_T3_T4_T5_mmT6_P12ihipStream_tbEUlT_E_NS1_11comp_targetILNS1_3genE4ELNS1_11target_archE910ELNS1_3gpuE8ELNS1_3repE0EEENS1_30default_config_static_selectorELNS0_4arch9wavefront6targetE0EEEvS10_.uses_vcc, 0
	.set _ZN7rocprim17ROCPRIM_400000_NS6detail17trampoline_kernelINS0_14default_configENS1_21merge_config_selectorINS0_5tupleIJyyEEENS0_10empty_typeEEEZNS1_10merge_implIS3_NS0_12zip_iteratorINS5_IJN6thrust23THRUST_200600_302600_NS6detail15normal_iteratorINSC_10device_ptrIKyEEEESI_EEEEESK_NSA_INS5_IJNSE_INSF_IyEEEESM_EEEEEPS7_SP_SP_NSC_11hip_rocprim7__merge17predicate_wrapperIyyNSC_4lessImEEEEEE10hipError_tPvRmT0_T1_T2_T3_T4_T5_mmT6_P12ihipStream_tbEUlT_E_NS1_11comp_targetILNS1_3genE4ELNS1_11target_archE910ELNS1_3gpuE8ELNS1_3repE0EEENS1_30default_config_static_selectorELNS0_4arch9wavefront6targetE0EEEvS10_.uses_flat_scratch, 0
	.set _ZN7rocprim17ROCPRIM_400000_NS6detail17trampoline_kernelINS0_14default_configENS1_21merge_config_selectorINS0_5tupleIJyyEEENS0_10empty_typeEEEZNS1_10merge_implIS3_NS0_12zip_iteratorINS5_IJN6thrust23THRUST_200600_302600_NS6detail15normal_iteratorINSC_10device_ptrIKyEEEESI_EEEEESK_NSA_INS5_IJNSE_INSF_IyEEEESM_EEEEEPS7_SP_SP_NSC_11hip_rocprim7__merge17predicate_wrapperIyyNSC_4lessImEEEEEE10hipError_tPvRmT0_T1_T2_T3_T4_T5_mmT6_P12ihipStream_tbEUlT_E_NS1_11comp_targetILNS1_3genE4ELNS1_11target_archE910ELNS1_3gpuE8ELNS1_3repE0EEENS1_30default_config_static_selectorELNS0_4arch9wavefront6targetE0EEEvS10_.has_dyn_sized_stack, 0
	.set _ZN7rocprim17ROCPRIM_400000_NS6detail17trampoline_kernelINS0_14default_configENS1_21merge_config_selectorINS0_5tupleIJyyEEENS0_10empty_typeEEEZNS1_10merge_implIS3_NS0_12zip_iteratorINS5_IJN6thrust23THRUST_200600_302600_NS6detail15normal_iteratorINSC_10device_ptrIKyEEEESI_EEEEESK_NSA_INS5_IJNSE_INSF_IyEEEESM_EEEEEPS7_SP_SP_NSC_11hip_rocprim7__merge17predicate_wrapperIyyNSC_4lessImEEEEEE10hipError_tPvRmT0_T1_T2_T3_T4_T5_mmT6_P12ihipStream_tbEUlT_E_NS1_11comp_targetILNS1_3genE4ELNS1_11target_archE910ELNS1_3gpuE8ELNS1_3repE0EEENS1_30default_config_static_selectorELNS0_4arch9wavefront6targetE0EEEvS10_.has_recursion, 0
	.set _ZN7rocprim17ROCPRIM_400000_NS6detail17trampoline_kernelINS0_14default_configENS1_21merge_config_selectorINS0_5tupleIJyyEEENS0_10empty_typeEEEZNS1_10merge_implIS3_NS0_12zip_iteratorINS5_IJN6thrust23THRUST_200600_302600_NS6detail15normal_iteratorINSC_10device_ptrIKyEEEESI_EEEEESK_NSA_INS5_IJNSE_INSF_IyEEEESM_EEEEEPS7_SP_SP_NSC_11hip_rocprim7__merge17predicate_wrapperIyyNSC_4lessImEEEEEE10hipError_tPvRmT0_T1_T2_T3_T4_T5_mmT6_P12ihipStream_tbEUlT_E_NS1_11comp_targetILNS1_3genE4ELNS1_11target_archE910ELNS1_3gpuE8ELNS1_3repE0EEENS1_30default_config_static_selectorELNS0_4arch9wavefront6targetE0EEEvS10_.has_indirect_call, 0
	.section	.AMDGPU.csdata,"",@progbits
; Kernel info:
; codeLenInByte = 0
; TotalNumSgprs: 0
; NumVgprs: 0
; ScratchSize: 0
; MemoryBound: 0
; FloatMode: 240
; IeeeMode: 1
; LDSByteSize: 0 bytes/workgroup (compile time only)
; SGPRBlocks: 0
; VGPRBlocks: 0
; NumSGPRsForWavesPerEU: 1
; NumVGPRsForWavesPerEU: 1
; NamedBarCnt: 0
; Occupancy: 16
; WaveLimiterHint : 0
; COMPUTE_PGM_RSRC2:SCRATCH_EN: 0
; COMPUTE_PGM_RSRC2:USER_SGPR: 2
; COMPUTE_PGM_RSRC2:TRAP_HANDLER: 0
; COMPUTE_PGM_RSRC2:TGID_X_EN: 1
; COMPUTE_PGM_RSRC2:TGID_Y_EN: 0
; COMPUTE_PGM_RSRC2:TGID_Z_EN: 0
; COMPUTE_PGM_RSRC2:TIDIG_COMP_CNT: 0
	.section	.text._ZN7rocprim17ROCPRIM_400000_NS6detail17trampoline_kernelINS0_14default_configENS1_21merge_config_selectorINS0_5tupleIJyyEEENS0_10empty_typeEEEZNS1_10merge_implIS3_NS0_12zip_iteratorINS5_IJN6thrust23THRUST_200600_302600_NS6detail15normal_iteratorINSC_10device_ptrIKyEEEESI_EEEEESK_NSA_INS5_IJNSE_INSF_IyEEEESM_EEEEEPS7_SP_SP_NSC_11hip_rocprim7__merge17predicate_wrapperIyyNSC_4lessImEEEEEE10hipError_tPvRmT0_T1_T2_T3_T4_T5_mmT6_P12ihipStream_tbEUlT_E_NS1_11comp_targetILNS1_3genE3ELNS1_11target_archE908ELNS1_3gpuE7ELNS1_3repE0EEENS1_30default_config_static_selectorELNS0_4arch9wavefront6targetE0EEEvS10_,"axG",@progbits,_ZN7rocprim17ROCPRIM_400000_NS6detail17trampoline_kernelINS0_14default_configENS1_21merge_config_selectorINS0_5tupleIJyyEEENS0_10empty_typeEEEZNS1_10merge_implIS3_NS0_12zip_iteratorINS5_IJN6thrust23THRUST_200600_302600_NS6detail15normal_iteratorINSC_10device_ptrIKyEEEESI_EEEEESK_NSA_INS5_IJNSE_INSF_IyEEEESM_EEEEEPS7_SP_SP_NSC_11hip_rocprim7__merge17predicate_wrapperIyyNSC_4lessImEEEEEE10hipError_tPvRmT0_T1_T2_T3_T4_T5_mmT6_P12ihipStream_tbEUlT_E_NS1_11comp_targetILNS1_3genE3ELNS1_11target_archE908ELNS1_3gpuE7ELNS1_3repE0EEENS1_30default_config_static_selectorELNS0_4arch9wavefront6targetE0EEEvS10_,comdat
	.protected	_ZN7rocprim17ROCPRIM_400000_NS6detail17trampoline_kernelINS0_14default_configENS1_21merge_config_selectorINS0_5tupleIJyyEEENS0_10empty_typeEEEZNS1_10merge_implIS3_NS0_12zip_iteratorINS5_IJN6thrust23THRUST_200600_302600_NS6detail15normal_iteratorINSC_10device_ptrIKyEEEESI_EEEEESK_NSA_INS5_IJNSE_INSF_IyEEEESM_EEEEEPS7_SP_SP_NSC_11hip_rocprim7__merge17predicate_wrapperIyyNSC_4lessImEEEEEE10hipError_tPvRmT0_T1_T2_T3_T4_T5_mmT6_P12ihipStream_tbEUlT_E_NS1_11comp_targetILNS1_3genE3ELNS1_11target_archE908ELNS1_3gpuE7ELNS1_3repE0EEENS1_30default_config_static_selectorELNS0_4arch9wavefront6targetE0EEEvS10_ ; -- Begin function _ZN7rocprim17ROCPRIM_400000_NS6detail17trampoline_kernelINS0_14default_configENS1_21merge_config_selectorINS0_5tupleIJyyEEENS0_10empty_typeEEEZNS1_10merge_implIS3_NS0_12zip_iteratorINS5_IJN6thrust23THRUST_200600_302600_NS6detail15normal_iteratorINSC_10device_ptrIKyEEEESI_EEEEESK_NSA_INS5_IJNSE_INSF_IyEEEESM_EEEEEPS7_SP_SP_NSC_11hip_rocprim7__merge17predicate_wrapperIyyNSC_4lessImEEEEEE10hipError_tPvRmT0_T1_T2_T3_T4_T5_mmT6_P12ihipStream_tbEUlT_E_NS1_11comp_targetILNS1_3genE3ELNS1_11target_archE908ELNS1_3gpuE7ELNS1_3repE0EEENS1_30default_config_static_selectorELNS0_4arch9wavefront6targetE0EEEvS10_
	.globl	_ZN7rocprim17ROCPRIM_400000_NS6detail17trampoline_kernelINS0_14default_configENS1_21merge_config_selectorINS0_5tupleIJyyEEENS0_10empty_typeEEEZNS1_10merge_implIS3_NS0_12zip_iteratorINS5_IJN6thrust23THRUST_200600_302600_NS6detail15normal_iteratorINSC_10device_ptrIKyEEEESI_EEEEESK_NSA_INS5_IJNSE_INSF_IyEEEESM_EEEEEPS7_SP_SP_NSC_11hip_rocprim7__merge17predicate_wrapperIyyNSC_4lessImEEEEEE10hipError_tPvRmT0_T1_T2_T3_T4_T5_mmT6_P12ihipStream_tbEUlT_E_NS1_11comp_targetILNS1_3genE3ELNS1_11target_archE908ELNS1_3gpuE7ELNS1_3repE0EEENS1_30default_config_static_selectorELNS0_4arch9wavefront6targetE0EEEvS10_
	.p2align	8
	.type	_ZN7rocprim17ROCPRIM_400000_NS6detail17trampoline_kernelINS0_14default_configENS1_21merge_config_selectorINS0_5tupleIJyyEEENS0_10empty_typeEEEZNS1_10merge_implIS3_NS0_12zip_iteratorINS5_IJN6thrust23THRUST_200600_302600_NS6detail15normal_iteratorINSC_10device_ptrIKyEEEESI_EEEEESK_NSA_INS5_IJNSE_INSF_IyEEEESM_EEEEEPS7_SP_SP_NSC_11hip_rocprim7__merge17predicate_wrapperIyyNSC_4lessImEEEEEE10hipError_tPvRmT0_T1_T2_T3_T4_T5_mmT6_P12ihipStream_tbEUlT_E_NS1_11comp_targetILNS1_3genE3ELNS1_11target_archE908ELNS1_3gpuE7ELNS1_3repE0EEENS1_30default_config_static_selectorELNS0_4arch9wavefront6targetE0EEEvS10_,@function
_ZN7rocprim17ROCPRIM_400000_NS6detail17trampoline_kernelINS0_14default_configENS1_21merge_config_selectorINS0_5tupleIJyyEEENS0_10empty_typeEEEZNS1_10merge_implIS3_NS0_12zip_iteratorINS5_IJN6thrust23THRUST_200600_302600_NS6detail15normal_iteratorINSC_10device_ptrIKyEEEESI_EEEEESK_NSA_INS5_IJNSE_INSF_IyEEEESM_EEEEEPS7_SP_SP_NSC_11hip_rocprim7__merge17predicate_wrapperIyyNSC_4lessImEEEEEE10hipError_tPvRmT0_T1_T2_T3_T4_T5_mmT6_P12ihipStream_tbEUlT_E_NS1_11comp_targetILNS1_3genE3ELNS1_11target_archE908ELNS1_3gpuE7ELNS1_3repE0EEENS1_30default_config_static_selectorELNS0_4arch9wavefront6targetE0EEEvS10_: ; @_ZN7rocprim17ROCPRIM_400000_NS6detail17trampoline_kernelINS0_14default_configENS1_21merge_config_selectorINS0_5tupleIJyyEEENS0_10empty_typeEEEZNS1_10merge_implIS3_NS0_12zip_iteratorINS5_IJN6thrust23THRUST_200600_302600_NS6detail15normal_iteratorINSC_10device_ptrIKyEEEESI_EEEEESK_NSA_INS5_IJNSE_INSF_IyEEEESM_EEEEEPS7_SP_SP_NSC_11hip_rocprim7__merge17predicate_wrapperIyyNSC_4lessImEEEEEE10hipError_tPvRmT0_T1_T2_T3_T4_T5_mmT6_P12ihipStream_tbEUlT_E_NS1_11comp_targetILNS1_3genE3ELNS1_11target_archE908ELNS1_3gpuE7ELNS1_3repE0EEENS1_30default_config_static_selectorELNS0_4arch9wavefront6targetE0EEEvS10_
; %bb.0:
	.section	.rodata,"a",@progbits
	.p2align	6, 0x0
	.amdhsa_kernel _ZN7rocprim17ROCPRIM_400000_NS6detail17trampoline_kernelINS0_14default_configENS1_21merge_config_selectorINS0_5tupleIJyyEEENS0_10empty_typeEEEZNS1_10merge_implIS3_NS0_12zip_iteratorINS5_IJN6thrust23THRUST_200600_302600_NS6detail15normal_iteratorINSC_10device_ptrIKyEEEESI_EEEEESK_NSA_INS5_IJNSE_INSF_IyEEEESM_EEEEEPS7_SP_SP_NSC_11hip_rocprim7__merge17predicate_wrapperIyyNSC_4lessImEEEEEE10hipError_tPvRmT0_T1_T2_T3_T4_T5_mmT6_P12ihipStream_tbEUlT_E_NS1_11comp_targetILNS1_3genE3ELNS1_11target_archE908ELNS1_3gpuE7ELNS1_3repE0EEENS1_30default_config_static_selectorELNS0_4arch9wavefront6targetE0EEEvS10_
		.amdhsa_group_segment_fixed_size 0
		.amdhsa_private_segment_fixed_size 0
		.amdhsa_kernarg_size 64
		.amdhsa_user_sgpr_count 2
		.amdhsa_user_sgpr_dispatch_ptr 0
		.amdhsa_user_sgpr_queue_ptr 0
		.amdhsa_user_sgpr_kernarg_segment_ptr 1
		.amdhsa_user_sgpr_dispatch_id 0
		.amdhsa_user_sgpr_kernarg_preload_length 0
		.amdhsa_user_sgpr_kernarg_preload_offset 0
		.amdhsa_user_sgpr_private_segment_size 0
		.amdhsa_wavefront_size32 1
		.amdhsa_uses_dynamic_stack 0
		.amdhsa_enable_private_segment 0
		.amdhsa_system_sgpr_workgroup_id_x 1
		.amdhsa_system_sgpr_workgroup_id_y 0
		.amdhsa_system_sgpr_workgroup_id_z 0
		.amdhsa_system_sgpr_workgroup_info 0
		.amdhsa_system_vgpr_workitem_id 0
		.amdhsa_next_free_vgpr 1
		.amdhsa_next_free_sgpr 1
		.amdhsa_named_barrier_count 0
		.amdhsa_reserve_vcc 0
		.amdhsa_float_round_mode_32 0
		.amdhsa_float_round_mode_16_64 0
		.amdhsa_float_denorm_mode_32 3
		.amdhsa_float_denorm_mode_16_64 3
		.amdhsa_fp16_overflow 0
		.amdhsa_memory_ordered 1
		.amdhsa_forward_progress 1
		.amdhsa_inst_pref_size 0
		.amdhsa_round_robin_scheduling 0
		.amdhsa_exception_fp_ieee_invalid_op 0
		.amdhsa_exception_fp_denorm_src 0
		.amdhsa_exception_fp_ieee_div_zero 0
		.amdhsa_exception_fp_ieee_overflow 0
		.amdhsa_exception_fp_ieee_underflow 0
		.amdhsa_exception_fp_ieee_inexact 0
		.amdhsa_exception_int_div_zero 0
	.end_amdhsa_kernel
	.section	.text._ZN7rocprim17ROCPRIM_400000_NS6detail17trampoline_kernelINS0_14default_configENS1_21merge_config_selectorINS0_5tupleIJyyEEENS0_10empty_typeEEEZNS1_10merge_implIS3_NS0_12zip_iteratorINS5_IJN6thrust23THRUST_200600_302600_NS6detail15normal_iteratorINSC_10device_ptrIKyEEEESI_EEEEESK_NSA_INS5_IJNSE_INSF_IyEEEESM_EEEEEPS7_SP_SP_NSC_11hip_rocprim7__merge17predicate_wrapperIyyNSC_4lessImEEEEEE10hipError_tPvRmT0_T1_T2_T3_T4_T5_mmT6_P12ihipStream_tbEUlT_E_NS1_11comp_targetILNS1_3genE3ELNS1_11target_archE908ELNS1_3gpuE7ELNS1_3repE0EEENS1_30default_config_static_selectorELNS0_4arch9wavefront6targetE0EEEvS10_,"axG",@progbits,_ZN7rocprim17ROCPRIM_400000_NS6detail17trampoline_kernelINS0_14default_configENS1_21merge_config_selectorINS0_5tupleIJyyEEENS0_10empty_typeEEEZNS1_10merge_implIS3_NS0_12zip_iteratorINS5_IJN6thrust23THRUST_200600_302600_NS6detail15normal_iteratorINSC_10device_ptrIKyEEEESI_EEEEESK_NSA_INS5_IJNSE_INSF_IyEEEESM_EEEEEPS7_SP_SP_NSC_11hip_rocprim7__merge17predicate_wrapperIyyNSC_4lessImEEEEEE10hipError_tPvRmT0_T1_T2_T3_T4_T5_mmT6_P12ihipStream_tbEUlT_E_NS1_11comp_targetILNS1_3genE3ELNS1_11target_archE908ELNS1_3gpuE7ELNS1_3repE0EEENS1_30default_config_static_selectorELNS0_4arch9wavefront6targetE0EEEvS10_,comdat
.Lfunc_end464:
	.size	_ZN7rocprim17ROCPRIM_400000_NS6detail17trampoline_kernelINS0_14default_configENS1_21merge_config_selectorINS0_5tupleIJyyEEENS0_10empty_typeEEEZNS1_10merge_implIS3_NS0_12zip_iteratorINS5_IJN6thrust23THRUST_200600_302600_NS6detail15normal_iteratorINSC_10device_ptrIKyEEEESI_EEEEESK_NSA_INS5_IJNSE_INSF_IyEEEESM_EEEEEPS7_SP_SP_NSC_11hip_rocprim7__merge17predicate_wrapperIyyNSC_4lessImEEEEEE10hipError_tPvRmT0_T1_T2_T3_T4_T5_mmT6_P12ihipStream_tbEUlT_E_NS1_11comp_targetILNS1_3genE3ELNS1_11target_archE908ELNS1_3gpuE7ELNS1_3repE0EEENS1_30default_config_static_selectorELNS0_4arch9wavefront6targetE0EEEvS10_, .Lfunc_end464-_ZN7rocprim17ROCPRIM_400000_NS6detail17trampoline_kernelINS0_14default_configENS1_21merge_config_selectorINS0_5tupleIJyyEEENS0_10empty_typeEEEZNS1_10merge_implIS3_NS0_12zip_iteratorINS5_IJN6thrust23THRUST_200600_302600_NS6detail15normal_iteratorINSC_10device_ptrIKyEEEESI_EEEEESK_NSA_INS5_IJNSE_INSF_IyEEEESM_EEEEEPS7_SP_SP_NSC_11hip_rocprim7__merge17predicate_wrapperIyyNSC_4lessImEEEEEE10hipError_tPvRmT0_T1_T2_T3_T4_T5_mmT6_P12ihipStream_tbEUlT_E_NS1_11comp_targetILNS1_3genE3ELNS1_11target_archE908ELNS1_3gpuE7ELNS1_3repE0EEENS1_30default_config_static_selectorELNS0_4arch9wavefront6targetE0EEEvS10_
                                        ; -- End function
	.set _ZN7rocprim17ROCPRIM_400000_NS6detail17trampoline_kernelINS0_14default_configENS1_21merge_config_selectorINS0_5tupleIJyyEEENS0_10empty_typeEEEZNS1_10merge_implIS3_NS0_12zip_iteratorINS5_IJN6thrust23THRUST_200600_302600_NS6detail15normal_iteratorINSC_10device_ptrIKyEEEESI_EEEEESK_NSA_INS5_IJNSE_INSF_IyEEEESM_EEEEEPS7_SP_SP_NSC_11hip_rocprim7__merge17predicate_wrapperIyyNSC_4lessImEEEEEE10hipError_tPvRmT0_T1_T2_T3_T4_T5_mmT6_P12ihipStream_tbEUlT_E_NS1_11comp_targetILNS1_3genE3ELNS1_11target_archE908ELNS1_3gpuE7ELNS1_3repE0EEENS1_30default_config_static_selectorELNS0_4arch9wavefront6targetE0EEEvS10_.num_vgpr, 0
	.set _ZN7rocprim17ROCPRIM_400000_NS6detail17trampoline_kernelINS0_14default_configENS1_21merge_config_selectorINS0_5tupleIJyyEEENS0_10empty_typeEEEZNS1_10merge_implIS3_NS0_12zip_iteratorINS5_IJN6thrust23THRUST_200600_302600_NS6detail15normal_iteratorINSC_10device_ptrIKyEEEESI_EEEEESK_NSA_INS5_IJNSE_INSF_IyEEEESM_EEEEEPS7_SP_SP_NSC_11hip_rocprim7__merge17predicate_wrapperIyyNSC_4lessImEEEEEE10hipError_tPvRmT0_T1_T2_T3_T4_T5_mmT6_P12ihipStream_tbEUlT_E_NS1_11comp_targetILNS1_3genE3ELNS1_11target_archE908ELNS1_3gpuE7ELNS1_3repE0EEENS1_30default_config_static_selectorELNS0_4arch9wavefront6targetE0EEEvS10_.num_agpr, 0
	.set _ZN7rocprim17ROCPRIM_400000_NS6detail17trampoline_kernelINS0_14default_configENS1_21merge_config_selectorINS0_5tupleIJyyEEENS0_10empty_typeEEEZNS1_10merge_implIS3_NS0_12zip_iteratorINS5_IJN6thrust23THRUST_200600_302600_NS6detail15normal_iteratorINSC_10device_ptrIKyEEEESI_EEEEESK_NSA_INS5_IJNSE_INSF_IyEEEESM_EEEEEPS7_SP_SP_NSC_11hip_rocprim7__merge17predicate_wrapperIyyNSC_4lessImEEEEEE10hipError_tPvRmT0_T1_T2_T3_T4_T5_mmT6_P12ihipStream_tbEUlT_E_NS1_11comp_targetILNS1_3genE3ELNS1_11target_archE908ELNS1_3gpuE7ELNS1_3repE0EEENS1_30default_config_static_selectorELNS0_4arch9wavefront6targetE0EEEvS10_.numbered_sgpr, 0
	.set _ZN7rocprim17ROCPRIM_400000_NS6detail17trampoline_kernelINS0_14default_configENS1_21merge_config_selectorINS0_5tupleIJyyEEENS0_10empty_typeEEEZNS1_10merge_implIS3_NS0_12zip_iteratorINS5_IJN6thrust23THRUST_200600_302600_NS6detail15normal_iteratorINSC_10device_ptrIKyEEEESI_EEEEESK_NSA_INS5_IJNSE_INSF_IyEEEESM_EEEEEPS7_SP_SP_NSC_11hip_rocprim7__merge17predicate_wrapperIyyNSC_4lessImEEEEEE10hipError_tPvRmT0_T1_T2_T3_T4_T5_mmT6_P12ihipStream_tbEUlT_E_NS1_11comp_targetILNS1_3genE3ELNS1_11target_archE908ELNS1_3gpuE7ELNS1_3repE0EEENS1_30default_config_static_selectorELNS0_4arch9wavefront6targetE0EEEvS10_.num_named_barrier, 0
	.set _ZN7rocprim17ROCPRIM_400000_NS6detail17trampoline_kernelINS0_14default_configENS1_21merge_config_selectorINS0_5tupleIJyyEEENS0_10empty_typeEEEZNS1_10merge_implIS3_NS0_12zip_iteratorINS5_IJN6thrust23THRUST_200600_302600_NS6detail15normal_iteratorINSC_10device_ptrIKyEEEESI_EEEEESK_NSA_INS5_IJNSE_INSF_IyEEEESM_EEEEEPS7_SP_SP_NSC_11hip_rocprim7__merge17predicate_wrapperIyyNSC_4lessImEEEEEE10hipError_tPvRmT0_T1_T2_T3_T4_T5_mmT6_P12ihipStream_tbEUlT_E_NS1_11comp_targetILNS1_3genE3ELNS1_11target_archE908ELNS1_3gpuE7ELNS1_3repE0EEENS1_30default_config_static_selectorELNS0_4arch9wavefront6targetE0EEEvS10_.private_seg_size, 0
	.set _ZN7rocprim17ROCPRIM_400000_NS6detail17trampoline_kernelINS0_14default_configENS1_21merge_config_selectorINS0_5tupleIJyyEEENS0_10empty_typeEEEZNS1_10merge_implIS3_NS0_12zip_iteratorINS5_IJN6thrust23THRUST_200600_302600_NS6detail15normal_iteratorINSC_10device_ptrIKyEEEESI_EEEEESK_NSA_INS5_IJNSE_INSF_IyEEEESM_EEEEEPS7_SP_SP_NSC_11hip_rocprim7__merge17predicate_wrapperIyyNSC_4lessImEEEEEE10hipError_tPvRmT0_T1_T2_T3_T4_T5_mmT6_P12ihipStream_tbEUlT_E_NS1_11comp_targetILNS1_3genE3ELNS1_11target_archE908ELNS1_3gpuE7ELNS1_3repE0EEENS1_30default_config_static_selectorELNS0_4arch9wavefront6targetE0EEEvS10_.uses_vcc, 0
	.set _ZN7rocprim17ROCPRIM_400000_NS6detail17trampoline_kernelINS0_14default_configENS1_21merge_config_selectorINS0_5tupleIJyyEEENS0_10empty_typeEEEZNS1_10merge_implIS3_NS0_12zip_iteratorINS5_IJN6thrust23THRUST_200600_302600_NS6detail15normal_iteratorINSC_10device_ptrIKyEEEESI_EEEEESK_NSA_INS5_IJNSE_INSF_IyEEEESM_EEEEEPS7_SP_SP_NSC_11hip_rocprim7__merge17predicate_wrapperIyyNSC_4lessImEEEEEE10hipError_tPvRmT0_T1_T2_T3_T4_T5_mmT6_P12ihipStream_tbEUlT_E_NS1_11comp_targetILNS1_3genE3ELNS1_11target_archE908ELNS1_3gpuE7ELNS1_3repE0EEENS1_30default_config_static_selectorELNS0_4arch9wavefront6targetE0EEEvS10_.uses_flat_scratch, 0
	.set _ZN7rocprim17ROCPRIM_400000_NS6detail17trampoline_kernelINS0_14default_configENS1_21merge_config_selectorINS0_5tupleIJyyEEENS0_10empty_typeEEEZNS1_10merge_implIS3_NS0_12zip_iteratorINS5_IJN6thrust23THRUST_200600_302600_NS6detail15normal_iteratorINSC_10device_ptrIKyEEEESI_EEEEESK_NSA_INS5_IJNSE_INSF_IyEEEESM_EEEEEPS7_SP_SP_NSC_11hip_rocprim7__merge17predicate_wrapperIyyNSC_4lessImEEEEEE10hipError_tPvRmT0_T1_T2_T3_T4_T5_mmT6_P12ihipStream_tbEUlT_E_NS1_11comp_targetILNS1_3genE3ELNS1_11target_archE908ELNS1_3gpuE7ELNS1_3repE0EEENS1_30default_config_static_selectorELNS0_4arch9wavefront6targetE0EEEvS10_.has_dyn_sized_stack, 0
	.set _ZN7rocprim17ROCPRIM_400000_NS6detail17trampoline_kernelINS0_14default_configENS1_21merge_config_selectorINS0_5tupleIJyyEEENS0_10empty_typeEEEZNS1_10merge_implIS3_NS0_12zip_iteratorINS5_IJN6thrust23THRUST_200600_302600_NS6detail15normal_iteratorINSC_10device_ptrIKyEEEESI_EEEEESK_NSA_INS5_IJNSE_INSF_IyEEEESM_EEEEEPS7_SP_SP_NSC_11hip_rocprim7__merge17predicate_wrapperIyyNSC_4lessImEEEEEE10hipError_tPvRmT0_T1_T2_T3_T4_T5_mmT6_P12ihipStream_tbEUlT_E_NS1_11comp_targetILNS1_3genE3ELNS1_11target_archE908ELNS1_3gpuE7ELNS1_3repE0EEENS1_30default_config_static_selectorELNS0_4arch9wavefront6targetE0EEEvS10_.has_recursion, 0
	.set _ZN7rocprim17ROCPRIM_400000_NS6detail17trampoline_kernelINS0_14default_configENS1_21merge_config_selectorINS0_5tupleIJyyEEENS0_10empty_typeEEEZNS1_10merge_implIS3_NS0_12zip_iteratorINS5_IJN6thrust23THRUST_200600_302600_NS6detail15normal_iteratorINSC_10device_ptrIKyEEEESI_EEEEESK_NSA_INS5_IJNSE_INSF_IyEEEESM_EEEEEPS7_SP_SP_NSC_11hip_rocprim7__merge17predicate_wrapperIyyNSC_4lessImEEEEEE10hipError_tPvRmT0_T1_T2_T3_T4_T5_mmT6_P12ihipStream_tbEUlT_E_NS1_11comp_targetILNS1_3genE3ELNS1_11target_archE908ELNS1_3gpuE7ELNS1_3repE0EEENS1_30default_config_static_selectorELNS0_4arch9wavefront6targetE0EEEvS10_.has_indirect_call, 0
	.section	.AMDGPU.csdata,"",@progbits
; Kernel info:
; codeLenInByte = 0
; TotalNumSgprs: 0
; NumVgprs: 0
; ScratchSize: 0
; MemoryBound: 0
; FloatMode: 240
; IeeeMode: 1
; LDSByteSize: 0 bytes/workgroup (compile time only)
; SGPRBlocks: 0
; VGPRBlocks: 0
; NumSGPRsForWavesPerEU: 1
; NumVGPRsForWavesPerEU: 1
; NamedBarCnt: 0
; Occupancy: 16
; WaveLimiterHint : 0
; COMPUTE_PGM_RSRC2:SCRATCH_EN: 0
; COMPUTE_PGM_RSRC2:USER_SGPR: 2
; COMPUTE_PGM_RSRC2:TRAP_HANDLER: 0
; COMPUTE_PGM_RSRC2:TGID_X_EN: 1
; COMPUTE_PGM_RSRC2:TGID_Y_EN: 0
; COMPUTE_PGM_RSRC2:TGID_Z_EN: 0
; COMPUTE_PGM_RSRC2:TIDIG_COMP_CNT: 0
	.section	.text._ZN7rocprim17ROCPRIM_400000_NS6detail17trampoline_kernelINS0_14default_configENS1_21merge_config_selectorINS0_5tupleIJyyEEENS0_10empty_typeEEEZNS1_10merge_implIS3_NS0_12zip_iteratorINS5_IJN6thrust23THRUST_200600_302600_NS6detail15normal_iteratorINSC_10device_ptrIKyEEEESI_EEEEESK_NSA_INS5_IJNSE_INSF_IyEEEESM_EEEEEPS7_SP_SP_NSC_11hip_rocprim7__merge17predicate_wrapperIyyNSC_4lessImEEEEEE10hipError_tPvRmT0_T1_T2_T3_T4_T5_mmT6_P12ihipStream_tbEUlT_E_NS1_11comp_targetILNS1_3genE2ELNS1_11target_archE906ELNS1_3gpuE6ELNS1_3repE0EEENS1_30default_config_static_selectorELNS0_4arch9wavefront6targetE0EEEvS10_,"axG",@progbits,_ZN7rocprim17ROCPRIM_400000_NS6detail17trampoline_kernelINS0_14default_configENS1_21merge_config_selectorINS0_5tupleIJyyEEENS0_10empty_typeEEEZNS1_10merge_implIS3_NS0_12zip_iteratorINS5_IJN6thrust23THRUST_200600_302600_NS6detail15normal_iteratorINSC_10device_ptrIKyEEEESI_EEEEESK_NSA_INS5_IJNSE_INSF_IyEEEESM_EEEEEPS7_SP_SP_NSC_11hip_rocprim7__merge17predicate_wrapperIyyNSC_4lessImEEEEEE10hipError_tPvRmT0_T1_T2_T3_T4_T5_mmT6_P12ihipStream_tbEUlT_E_NS1_11comp_targetILNS1_3genE2ELNS1_11target_archE906ELNS1_3gpuE6ELNS1_3repE0EEENS1_30default_config_static_selectorELNS0_4arch9wavefront6targetE0EEEvS10_,comdat
	.protected	_ZN7rocprim17ROCPRIM_400000_NS6detail17trampoline_kernelINS0_14default_configENS1_21merge_config_selectorINS0_5tupleIJyyEEENS0_10empty_typeEEEZNS1_10merge_implIS3_NS0_12zip_iteratorINS5_IJN6thrust23THRUST_200600_302600_NS6detail15normal_iteratorINSC_10device_ptrIKyEEEESI_EEEEESK_NSA_INS5_IJNSE_INSF_IyEEEESM_EEEEEPS7_SP_SP_NSC_11hip_rocprim7__merge17predicate_wrapperIyyNSC_4lessImEEEEEE10hipError_tPvRmT0_T1_T2_T3_T4_T5_mmT6_P12ihipStream_tbEUlT_E_NS1_11comp_targetILNS1_3genE2ELNS1_11target_archE906ELNS1_3gpuE6ELNS1_3repE0EEENS1_30default_config_static_selectorELNS0_4arch9wavefront6targetE0EEEvS10_ ; -- Begin function _ZN7rocprim17ROCPRIM_400000_NS6detail17trampoline_kernelINS0_14default_configENS1_21merge_config_selectorINS0_5tupleIJyyEEENS0_10empty_typeEEEZNS1_10merge_implIS3_NS0_12zip_iteratorINS5_IJN6thrust23THRUST_200600_302600_NS6detail15normal_iteratorINSC_10device_ptrIKyEEEESI_EEEEESK_NSA_INS5_IJNSE_INSF_IyEEEESM_EEEEEPS7_SP_SP_NSC_11hip_rocprim7__merge17predicate_wrapperIyyNSC_4lessImEEEEEE10hipError_tPvRmT0_T1_T2_T3_T4_T5_mmT6_P12ihipStream_tbEUlT_E_NS1_11comp_targetILNS1_3genE2ELNS1_11target_archE906ELNS1_3gpuE6ELNS1_3repE0EEENS1_30default_config_static_selectorELNS0_4arch9wavefront6targetE0EEEvS10_
	.globl	_ZN7rocprim17ROCPRIM_400000_NS6detail17trampoline_kernelINS0_14default_configENS1_21merge_config_selectorINS0_5tupleIJyyEEENS0_10empty_typeEEEZNS1_10merge_implIS3_NS0_12zip_iteratorINS5_IJN6thrust23THRUST_200600_302600_NS6detail15normal_iteratorINSC_10device_ptrIKyEEEESI_EEEEESK_NSA_INS5_IJNSE_INSF_IyEEEESM_EEEEEPS7_SP_SP_NSC_11hip_rocprim7__merge17predicate_wrapperIyyNSC_4lessImEEEEEE10hipError_tPvRmT0_T1_T2_T3_T4_T5_mmT6_P12ihipStream_tbEUlT_E_NS1_11comp_targetILNS1_3genE2ELNS1_11target_archE906ELNS1_3gpuE6ELNS1_3repE0EEENS1_30default_config_static_selectorELNS0_4arch9wavefront6targetE0EEEvS10_
	.p2align	8
	.type	_ZN7rocprim17ROCPRIM_400000_NS6detail17trampoline_kernelINS0_14default_configENS1_21merge_config_selectorINS0_5tupleIJyyEEENS0_10empty_typeEEEZNS1_10merge_implIS3_NS0_12zip_iteratorINS5_IJN6thrust23THRUST_200600_302600_NS6detail15normal_iteratorINSC_10device_ptrIKyEEEESI_EEEEESK_NSA_INS5_IJNSE_INSF_IyEEEESM_EEEEEPS7_SP_SP_NSC_11hip_rocprim7__merge17predicate_wrapperIyyNSC_4lessImEEEEEE10hipError_tPvRmT0_T1_T2_T3_T4_T5_mmT6_P12ihipStream_tbEUlT_E_NS1_11comp_targetILNS1_3genE2ELNS1_11target_archE906ELNS1_3gpuE6ELNS1_3repE0EEENS1_30default_config_static_selectorELNS0_4arch9wavefront6targetE0EEEvS10_,@function
_ZN7rocprim17ROCPRIM_400000_NS6detail17trampoline_kernelINS0_14default_configENS1_21merge_config_selectorINS0_5tupleIJyyEEENS0_10empty_typeEEEZNS1_10merge_implIS3_NS0_12zip_iteratorINS5_IJN6thrust23THRUST_200600_302600_NS6detail15normal_iteratorINSC_10device_ptrIKyEEEESI_EEEEESK_NSA_INS5_IJNSE_INSF_IyEEEESM_EEEEEPS7_SP_SP_NSC_11hip_rocprim7__merge17predicate_wrapperIyyNSC_4lessImEEEEEE10hipError_tPvRmT0_T1_T2_T3_T4_T5_mmT6_P12ihipStream_tbEUlT_E_NS1_11comp_targetILNS1_3genE2ELNS1_11target_archE906ELNS1_3gpuE6ELNS1_3repE0EEENS1_30default_config_static_selectorELNS0_4arch9wavefront6targetE0EEEvS10_: ; @_ZN7rocprim17ROCPRIM_400000_NS6detail17trampoline_kernelINS0_14default_configENS1_21merge_config_selectorINS0_5tupleIJyyEEENS0_10empty_typeEEEZNS1_10merge_implIS3_NS0_12zip_iteratorINS5_IJN6thrust23THRUST_200600_302600_NS6detail15normal_iteratorINSC_10device_ptrIKyEEEESI_EEEEESK_NSA_INS5_IJNSE_INSF_IyEEEESM_EEEEEPS7_SP_SP_NSC_11hip_rocprim7__merge17predicate_wrapperIyyNSC_4lessImEEEEEE10hipError_tPvRmT0_T1_T2_T3_T4_T5_mmT6_P12ihipStream_tbEUlT_E_NS1_11comp_targetILNS1_3genE2ELNS1_11target_archE906ELNS1_3gpuE6ELNS1_3repE0EEENS1_30default_config_static_selectorELNS0_4arch9wavefront6targetE0EEEvS10_
; %bb.0:
	.section	.rodata,"a",@progbits
	.p2align	6, 0x0
	.amdhsa_kernel _ZN7rocprim17ROCPRIM_400000_NS6detail17trampoline_kernelINS0_14default_configENS1_21merge_config_selectorINS0_5tupleIJyyEEENS0_10empty_typeEEEZNS1_10merge_implIS3_NS0_12zip_iteratorINS5_IJN6thrust23THRUST_200600_302600_NS6detail15normal_iteratorINSC_10device_ptrIKyEEEESI_EEEEESK_NSA_INS5_IJNSE_INSF_IyEEEESM_EEEEEPS7_SP_SP_NSC_11hip_rocprim7__merge17predicate_wrapperIyyNSC_4lessImEEEEEE10hipError_tPvRmT0_T1_T2_T3_T4_T5_mmT6_P12ihipStream_tbEUlT_E_NS1_11comp_targetILNS1_3genE2ELNS1_11target_archE906ELNS1_3gpuE6ELNS1_3repE0EEENS1_30default_config_static_selectorELNS0_4arch9wavefront6targetE0EEEvS10_
		.amdhsa_group_segment_fixed_size 0
		.amdhsa_private_segment_fixed_size 0
		.amdhsa_kernarg_size 64
		.amdhsa_user_sgpr_count 2
		.amdhsa_user_sgpr_dispatch_ptr 0
		.amdhsa_user_sgpr_queue_ptr 0
		.amdhsa_user_sgpr_kernarg_segment_ptr 1
		.amdhsa_user_sgpr_dispatch_id 0
		.amdhsa_user_sgpr_kernarg_preload_length 0
		.amdhsa_user_sgpr_kernarg_preload_offset 0
		.amdhsa_user_sgpr_private_segment_size 0
		.amdhsa_wavefront_size32 1
		.amdhsa_uses_dynamic_stack 0
		.amdhsa_enable_private_segment 0
		.amdhsa_system_sgpr_workgroup_id_x 1
		.amdhsa_system_sgpr_workgroup_id_y 0
		.amdhsa_system_sgpr_workgroup_id_z 0
		.amdhsa_system_sgpr_workgroup_info 0
		.amdhsa_system_vgpr_workitem_id 0
		.amdhsa_next_free_vgpr 1
		.amdhsa_next_free_sgpr 1
		.amdhsa_named_barrier_count 0
		.amdhsa_reserve_vcc 0
		.amdhsa_float_round_mode_32 0
		.amdhsa_float_round_mode_16_64 0
		.amdhsa_float_denorm_mode_32 3
		.amdhsa_float_denorm_mode_16_64 3
		.amdhsa_fp16_overflow 0
		.amdhsa_memory_ordered 1
		.amdhsa_forward_progress 1
		.amdhsa_inst_pref_size 0
		.amdhsa_round_robin_scheduling 0
		.amdhsa_exception_fp_ieee_invalid_op 0
		.amdhsa_exception_fp_denorm_src 0
		.amdhsa_exception_fp_ieee_div_zero 0
		.amdhsa_exception_fp_ieee_overflow 0
		.amdhsa_exception_fp_ieee_underflow 0
		.amdhsa_exception_fp_ieee_inexact 0
		.amdhsa_exception_int_div_zero 0
	.end_amdhsa_kernel
	.section	.text._ZN7rocprim17ROCPRIM_400000_NS6detail17trampoline_kernelINS0_14default_configENS1_21merge_config_selectorINS0_5tupleIJyyEEENS0_10empty_typeEEEZNS1_10merge_implIS3_NS0_12zip_iteratorINS5_IJN6thrust23THRUST_200600_302600_NS6detail15normal_iteratorINSC_10device_ptrIKyEEEESI_EEEEESK_NSA_INS5_IJNSE_INSF_IyEEEESM_EEEEEPS7_SP_SP_NSC_11hip_rocprim7__merge17predicate_wrapperIyyNSC_4lessImEEEEEE10hipError_tPvRmT0_T1_T2_T3_T4_T5_mmT6_P12ihipStream_tbEUlT_E_NS1_11comp_targetILNS1_3genE2ELNS1_11target_archE906ELNS1_3gpuE6ELNS1_3repE0EEENS1_30default_config_static_selectorELNS0_4arch9wavefront6targetE0EEEvS10_,"axG",@progbits,_ZN7rocprim17ROCPRIM_400000_NS6detail17trampoline_kernelINS0_14default_configENS1_21merge_config_selectorINS0_5tupleIJyyEEENS0_10empty_typeEEEZNS1_10merge_implIS3_NS0_12zip_iteratorINS5_IJN6thrust23THRUST_200600_302600_NS6detail15normal_iteratorINSC_10device_ptrIKyEEEESI_EEEEESK_NSA_INS5_IJNSE_INSF_IyEEEESM_EEEEEPS7_SP_SP_NSC_11hip_rocprim7__merge17predicate_wrapperIyyNSC_4lessImEEEEEE10hipError_tPvRmT0_T1_T2_T3_T4_T5_mmT6_P12ihipStream_tbEUlT_E_NS1_11comp_targetILNS1_3genE2ELNS1_11target_archE906ELNS1_3gpuE6ELNS1_3repE0EEENS1_30default_config_static_selectorELNS0_4arch9wavefront6targetE0EEEvS10_,comdat
.Lfunc_end465:
	.size	_ZN7rocprim17ROCPRIM_400000_NS6detail17trampoline_kernelINS0_14default_configENS1_21merge_config_selectorINS0_5tupleIJyyEEENS0_10empty_typeEEEZNS1_10merge_implIS3_NS0_12zip_iteratorINS5_IJN6thrust23THRUST_200600_302600_NS6detail15normal_iteratorINSC_10device_ptrIKyEEEESI_EEEEESK_NSA_INS5_IJNSE_INSF_IyEEEESM_EEEEEPS7_SP_SP_NSC_11hip_rocprim7__merge17predicate_wrapperIyyNSC_4lessImEEEEEE10hipError_tPvRmT0_T1_T2_T3_T4_T5_mmT6_P12ihipStream_tbEUlT_E_NS1_11comp_targetILNS1_3genE2ELNS1_11target_archE906ELNS1_3gpuE6ELNS1_3repE0EEENS1_30default_config_static_selectorELNS0_4arch9wavefront6targetE0EEEvS10_, .Lfunc_end465-_ZN7rocprim17ROCPRIM_400000_NS6detail17trampoline_kernelINS0_14default_configENS1_21merge_config_selectorINS0_5tupleIJyyEEENS0_10empty_typeEEEZNS1_10merge_implIS3_NS0_12zip_iteratorINS5_IJN6thrust23THRUST_200600_302600_NS6detail15normal_iteratorINSC_10device_ptrIKyEEEESI_EEEEESK_NSA_INS5_IJNSE_INSF_IyEEEESM_EEEEEPS7_SP_SP_NSC_11hip_rocprim7__merge17predicate_wrapperIyyNSC_4lessImEEEEEE10hipError_tPvRmT0_T1_T2_T3_T4_T5_mmT6_P12ihipStream_tbEUlT_E_NS1_11comp_targetILNS1_3genE2ELNS1_11target_archE906ELNS1_3gpuE6ELNS1_3repE0EEENS1_30default_config_static_selectorELNS0_4arch9wavefront6targetE0EEEvS10_
                                        ; -- End function
	.set _ZN7rocprim17ROCPRIM_400000_NS6detail17trampoline_kernelINS0_14default_configENS1_21merge_config_selectorINS0_5tupleIJyyEEENS0_10empty_typeEEEZNS1_10merge_implIS3_NS0_12zip_iteratorINS5_IJN6thrust23THRUST_200600_302600_NS6detail15normal_iteratorINSC_10device_ptrIKyEEEESI_EEEEESK_NSA_INS5_IJNSE_INSF_IyEEEESM_EEEEEPS7_SP_SP_NSC_11hip_rocprim7__merge17predicate_wrapperIyyNSC_4lessImEEEEEE10hipError_tPvRmT0_T1_T2_T3_T4_T5_mmT6_P12ihipStream_tbEUlT_E_NS1_11comp_targetILNS1_3genE2ELNS1_11target_archE906ELNS1_3gpuE6ELNS1_3repE0EEENS1_30default_config_static_selectorELNS0_4arch9wavefront6targetE0EEEvS10_.num_vgpr, 0
	.set _ZN7rocprim17ROCPRIM_400000_NS6detail17trampoline_kernelINS0_14default_configENS1_21merge_config_selectorINS0_5tupleIJyyEEENS0_10empty_typeEEEZNS1_10merge_implIS3_NS0_12zip_iteratorINS5_IJN6thrust23THRUST_200600_302600_NS6detail15normal_iteratorINSC_10device_ptrIKyEEEESI_EEEEESK_NSA_INS5_IJNSE_INSF_IyEEEESM_EEEEEPS7_SP_SP_NSC_11hip_rocprim7__merge17predicate_wrapperIyyNSC_4lessImEEEEEE10hipError_tPvRmT0_T1_T2_T3_T4_T5_mmT6_P12ihipStream_tbEUlT_E_NS1_11comp_targetILNS1_3genE2ELNS1_11target_archE906ELNS1_3gpuE6ELNS1_3repE0EEENS1_30default_config_static_selectorELNS0_4arch9wavefront6targetE0EEEvS10_.num_agpr, 0
	.set _ZN7rocprim17ROCPRIM_400000_NS6detail17trampoline_kernelINS0_14default_configENS1_21merge_config_selectorINS0_5tupleIJyyEEENS0_10empty_typeEEEZNS1_10merge_implIS3_NS0_12zip_iteratorINS5_IJN6thrust23THRUST_200600_302600_NS6detail15normal_iteratorINSC_10device_ptrIKyEEEESI_EEEEESK_NSA_INS5_IJNSE_INSF_IyEEEESM_EEEEEPS7_SP_SP_NSC_11hip_rocprim7__merge17predicate_wrapperIyyNSC_4lessImEEEEEE10hipError_tPvRmT0_T1_T2_T3_T4_T5_mmT6_P12ihipStream_tbEUlT_E_NS1_11comp_targetILNS1_3genE2ELNS1_11target_archE906ELNS1_3gpuE6ELNS1_3repE0EEENS1_30default_config_static_selectorELNS0_4arch9wavefront6targetE0EEEvS10_.numbered_sgpr, 0
	.set _ZN7rocprim17ROCPRIM_400000_NS6detail17trampoline_kernelINS0_14default_configENS1_21merge_config_selectorINS0_5tupleIJyyEEENS0_10empty_typeEEEZNS1_10merge_implIS3_NS0_12zip_iteratorINS5_IJN6thrust23THRUST_200600_302600_NS6detail15normal_iteratorINSC_10device_ptrIKyEEEESI_EEEEESK_NSA_INS5_IJNSE_INSF_IyEEEESM_EEEEEPS7_SP_SP_NSC_11hip_rocprim7__merge17predicate_wrapperIyyNSC_4lessImEEEEEE10hipError_tPvRmT0_T1_T2_T3_T4_T5_mmT6_P12ihipStream_tbEUlT_E_NS1_11comp_targetILNS1_3genE2ELNS1_11target_archE906ELNS1_3gpuE6ELNS1_3repE0EEENS1_30default_config_static_selectorELNS0_4arch9wavefront6targetE0EEEvS10_.num_named_barrier, 0
	.set _ZN7rocprim17ROCPRIM_400000_NS6detail17trampoline_kernelINS0_14default_configENS1_21merge_config_selectorINS0_5tupleIJyyEEENS0_10empty_typeEEEZNS1_10merge_implIS3_NS0_12zip_iteratorINS5_IJN6thrust23THRUST_200600_302600_NS6detail15normal_iteratorINSC_10device_ptrIKyEEEESI_EEEEESK_NSA_INS5_IJNSE_INSF_IyEEEESM_EEEEEPS7_SP_SP_NSC_11hip_rocprim7__merge17predicate_wrapperIyyNSC_4lessImEEEEEE10hipError_tPvRmT0_T1_T2_T3_T4_T5_mmT6_P12ihipStream_tbEUlT_E_NS1_11comp_targetILNS1_3genE2ELNS1_11target_archE906ELNS1_3gpuE6ELNS1_3repE0EEENS1_30default_config_static_selectorELNS0_4arch9wavefront6targetE0EEEvS10_.private_seg_size, 0
	.set _ZN7rocprim17ROCPRIM_400000_NS6detail17trampoline_kernelINS0_14default_configENS1_21merge_config_selectorINS0_5tupleIJyyEEENS0_10empty_typeEEEZNS1_10merge_implIS3_NS0_12zip_iteratorINS5_IJN6thrust23THRUST_200600_302600_NS6detail15normal_iteratorINSC_10device_ptrIKyEEEESI_EEEEESK_NSA_INS5_IJNSE_INSF_IyEEEESM_EEEEEPS7_SP_SP_NSC_11hip_rocprim7__merge17predicate_wrapperIyyNSC_4lessImEEEEEE10hipError_tPvRmT0_T1_T2_T3_T4_T5_mmT6_P12ihipStream_tbEUlT_E_NS1_11comp_targetILNS1_3genE2ELNS1_11target_archE906ELNS1_3gpuE6ELNS1_3repE0EEENS1_30default_config_static_selectorELNS0_4arch9wavefront6targetE0EEEvS10_.uses_vcc, 0
	.set _ZN7rocprim17ROCPRIM_400000_NS6detail17trampoline_kernelINS0_14default_configENS1_21merge_config_selectorINS0_5tupleIJyyEEENS0_10empty_typeEEEZNS1_10merge_implIS3_NS0_12zip_iteratorINS5_IJN6thrust23THRUST_200600_302600_NS6detail15normal_iteratorINSC_10device_ptrIKyEEEESI_EEEEESK_NSA_INS5_IJNSE_INSF_IyEEEESM_EEEEEPS7_SP_SP_NSC_11hip_rocprim7__merge17predicate_wrapperIyyNSC_4lessImEEEEEE10hipError_tPvRmT0_T1_T2_T3_T4_T5_mmT6_P12ihipStream_tbEUlT_E_NS1_11comp_targetILNS1_3genE2ELNS1_11target_archE906ELNS1_3gpuE6ELNS1_3repE0EEENS1_30default_config_static_selectorELNS0_4arch9wavefront6targetE0EEEvS10_.uses_flat_scratch, 0
	.set _ZN7rocprim17ROCPRIM_400000_NS6detail17trampoline_kernelINS0_14default_configENS1_21merge_config_selectorINS0_5tupleIJyyEEENS0_10empty_typeEEEZNS1_10merge_implIS3_NS0_12zip_iteratorINS5_IJN6thrust23THRUST_200600_302600_NS6detail15normal_iteratorINSC_10device_ptrIKyEEEESI_EEEEESK_NSA_INS5_IJNSE_INSF_IyEEEESM_EEEEEPS7_SP_SP_NSC_11hip_rocprim7__merge17predicate_wrapperIyyNSC_4lessImEEEEEE10hipError_tPvRmT0_T1_T2_T3_T4_T5_mmT6_P12ihipStream_tbEUlT_E_NS1_11comp_targetILNS1_3genE2ELNS1_11target_archE906ELNS1_3gpuE6ELNS1_3repE0EEENS1_30default_config_static_selectorELNS0_4arch9wavefront6targetE0EEEvS10_.has_dyn_sized_stack, 0
	.set _ZN7rocprim17ROCPRIM_400000_NS6detail17trampoline_kernelINS0_14default_configENS1_21merge_config_selectorINS0_5tupleIJyyEEENS0_10empty_typeEEEZNS1_10merge_implIS3_NS0_12zip_iteratorINS5_IJN6thrust23THRUST_200600_302600_NS6detail15normal_iteratorINSC_10device_ptrIKyEEEESI_EEEEESK_NSA_INS5_IJNSE_INSF_IyEEEESM_EEEEEPS7_SP_SP_NSC_11hip_rocprim7__merge17predicate_wrapperIyyNSC_4lessImEEEEEE10hipError_tPvRmT0_T1_T2_T3_T4_T5_mmT6_P12ihipStream_tbEUlT_E_NS1_11comp_targetILNS1_3genE2ELNS1_11target_archE906ELNS1_3gpuE6ELNS1_3repE0EEENS1_30default_config_static_selectorELNS0_4arch9wavefront6targetE0EEEvS10_.has_recursion, 0
	.set _ZN7rocprim17ROCPRIM_400000_NS6detail17trampoline_kernelINS0_14default_configENS1_21merge_config_selectorINS0_5tupleIJyyEEENS0_10empty_typeEEEZNS1_10merge_implIS3_NS0_12zip_iteratorINS5_IJN6thrust23THRUST_200600_302600_NS6detail15normal_iteratorINSC_10device_ptrIKyEEEESI_EEEEESK_NSA_INS5_IJNSE_INSF_IyEEEESM_EEEEEPS7_SP_SP_NSC_11hip_rocprim7__merge17predicate_wrapperIyyNSC_4lessImEEEEEE10hipError_tPvRmT0_T1_T2_T3_T4_T5_mmT6_P12ihipStream_tbEUlT_E_NS1_11comp_targetILNS1_3genE2ELNS1_11target_archE906ELNS1_3gpuE6ELNS1_3repE0EEENS1_30default_config_static_selectorELNS0_4arch9wavefront6targetE0EEEvS10_.has_indirect_call, 0
	.section	.AMDGPU.csdata,"",@progbits
; Kernel info:
; codeLenInByte = 0
; TotalNumSgprs: 0
; NumVgprs: 0
; ScratchSize: 0
; MemoryBound: 0
; FloatMode: 240
; IeeeMode: 1
; LDSByteSize: 0 bytes/workgroup (compile time only)
; SGPRBlocks: 0
; VGPRBlocks: 0
; NumSGPRsForWavesPerEU: 1
; NumVGPRsForWavesPerEU: 1
; NamedBarCnt: 0
; Occupancy: 16
; WaveLimiterHint : 0
; COMPUTE_PGM_RSRC2:SCRATCH_EN: 0
; COMPUTE_PGM_RSRC2:USER_SGPR: 2
; COMPUTE_PGM_RSRC2:TRAP_HANDLER: 0
; COMPUTE_PGM_RSRC2:TGID_X_EN: 1
; COMPUTE_PGM_RSRC2:TGID_Y_EN: 0
; COMPUTE_PGM_RSRC2:TGID_Z_EN: 0
; COMPUTE_PGM_RSRC2:TIDIG_COMP_CNT: 0
	.section	.text._ZN7rocprim17ROCPRIM_400000_NS6detail17trampoline_kernelINS0_14default_configENS1_21merge_config_selectorINS0_5tupleIJyyEEENS0_10empty_typeEEEZNS1_10merge_implIS3_NS0_12zip_iteratorINS5_IJN6thrust23THRUST_200600_302600_NS6detail15normal_iteratorINSC_10device_ptrIKyEEEESI_EEEEESK_NSA_INS5_IJNSE_INSF_IyEEEESM_EEEEEPS7_SP_SP_NSC_11hip_rocprim7__merge17predicate_wrapperIyyNSC_4lessImEEEEEE10hipError_tPvRmT0_T1_T2_T3_T4_T5_mmT6_P12ihipStream_tbEUlT_E_NS1_11comp_targetILNS1_3genE10ELNS1_11target_archE1201ELNS1_3gpuE5ELNS1_3repE0EEENS1_30default_config_static_selectorELNS0_4arch9wavefront6targetE0EEEvS10_,"axG",@progbits,_ZN7rocprim17ROCPRIM_400000_NS6detail17trampoline_kernelINS0_14default_configENS1_21merge_config_selectorINS0_5tupleIJyyEEENS0_10empty_typeEEEZNS1_10merge_implIS3_NS0_12zip_iteratorINS5_IJN6thrust23THRUST_200600_302600_NS6detail15normal_iteratorINSC_10device_ptrIKyEEEESI_EEEEESK_NSA_INS5_IJNSE_INSF_IyEEEESM_EEEEEPS7_SP_SP_NSC_11hip_rocprim7__merge17predicate_wrapperIyyNSC_4lessImEEEEEE10hipError_tPvRmT0_T1_T2_T3_T4_T5_mmT6_P12ihipStream_tbEUlT_E_NS1_11comp_targetILNS1_3genE10ELNS1_11target_archE1201ELNS1_3gpuE5ELNS1_3repE0EEENS1_30default_config_static_selectorELNS0_4arch9wavefront6targetE0EEEvS10_,comdat
	.protected	_ZN7rocprim17ROCPRIM_400000_NS6detail17trampoline_kernelINS0_14default_configENS1_21merge_config_selectorINS0_5tupleIJyyEEENS0_10empty_typeEEEZNS1_10merge_implIS3_NS0_12zip_iteratorINS5_IJN6thrust23THRUST_200600_302600_NS6detail15normal_iteratorINSC_10device_ptrIKyEEEESI_EEEEESK_NSA_INS5_IJNSE_INSF_IyEEEESM_EEEEEPS7_SP_SP_NSC_11hip_rocprim7__merge17predicate_wrapperIyyNSC_4lessImEEEEEE10hipError_tPvRmT0_T1_T2_T3_T4_T5_mmT6_P12ihipStream_tbEUlT_E_NS1_11comp_targetILNS1_3genE10ELNS1_11target_archE1201ELNS1_3gpuE5ELNS1_3repE0EEENS1_30default_config_static_selectorELNS0_4arch9wavefront6targetE0EEEvS10_ ; -- Begin function _ZN7rocprim17ROCPRIM_400000_NS6detail17trampoline_kernelINS0_14default_configENS1_21merge_config_selectorINS0_5tupleIJyyEEENS0_10empty_typeEEEZNS1_10merge_implIS3_NS0_12zip_iteratorINS5_IJN6thrust23THRUST_200600_302600_NS6detail15normal_iteratorINSC_10device_ptrIKyEEEESI_EEEEESK_NSA_INS5_IJNSE_INSF_IyEEEESM_EEEEEPS7_SP_SP_NSC_11hip_rocprim7__merge17predicate_wrapperIyyNSC_4lessImEEEEEE10hipError_tPvRmT0_T1_T2_T3_T4_T5_mmT6_P12ihipStream_tbEUlT_E_NS1_11comp_targetILNS1_3genE10ELNS1_11target_archE1201ELNS1_3gpuE5ELNS1_3repE0EEENS1_30default_config_static_selectorELNS0_4arch9wavefront6targetE0EEEvS10_
	.globl	_ZN7rocprim17ROCPRIM_400000_NS6detail17trampoline_kernelINS0_14default_configENS1_21merge_config_selectorINS0_5tupleIJyyEEENS0_10empty_typeEEEZNS1_10merge_implIS3_NS0_12zip_iteratorINS5_IJN6thrust23THRUST_200600_302600_NS6detail15normal_iteratorINSC_10device_ptrIKyEEEESI_EEEEESK_NSA_INS5_IJNSE_INSF_IyEEEESM_EEEEEPS7_SP_SP_NSC_11hip_rocprim7__merge17predicate_wrapperIyyNSC_4lessImEEEEEE10hipError_tPvRmT0_T1_T2_T3_T4_T5_mmT6_P12ihipStream_tbEUlT_E_NS1_11comp_targetILNS1_3genE10ELNS1_11target_archE1201ELNS1_3gpuE5ELNS1_3repE0EEENS1_30default_config_static_selectorELNS0_4arch9wavefront6targetE0EEEvS10_
	.p2align	8
	.type	_ZN7rocprim17ROCPRIM_400000_NS6detail17trampoline_kernelINS0_14default_configENS1_21merge_config_selectorINS0_5tupleIJyyEEENS0_10empty_typeEEEZNS1_10merge_implIS3_NS0_12zip_iteratorINS5_IJN6thrust23THRUST_200600_302600_NS6detail15normal_iteratorINSC_10device_ptrIKyEEEESI_EEEEESK_NSA_INS5_IJNSE_INSF_IyEEEESM_EEEEEPS7_SP_SP_NSC_11hip_rocprim7__merge17predicate_wrapperIyyNSC_4lessImEEEEEE10hipError_tPvRmT0_T1_T2_T3_T4_T5_mmT6_P12ihipStream_tbEUlT_E_NS1_11comp_targetILNS1_3genE10ELNS1_11target_archE1201ELNS1_3gpuE5ELNS1_3repE0EEENS1_30default_config_static_selectorELNS0_4arch9wavefront6targetE0EEEvS10_,@function
_ZN7rocprim17ROCPRIM_400000_NS6detail17trampoline_kernelINS0_14default_configENS1_21merge_config_selectorINS0_5tupleIJyyEEENS0_10empty_typeEEEZNS1_10merge_implIS3_NS0_12zip_iteratorINS5_IJN6thrust23THRUST_200600_302600_NS6detail15normal_iteratorINSC_10device_ptrIKyEEEESI_EEEEESK_NSA_INS5_IJNSE_INSF_IyEEEESM_EEEEEPS7_SP_SP_NSC_11hip_rocprim7__merge17predicate_wrapperIyyNSC_4lessImEEEEEE10hipError_tPvRmT0_T1_T2_T3_T4_T5_mmT6_P12ihipStream_tbEUlT_E_NS1_11comp_targetILNS1_3genE10ELNS1_11target_archE1201ELNS1_3gpuE5ELNS1_3repE0EEENS1_30default_config_static_selectorELNS0_4arch9wavefront6targetE0EEEvS10_: ; @_ZN7rocprim17ROCPRIM_400000_NS6detail17trampoline_kernelINS0_14default_configENS1_21merge_config_selectorINS0_5tupleIJyyEEENS0_10empty_typeEEEZNS1_10merge_implIS3_NS0_12zip_iteratorINS5_IJN6thrust23THRUST_200600_302600_NS6detail15normal_iteratorINSC_10device_ptrIKyEEEESI_EEEEESK_NSA_INS5_IJNSE_INSF_IyEEEESM_EEEEEPS7_SP_SP_NSC_11hip_rocprim7__merge17predicate_wrapperIyyNSC_4lessImEEEEEE10hipError_tPvRmT0_T1_T2_T3_T4_T5_mmT6_P12ihipStream_tbEUlT_E_NS1_11comp_targetILNS1_3genE10ELNS1_11target_archE1201ELNS1_3gpuE5ELNS1_3repE0EEENS1_30default_config_static_selectorELNS0_4arch9wavefront6targetE0EEEvS10_
; %bb.0:
	.section	.rodata,"a",@progbits
	.p2align	6, 0x0
	.amdhsa_kernel _ZN7rocprim17ROCPRIM_400000_NS6detail17trampoline_kernelINS0_14default_configENS1_21merge_config_selectorINS0_5tupleIJyyEEENS0_10empty_typeEEEZNS1_10merge_implIS3_NS0_12zip_iteratorINS5_IJN6thrust23THRUST_200600_302600_NS6detail15normal_iteratorINSC_10device_ptrIKyEEEESI_EEEEESK_NSA_INS5_IJNSE_INSF_IyEEEESM_EEEEEPS7_SP_SP_NSC_11hip_rocprim7__merge17predicate_wrapperIyyNSC_4lessImEEEEEE10hipError_tPvRmT0_T1_T2_T3_T4_T5_mmT6_P12ihipStream_tbEUlT_E_NS1_11comp_targetILNS1_3genE10ELNS1_11target_archE1201ELNS1_3gpuE5ELNS1_3repE0EEENS1_30default_config_static_selectorELNS0_4arch9wavefront6targetE0EEEvS10_
		.amdhsa_group_segment_fixed_size 0
		.amdhsa_private_segment_fixed_size 0
		.amdhsa_kernarg_size 64
		.amdhsa_user_sgpr_count 2
		.amdhsa_user_sgpr_dispatch_ptr 0
		.amdhsa_user_sgpr_queue_ptr 0
		.amdhsa_user_sgpr_kernarg_segment_ptr 1
		.amdhsa_user_sgpr_dispatch_id 0
		.amdhsa_user_sgpr_kernarg_preload_length 0
		.amdhsa_user_sgpr_kernarg_preload_offset 0
		.amdhsa_user_sgpr_private_segment_size 0
		.amdhsa_wavefront_size32 1
		.amdhsa_uses_dynamic_stack 0
		.amdhsa_enable_private_segment 0
		.amdhsa_system_sgpr_workgroup_id_x 1
		.amdhsa_system_sgpr_workgroup_id_y 0
		.amdhsa_system_sgpr_workgroup_id_z 0
		.amdhsa_system_sgpr_workgroup_info 0
		.amdhsa_system_vgpr_workitem_id 0
		.amdhsa_next_free_vgpr 1
		.amdhsa_next_free_sgpr 1
		.amdhsa_named_barrier_count 0
		.amdhsa_reserve_vcc 0
		.amdhsa_float_round_mode_32 0
		.amdhsa_float_round_mode_16_64 0
		.amdhsa_float_denorm_mode_32 3
		.amdhsa_float_denorm_mode_16_64 3
		.amdhsa_fp16_overflow 0
		.amdhsa_memory_ordered 1
		.amdhsa_forward_progress 1
		.amdhsa_inst_pref_size 0
		.amdhsa_round_robin_scheduling 0
		.amdhsa_exception_fp_ieee_invalid_op 0
		.amdhsa_exception_fp_denorm_src 0
		.amdhsa_exception_fp_ieee_div_zero 0
		.amdhsa_exception_fp_ieee_overflow 0
		.amdhsa_exception_fp_ieee_underflow 0
		.amdhsa_exception_fp_ieee_inexact 0
		.amdhsa_exception_int_div_zero 0
	.end_amdhsa_kernel
	.section	.text._ZN7rocprim17ROCPRIM_400000_NS6detail17trampoline_kernelINS0_14default_configENS1_21merge_config_selectorINS0_5tupleIJyyEEENS0_10empty_typeEEEZNS1_10merge_implIS3_NS0_12zip_iteratorINS5_IJN6thrust23THRUST_200600_302600_NS6detail15normal_iteratorINSC_10device_ptrIKyEEEESI_EEEEESK_NSA_INS5_IJNSE_INSF_IyEEEESM_EEEEEPS7_SP_SP_NSC_11hip_rocprim7__merge17predicate_wrapperIyyNSC_4lessImEEEEEE10hipError_tPvRmT0_T1_T2_T3_T4_T5_mmT6_P12ihipStream_tbEUlT_E_NS1_11comp_targetILNS1_3genE10ELNS1_11target_archE1201ELNS1_3gpuE5ELNS1_3repE0EEENS1_30default_config_static_selectorELNS0_4arch9wavefront6targetE0EEEvS10_,"axG",@progbits,_ZN7rocprim17ROCPRIM_400000_NS6detail17trampoline_kernelINS0_14default_configENS1_21merge_config_selectorINS0_5tupleIJyyEEENS0_10empty_typeEEEZNS1_10merge_implIS3_NS0_12zip_iteratorINS5_IJN6thrust23THRUST_200600_302600_NS6detail15normal_iteratorINSC_10device_ptrIKyEEEESI_EEEEESK_NSA_INS5_IJNSE_INSF_IyEEEESM_EEEEEPS7_SP_SP_NSC_11hip_rocprim7__merge17predicate_wrapperIyyNSC_4lessImEEEEEE10hipError_tPvRmT0_T1_T2_T3_T4_T5_mmT6_P12ihipStream_tbEUlT_E_NS1_11comp_targetILNS1_3genE10ELNS1_11target_archE1201ELNS1_3gpuE5ELNS1_3repE0EEENS1_30default_config_static_selectorELNS0_4arch9wavefront6targetE0EEEvS10_,comdat
.Lfunc_end466:
	.size	_ZN7rocprim17ROCPRIM_400000_NS6detail17trampoline_kernelINS0_14default_configENS1_21merge_config_selectorINS0_5tupleIJyyEEENS0_10empty_typeEEEZNS1_10merge_implIS3_NS0_12zip_iteratorINS5_IJN6thrust23THRUST_200600_302600_NS6detail15normal_iteratorINSC_10device_ptrIKyEEEESI_EEEEESK_NSA_INS5_IJNSE_INSF_IyEEEESM_EEEEEPS7_SP_SP_NSC_11hip_rocprim7__merge17predicate_wrapperIyyNSC_4lessImEEEEEE10hipError_tPvRmT0_T1_T2_T3_T4_T5_mmT6_P12ihipStream_tbEUlT_E_NS1_11comp_targetILNS1_3genE10ELNS1_11target_archE1201ELNS1_3gpuE5ELNS1_3repE0EEENS1_30default_config_static_selectorELNS0_4arch9wavefront6targetE0EEEvS10_, .Lfunc_end466-_ZN7rocprim17ROCPRIM_400000_NS6detail17trampoline_kernelINS0_14default_configENS1_21merge_config_selectorINS0_5tupleIJyyEEENS0_10empty_typeEEEZNS1_10merge_implIS3_NS0_12zip_iteratorINS5_IJN6thrust23THRUST_200600_302600_NS6detail15normal_iteratorINSC_10device_ptrIKyEEEESI_EEEEESK_NSA_INS5_IJNSE_INSF_IyEEEESM_EEEEEPS7_SP_SP_NSC_11hip_rocprim7__merge17predicate_wrapperIyyNSC_4lessImEEEEEE10hipError_tPvRmT0_T1_T2_T3_T4_T5_mmT6_P12ihipStream_tbEUlT_E_NS1_11comp_targetILNS1_3genE10ELNS1_11target_archE1201ELNS1_3gpuE5ELNS1_3repE0EEENS1_30default_config_static_selectorELNS0_4arch9wavefront6targetE0EEEvS10_
                                        ; -- End function
	.set _ZN7rocprim17ROCPRIM_400000_NS6detail17trampoline_kernelINS0_14default_configENS1_21merge_config_selectorINS0_5tupleIJyyEEENS0_10empty_typeEEEZNS1_10merge_implIS3_NS0_12zip_iteratorINS5_IJN6thrust23THRUST_200600_302600_NS6detail15normal_iteratorINSC_10device_ptrIKyEEEESI_EEEEESK_NSA_INS5_IJNSE_INSF_IyEEEESM_EEEEEPS7_SP_SP_NSC_11hip_rocprim7__merge17predicate_wrapperIyyNSC_4lessImEEEEEE10hipError_tPvRmT0_T1_T2_T3_T4_T5_mmT6_P12ihipStream_tbEUlT_E_NS1_11comp_targetILNS1_3genE10ELNS1_11target_archE1201ELNS1_3gpuE5ELNS1_3repE0EEENS1_30default_config_static_selectorELNS0_4arch9wavefront6targetE0EEEvS10_.num_vgpr, 0
	.set _ZN7rocprim17ROCPRIM_400000_NS6detail17trampoline_kernelINS0_14default_configENS1_21merge_config_selectorINS0_5tupleIJyyEEENS0_10empty_typeEEEZNS1_10merge_implIS3_NS0_12zip_iteratorINS5_IJN6thrust23THRUST_200600_302600_NS6detail15normal_iteratorINSC_10device_ptrIKyEEEESI_EEEEESK_NSA_INS5_IJNSE_INSF_IyEEEESM_EEEEEPS7_SP_SP_NSC_11hip_rocprim7__merge17predicate_wrapperIyyNSC_4lessImEEEEEE10hipError_tPvRmT0_T1_T2_T3_T4_T5_mmT6_P12ihipStream_tbEUlT_E_NS1_11comp_targetILNS1_3genE10ELNS1_11target_archE1201ELNS1_3gpuE5ELNS1_3repE0EEENS1_30default_config_static_selectorELNS0_4arch9wavefront6targetE0EEEvS10_.num_agpr, 0
	.set _ZN7rocprim17ROCPRIM_400000_NS6detail17trampoline_kernelINS0_14default_configENS1_21merge_config_selectorINS0_5tupleIJyyEEENS0_10empty_typeEEEZNS1_10merge_implIS3_NS0_12zip_iteratorINS5_IJN6thrust23THRUST_200600_302600_NS6detail15normal_iteratorINSC_10device_ptrIKyEEEESI_EEEEESK_NSA_INS5_IJNSE_INSF_IyEEEESM_EEEEEPS7_SP_SP_NSC_11hip_rocprim7__merge17predicate_wrapperIyyNSC_4lessImEEEEEE10hipError_tPvRmT0_T1_T2_T3_T4_T5_mmT6_P12ihipStream_tbEUlT_E_NS1_11comp_targetILNS1_3genE10ELNS1_11target_archE1201ELNS1_3gpuE5ELNS1_3repE0EEENS1_30default_config_static_selectorELNS0_4arch9wavefront6targetE0EEEvS10_.numbered_sgpr, 0
	.set _ZN7rocprim17ROCPRIM_400000_NS6detail17trampoline_kernelINS0_14default_configENS1_21merge_config_selectorINS0_5tupleIJyyEEENS0_10empty_typeEEEZNS1_10merge_implIS3_NS0_12zip_iteratorINS5_IJN6thrust23THRUST_200600_302600_NS6detail15normal_iteratorINSC_10device_ptrIKyEEEESI_EEEEESK_NSA_INS5_IJNSE_INSF_IyEEEESM_EEEEEPS7_SP_SP_NSC_11hip_rocprim7__merge17predicate_wrapperIyyNSC_4lessImEEEEEE10hipError_tPvRmT0_T1_T2_T3_T4_T5_mmT6_P12ihipStream_tbEUlT_E_NS1_11comp_targetILNS1_3genE10ELNS1_11target_archE1201ELNS1_3gpuE5ELNS1_3repE0EEENS1_30default_config_static_selectorELNS0_4arch9wavefront6targetE0EEEvS10_.num_named_barrier, 0
	.set _ZN7rocprim17ROCPRIM_400000_NS6detail17trampoline_kernelINS0_14default_configENS1_21merge_config_selectorINS0_5tupleIJyyEEENS0_10empty_typeEEEZNS1_10merge_implIS3_NS0_12zip_iteratorINS5_IJN6thrust23THRUST_200600_302600_NS6detail15normal_iteratorINSC_10device_ptrIKyEEEESI_EEEEESK_NSA_INS5_IJNSE_INSF_IyEEEESM_EEEEEPS7_SP_SP_NSC_11hip_rocprim7__merge17predicate_wrapperIyyNSC_4lessImEEEEEE10hipError_tPvRmT0_T1_T2_T3_T4_T5_mmT6_P12ihipStream_tbEUlT_E_NS1_11comp_targetILNS1_3genE10ELNS1_11target_archE1201ELNS1_3gpuE5ELNS1_3repE0EEENS1_30default_config_static_selectorELNS0_4arch9wavefront6targetE0EEEvS10_.private_seg_size, 0
	.set _ZN7rocprim17ROCPRIM_400000_NS6detail17trampoline_kernelINS0_14default_configENS1_21merge_config_selectorINS0_5tupleIJyyEEENS0_10empty_typeEEEZNS1_10merge_implIS3_NS0_12zip_iteratorINS5_IJN6thrust23THRUST_200600_302600_NS6detail15normal_iteratorINSC_10device_ptrIKyEEEESI_EEEEESK_NSA_INS5_IJNSE_INSF_IyEEEESM_EEEEEPS7_SP_SP_NSC_11hip_rocprim7__merge17predicate_wrapperIyyNSC_4lessImEEEEEE10hipError_tPvRmT0_T1_T2_T3_T4_T5_mmT6_P12ihipStream_tbEUlT_E_NS1_11comp_targetILNS1_3genE10ELNS1_11target_archE1201ELNS1_3gpuE5ELNS1_3repE0EEENS1_30default_config_static_selectorELNS0_4arch9wavefront6targetE0EEEvS10_.uses_vcc, 0
	.set _ZN7rocprim17ROCPRIM_400000_NS6detail17trampoline_kernelINS0_14default_configENS1_21merge_config_selectorINS0_5tupleIJyyEEENS0_10empty_typeEEEZNS1_10merge_implIS3_NS0_12zip_iteratorINS5_IJN6thrust23THRUST_200600_302600_NS6detail15normal_iteratorINSC_10device_ptrIKyEEEESI_EEEEESK_NSA_INS5_IJNSE_INSF_IyEEEESM_EEEEEPS7_SP_SP_NSC_11hip_rocprim7__merge17predicate_wrapperIyyNSC_4lessImEEEEEE10hipError_tPvRmT0_T1_T2_T3_T4_T5_mmT6_P12ihipStream_tbEUlT_E_NS1_11comp_targetILNS1_3genE10ELNS1_11target_archE1201ELNS1_3gpuE5ELNS1_3repE0EEENS1_30default_config_static_selectorELNS0_4arch9wavefront6targetE0EEEvS10_.uses_flat_scratch, 0
	.set _ZN7rocprim17ROCPRIM_400000_NS6detail17trampoline_kernelINS0_14default_configENS1_21merge_config_selectorINS0_5tupleIJyyEEENS0_10empty_typeEEEZNS1_10merge_implIS3_NS0_12zip_iteratorINS5_IJN6thrust23THRUST_200600_302600_NS6detail15normal_iteratorINSC_10device_ptrIKyEEEESI_EEEEESK_NSA_INS5_IJNSE_INSF_IyEEEESM_EEEEEPS7_SP_SP_NSC_11hip_rocprim7__merge17predicate_wrapperIyyNSC_4lessImEEEEEE10hipError_tPvRmT0_T1_T2_T3_T4_T5_mmT6_P12ihipStream_tbEUlT_E_NS1_11comp_targetILNS1_3genE10ELNS1_11target_archE1201ELNS1_3gpuE5ELNS1_3repE0EEENS1_30default_config_static_selectorELNS0_4arch9wavefront6targetE0EEEvS10_.has_dyn_sized_stack, 0
	.set _ZN7rocprim17ROCPRIM_400000_NS6detail17trampoline_kernelINS0_14default_configENS1_21merge_config_selectorINS0_5tupleIJyyEEENS0_10empty_typeEEEZNS1_10merge_implIS3_NS0_12zip_iteratorINS5_IJN6thrust23THRUST_200600_302600_NS6detail15normal_iteratorINSC_10device_ptrIKyEEEESI_EEEEESK_NSA_INS5_IJNSE_INSF_IyEEEESM_EEEEEPS7_SP_SP_NSC_11hip_rocprim7__merge17predicate_wrapperIyyNSC_4lessImEEEEEE10hipError_tPvRmT0_T1_T2_T3_T4_T5_mmT6_P12ihipStream_tbEUlT_E_NS1_11comp_targetILNS1_3genE10ELNS1_11target_archE1201ELNS1_3gpuE5ELNS1_3repE0EEENS1_30default_config_static_selectorELNS0_4arch9wavefront6targetE0EEEvS10_.has_recursion, 0
	.set _ZN7rocprim17ROCPRIM_400000_NS6detail17trampoline_kernelINS0_14default_configENS1_21merge_config_selectorINS0_5tupleIJyyEEENS0_10empty_typeEEEZNS1_10merge_implIS3_NS0_12zip_iteratorINS5_IJN6thrust23THRUST_200600_302600_NS6detail15normal_iteratorINSC_10device_ptrIKyEEEESI_EEEEESK_NSA_INS5_IJNSE_INSF_IyEEEESM_EEEEEPS7_SP_SP_NSC_11hip_rocprim7__merge17predicate_wrapperIyyNSC_4lessImEEEEEE10hipError_tPvRmT0_T1_T2_T3_T4_T5_mmT6_P12ihipStream_tbEUlT_E_NS1_11comp_targetILNS1_3genE10ELNS1_11target_archE1201ELNS1_3gpuE5ELNS1_3repE0EEENS1_30default_config_static_selectorELNS0_4arch9wavefront6targetE0EEEvS10_.has_indirect_call, 0
	.section	.AMDGPU.csdata,"",@progbits
; Kernel info:
; codeLenInByte = 0
; TotalNumSgprs: 0
; NumVgprs: 0
; ScratchSize: 0
; MemoryBound: 0
; FloatMode: 240
; IeeeMode: 1
; LDSByteSize: 0 bytes/workgroup (compile time only)
; SGPRBlocks: 0
; VGPRBlocks: 0
; NumSGPRsForWavesPerEU: 1
; NumVGPRsForWavesPerEU: 1
; NamedBarCnt: 0
; Occupancy: 16
; WaveLimiterHint : 0
; COMPUTE_PGM_RSRC2:SCRATCH_EN: 0
; COMPUTE_PGM_RSRC2:USER_SGPR: 2
; COMPUTE_PGM_RSRC2:TRAP_HANDLER: 0
; COMPUTE_PGM_RSRC2:TGID_X_EN: 1
; COMPUTE_PGM_RSRC2:TGID_Y_EN: 0
; COMPUTE_PGM_RSRC2:TGID_Z_EN: 0
; COMPUTE_PGM_RSRC2:TIDIG_COMP_CNT: 0
	.section	.text._ZN7rocprim17ROCPRIM_400000_NS6detail17trampoline_kernelINS0_14default_configENS1_21merge_config_selectorINS0_5tupleIJyyEEENS0_10empty_typeEEEZNS1_10merge_implIS3_NS0_12zip_iteratorINS5_IJN6thrust23THRUST_200600_302600_NS6detail15normal_iteratorINSC_10device_ptrIKyEEEESI_EEEEESK_NSA_INS5_IJNSE_INSF_IyEEEESM_EEEEEPS7_SP_SP_NSC_11hip_rocprim7__merge17predicate_wrapperIyyNSC_4lessImEEEEEE10hipError_tPvRmT0_T1_T2_T3_T4_T5_mmT6_P12ihipStream_tbEUlT_E_NS1_11comp_targetILNS1_3genE10ELNS1_11target_archE1200ELNS1_3gpuE4ELNS1_3repE0EEENS1_30default_config_static_selectorELNS0_4arch9wavefront6targetE0EEEvS10_,"axG",@progbits,_ZN7rocprim17ROCPRIM_400000_NS6detail17trampoline_kernelINS0_14default_configENS1_21merge_config_selectorINS0_5tupleIJyyEEENS0_10empty_typeEEEZNS1_10merge_implIS3_NS0_12zip_iteratorINS5_IJN6thrust23THRUST_200600_302600_NS6detail15normal_iteratorINSC_10device_ptrIKyEEEESI_EEEEESK_NSA_INS5_IJNSE_INSF_IyEEEESM_EEEEEPS7_SP_SP_NSC_11hip_rocprim7__merge17predicate_wrapperIyyNSC_4lessImEEEEEE10hipError_tPvRmT0_T1_T2_T3_T4_T5_mmT6_P12ihipStream_tbEUlT_E_NS1_11comp_targetILNS1_3genE10ELNS1_11target_archE1200ELNS1_3gpuE4ELNS1_3repE0EEENS1_30default_config_static_selectorELNS0_4arch9wavefront6targetE0EEEvS10_,comdat
	.protected	_ZN7rocprim17ROCPRIM_400000_NS6detail17trampoline_kernelINS0_14default_configENS1_21merge_config_selectorINS0_5tupleIJyyEEENS0_10empty_typeEEEZNS1_10merge_implIS3_NS0_12zip_iteratorINS5_IJN6thrust23THRUST_200600_302600_NS6detail15normal_iteratorINSC_10device_ptrIKyEEEESI_EEEEESK_NSA_INS5_IJNSE_INSF_IyEEEESM_EEEEEPS7_SP_SP_NSC_11hip_rocprim7__merge17predicate_wrapperIyyNSC_4lessImEEEEEE10hipError_tPvRmT0_T1_T2_T3_T4_T5_mmT6_P12ihipStream_tbEUlT_E_NS1_11comp_targetILNS1_3genE10ELNS1_11target_archE1200ELNS1_3gpuE4ELNS1_3repE0EEENS1_30default_config_static_selectorELNS0_4arch9wavefront6targetE0EEEvS10_ ; -- Begin function _ZN7rocprim17ROCPRIM_400000_NS6detail17trampoline_kernelINS0_14default_configENS1_21merge_config_selectorINS0_5tupleIJyyEEENS0_10empty_typeEEEZNS1_10merge_implIS3_NS0_12zip_iteratorINS5_IJN6thrust23THRUST_200600_302600_NS6detail15normal_iteratorINSC_10device_ptrIKyEEEESI_EEEEESK_NSA_INS5_IJNSE_INSF_IyEEEESM_EEEEEPS7_SP_SP_NSC_11hip_rocprim7__merge17predicate_wrapperIyyNSC_4lessImEEEEEE10hipError_tPvRmT0_T1_T2_T3_T4_T5_mmT6_P12ihipStream_tbEUlT_E_NS1_11comp_targetILNS1_3genE10ELNS1_11target_archE1200ELNS1_3gpuE4ELNS1_3repE0EEENS1_30default_config_static_selectorELNS0_4arch9wavefront6targetE0EEEvS10_
	.globl	_ZN7rocprim17ROCPRIM_400000_NS6detail17trampoline_kernelINS0_14default_configENS1_21merge_config_selectorINS0_5tupleIJyyEEENS0_10empty_typeEEEZNS1_10merge_implIS3_NS0_12zip_iteratorINS5_IJN6thrust23THRUST_200600_302600_NS6detail15normal_iteratorINSC_10device_ptrIKyEEEESI_EEEEESK_NSA_INS5_IJNSE_INSF_IyEEEESM_EEEEEPS7_SP_SP_NSC_11hip_rocprim7__merge17predicate_wrapperIyyNSC_4lessImEEEEEE10hipError_tPvRmT0_T1_T2_T3_T4_T5_mmT6_P12ihipStream_tbEUlT_E_NS1_11comp_targetILNS1_3genE10ELNS1_11target_archE1200ELNS1_3gpuE4ELNS1_3repE0EEENS1_30default_config_static_selectorELNS0_4arch9wavefront6targetE0EEEvS10_
	.p2align	8
	.type	_ZN7rocprim17ROCPRIM_400000_NS6detail17trampoline_kernelINS0_14default_configENS1_21merge_config_selectorINS0_5tupleIJyyEEENS0_10empty_typeEEEZNS1_10merge_implIS3_NS0_12zip_iteratorINS5_IJN6thrust23THRUST_200600_302600_NS6detail15normal_iteratorINSC_10device_ptrIKyEEEESI_EEEEESK_NSA_INS5_IJNSE_INSF_IyEEEESM_EEEEEPS7_SP_SP_NSC_11hip_rocprim7__merge17predicate_wrapperIyyNSC_4lessImEEEEEE10hipError_tPvRmT0_T1_T2_T3_T4_T5_mmT6_P12ihipStream_tbEUlT_E_NS1_11comp_targetILNS1_3genE10ELNS1_11target_archE1200ELNS1_3gpuE4ELNS1_3repE0EEENS1_30default_config_static_selectorELNS0_4arch9wavefront6targetE0EEEvS10_,@function
_ZN7rocprim17ROCPRIM_400000_NS6detail17trampoline_kernelINS0_14default_configENS1_21merge_config_selectorINS0_5tupleIJyyEEENS0_10empty_typeEEEZNS1_10merge_implIS3_NS0_12zip_iteratorINS5_IJN6thrust23THRUST_200600_302600_NS6detail15normal_iteratorINSC_10device_ptrIKyEEEESI_EEEEESK_NSA_INS5_IJNSE_INSF_IyEEEESM_EEEEEPS7_SP_SP_NSC_11hip_rocprim7__merge17predicate_wrapperIyyNSC_4lessImEEEEEE10hipError_tPvRmT0_T1_T2_T3_T4_T5_mmT6_P12ihipStream_tbEUlT_E_NS1_11comp_targetILNS1_3genE10ELNS1_11target_archE1200ELNS1_3gpuE4ELNS1_3repE0EEENS1_30default_config_static_selectorELNS0_4arch9wavefront6targetE0EEEvS10_: ; @_ZN7rocprim17ROCPRIM_400000_NS6detail17trampoline_kernelINS0_14default_configENS1_21merge_config_selectorINS0_5tupleIJyyEEENS0_10empty_typeEEEZNS1_10merge_implIS3_NS0_12zip_iteratorINS5_IJN6thrust23THRUST_200600_302600_NS6detail15normal_iteratorINSC_10device_ptrIKyEEEESI_EEEEESK_NSA_INS5_IJNSE_INSF_IyEEEESM_EEEEEPS7_SP_SP_NSC_11hip_rocprim7__merge17predicate_wrapperIyyNSC_4lessImEEEEEE10hipError_tPvRmT0_T1_T2_T3_T4_T5_mmT6_P12ihipStream_tbEUlT_E_NS1_11comp_targetILNS1_3genE10ELNS1_11target_archE1200ELNS1_3gpuE4ELNS1_3repE0EEENS1_30default_config_static_selectorELNS0_4arch9wavefront6targetE0EEEvS10_
; %bb.0:
	.section	.rodata,"a",@progbits
	.p2align	6, 0x0
	.amdhsa_kernel _ZN7rocprim17ROCPRIM_400000_NS6detail17trampoline_kernelINS0_14default_configENS1_21merge_config_selectorINS0_5tupleIJyyEEENS0_10empty_typeEEEZNS1_10merge_implIS3_NS0_12zip_iteratorINS5_IJN6thrust23THRUST_200600_302600_NS6detail15normal_iteratorINSC_10device_ptrIKyEEEESI_EEEEESK_NSA_INS5_IJNSE_INSF_IyEEEESM_EEEEEPS7_SP_SP_NSC_11hip_rocprim7__merge17predicate_wrapperIyyNSC_4lessImEEEEEE10hipError_tPvRmT0_T1_T2_T3_T4_T5_mmT6_P12ihipStream_tbEUlT_E_NS1_11comp_targetILNS1_3genE10ELNS1_11target_archE1200ELNS1_3gpuE4ELNS1_3repE0EEENS1_30default_config_static_selectorELNS0_4arch9wavefront6targetE0EEEvS10_
		.amdhsa_group_segment_fixed_size 0
		.amdhsa_private_segment_fixed_size 0
		.amdhsa_kernarg_size 64
		.amdhsa_user_sgpr_count 2
		.amdhsa_user_sgpr_dispatch_ptr 0
		.amdhsa_user_sgpr_queue_ptr 0
		.amdhsa_user_sgpr_kernarg_segment_ptr 1
		.amdhsa_user_sgpr_dispatch_id 0
		.amdhsa_user_sgpr_kernarg_preload_length 0
		.amdhsa_user_sgpr_kernarg_preload_offset 0
		.amdhsa_user_sgpr_private_segment_size 0
		.amdhsa_wavefront_size32 1
		.amdhsa_uses_dynamic_stack 0
		.amdhsa_enable_private_segment 0
		.amdhsa_system_sgpr_workgroup_id_x 1
		.amdhsa_system_sgpr_workgroup_id_y 0
		.amdhsa_system_sgpr_workgroup_id_z 0
		.amdhsa_system_sgpr_workgroup_info 0
		.amdhsa_system_vgpr_workitem_id 0
		.amdhsa_next_free_vgpr 1
		.amdhsa_next_free_sgpr 1
		.amdhsa_named_barrier_count 0
		.amdhsa_reserve_vcc 0
		.amdhsa_float_round_mode_32 0
		.amdhsa_float_round_mode_16_64 0
		.amdhsa_float_denorm_mode_32 3
		.amdhsa_float_denorm_mode_16_64 3
		.amdhsa_fp16_overflow 0
		.amdhsa_memory_ordered 1
		.amdhsa_forward_progress 1
		.amdhsa_inst_pref_size 0
		.amdhsa_round_robin_scheduling 0
		.amdhsa_exception_fp_ieee_invalid_op 0
		.amdhsa_exception_fp_denorm_src 0
		.amdhsa_exception_fp_ieee_div_zero 0
		.amdhsa_exception_fp_ieee_overflow 0
		.amdhsa_exception_fp_ieee_underflow 0
		.amdhsa_exception_fp_ieee_inexact 0
		.amdhsa_exception_int_div_zero 0
	.end_amdhsa_kernel
	.section	.text._ZN7rocprim17ROCPRIM_400000_NS6detail17trampoline_kernelINS0_14default_configENS1_21merge_config_selectorINS0_5tupleIJyyEEENS0_10empty_typeEEEZNS1_10merge_implIS3_NS0_12zip_iteratorINS5_IJN6thrust23THRUST_200600_302600_NS6detail15normal_iteratorINSC_10device_ptrIKyEEEESI_EEEEESK_NSA_INS5_IJNSE_INSF_IyEEEESM_EEEEEPS7_SP_SP_NSC_11hip_rocprim7__merge17predicate_wrapperIyyNSC_4lessImEEEEEE10hipError_tPvRmT0_T1_T2_T3_T4_T5_mmT6_P12ihipStream_tbEUlT_E_NS1_11comp_targetILNS1_3genE10ELNS1_11target_archE1200ELNS1_3gpuE4ELNS1_3repE0EEENS1_30default_config_static_selectorELNS0_4arch9wavefront6targetE0EEEvS10_,"axG",@progbits,_ZN7rocprim17ROCPRIM_400000_NS6detail17trampoline_kernelINS0_14default_configENS1_21merge_config_selectorINS0_5tupleIJyyEEENS0_10empty_typeEEEZNS1_10merge_implIS3_NS0_12zip_iteratorINS5_IJN6thrust23THRUST_200600_302600_NS6detail15normal_iteratorINSC_10device_ptrIKyEEEESI_EEEEESK_NSA_INS5_IJNSE_INSF_IyEEEESM_EEEEEPS7_SP_SP_NSC_11hip_rocprim7__merge17predicate_wrapperIyyNSC_4lessImEEEEEE10hipError_tPvRmT0_T1_T2_T3_T4_T5_mmT6_P12ihipStream_tbEUlT_E_NS1_11comp_targetILNS1_3genE10ELNS1_11target_archE1200ELNS1_3gpuE4ELNS1_3repE0EEENS1_30default_config_static_selectorELNS0_4arch9wavefront6targetE0EEEvS10_,comdat
.Lfunc_end467:
	.size	_ZN7rocprim17ROCPRIM_400000_NS6detail17trampoline_kernelINS0_14default_configENS1_21merge_config_selectorINS0_5tupleIJyyEEENS0_10empty_typeEEEZNS1_10merge_implIS3_NS0_12zip_iteratorINS5_IJN6thrust23THRUST_200600_302600_NS6detail15normal_iteratorINSC_10device_ptrIKyEEEESI_EEEEESK_NSA_INS5_IJNSE_INSF_IyEEEESM_EEEEEPS7_SP_SP_NSC_11hip_rocprim7__merge17predicate_wrapperIyyNSC_4lessImEEEEEE10hipError_tPvRmT0_T1_T2_T3_T4_T5_mmT6_P12ihipStream_tbEUlT_E_NS1_11comp_targetILNS1_3genE10ELNS1_11target_archE1200ELNS1_3gpuE4ELNS1_3repE0EEENS1_30default_config_static_selectorELNS0_4arch9wavefront6targetE0EEEvS10_, .Lfunc_end467-_ZN7rocprim17ROCPRIM_400000_NS6detail17trampoline_kernelINS0_14default_configENS1_21merge_config_selectorINS0_5tupleIJyyEEENS0_10empty_typeEEEZNS1_10merge_implIS3_NS0_12zip_iteratorINS5_IJN6thrust23THRUST_200600_302600_NS6detail15normal_iteratorINSC_10device_ptrIKyEEEESI_EEEEESK_NSA_INS5_IJNSE_INSF_IyEEEESM_EEEEEPS7_SP_SP_NSC_11hip_rocprim7__merge17predicate_wrapperIyyNSC_4lessImEEEEEE10hipError_tPvRmT0_T1_T2_T3_T4_T5_mmT6_P12ihipStream_tbEUlT_E_NS1_11comp_targetILNS1_3genE10ELNS1_11target_archE1200ELNS1_3gpuE4ELNS1_3repE0EEENS1_30default_config_static_selectorELNS0_4arch9wavefront6targetE0EEEvS10_
                                        ; -- End function
	.set _ZN7rocprim17ROCPRIM_400000_NS6detail17trampoline_kernelINS0_14default_configENS1_21merge_config_selectorINS0_5tupleIJyyEEENS0_10empty_typeEEEZNS1_10merge_implIS3_NS0_12zip_iteratorINS5_IJN6thrust23THRUST_200600_302600_NS6detail15normal_iteratorINSC_10device_ptrIKyEEEESI_EEEEESK_NSA_INS5_IJNSE_INSF_IyEEEESM_EEEEEPS7_SP_SP_NSC_11hip_rocprim7__merge17predicate_wrapperIyyNSC_4lessImEEEEEE10hipError_tPvRmT0_T1_T2_T3_T4_T5_mmT6_P12ihipStream_tbEUlT_E_NS1_11comp_targetILNS1_3genE10ELNS1_11target_archE1200ELNS1_3gpuE4ELNS1_3repE0EEENS1_30default_config_static_selectorELNS0_4arch9wavefront6targetE0EEEvS10_.num_vgpr, 0
	.set _ZN7rocprim17ROCPRIM_400000_NS6detail17trampoline_kernelINS0_14default_configENS1_21merge_config_selectorINS0_5tupleIJyyEEENS0_10empty_typeEEEZNS1_10merge_implIS3_NS0_12zip_iteratorINS5_IJN6thrust23THRUST_200600_302600_NS6detail15normal_iteratorINSC_10device_ptrIKyEEEESI_EEEEESK_NSA_INS5_IJNSE_INSF_IyEEEESM_EEEEEPS7_SP_SP_NSC_11hip_rocprim7__merge17predicate_wrapperIyyNSC_4lessImEEEEEE10hipError_tPvRmT0_T1_T2_T3_T4_T5_mmT6_P12ihipStream_tbEUlT_E_NS1_11comp_targetILNS1_3genE10ELNS1_11target_archE1200ELNS1_3gpuE4ELNS1_3repE0EEENS1_30default_config_static_selectorELNS0_4arch9wavefront6targetE0EEEvS10_.num_agpr, 0
	.set _ZN7rocprim17ROCPRIM_400000_NS6detail17trampoline_kernelINS0_14default_configENS1_21merge_config_selectorINS0_5tupleIJyyEEENS0_10empty_typeEEEZNS1_10merge_implIS3_NS0_12zip_iteratorINS5_IJN6thrust23THRUST_200600_302600_NS6detail15normal_iteratorINSC_10device_ptrIKyEEEESI_EEEEESK_NSA_INS5_IJNSE_INSF_IyEEEESM_EEEEEPS7_SP_SP_NSC_11hip_rocprim7__merge17predicate_wrapperIyyNSC_4lessImEEEEEE10hipError_tPvRmT0_T1_T2_T3_T4_T5_mmT6_P12ihipStream_tbEUlT_E_NS1_11comp_targetILNS1_3genE10ELNS1_11target_archE1200ELNS1_3gpuE4ELNS1_3repE0EEENS1_30default_config_static_selectorELNS0_4arch9wavefront6targetE0EEEvS10_.numbered_sgpr, 0
	.set _ZN7rocprim17ROCPRIM_400000_NS6detail17trampoline_kernelINS0_14default_configENS1_21merge_config_selectorINS0_5tupleIJyyEEENS0_10empty_typeEEEZNS1_10merge_implIS3_NS0_12zip_iteratorINS5_IJN6thrust23THRUST_200600_302600_NS6detail15normal_iteratorINSC_10device_ptrIKyEEEESI_EEEEESK_NSA_INS5_IJNSE_INSF_IyEEEESM_EEEEEPS7_SP_SP_NSC_11hip_rocprim7__merge17predicate_wrapperIyyNSC_4lessImEEEEEE10hipError_tPvRmT0_T1_T2_T3_T4_T5_mmT6_P12ihipStream_tbEUlT_E_NS1_11comp_targetILNS1_3genE10ELNS1_11target_archE1200ELNS1_3gpuE4ELNS1_3repE0EEENS1_30default_config_static_selectorELNS0_4arch9wavefront6targetE0EEEvS10_.num_named_barrier, 0
	.set _ZN7rocprim17ROCPRIM_400000_NS6detail17trampoline_kernelINS0_14default_configENS1_21merge_config_selectorINS0_5tupleIJyyEEENS0_10empty_typeEEEZNS1_10merge_implIS3_NS0_12zip_iteratorINS5_IJN6thrust23THRUST_200600_302600_NS6detail15normal_iteratorINSC_10device_ptrIKyEEEESI_EEEEESK_NSA_INS5_IJNSE_INSF_IyEEEESM_EEEEEPS7_SP_SP_NSC_11hip_rocprim7__merge17predicate_wrapperIyyNSC_4lessImEEEEEE10hipError_tPvRmT0_T1_T2_T3_T4_T5_mmT6_P12ihipStream_tbEUlT_E_NS1_11comp_targetILNS1_3genE10ELNS1_11target_archE1200ELNS1_3gpuE4ELNS1_3repE0EEENS1_30default_config_static_selectorELNS0_4arch9wavefront6targetE0EEEvS10_.private_seg_size, 0
	.set _ZN7rocprim17ROCPRIM_400000_NS6detail17trampoline_kernelINS0_14default_configENS1_21merge_config_selectorINS0_5tupleIJyyEEENS0_10empty_typeEEEZNS1_10merge_implIS3_NS0_12zip_iteratorINS5_IJN6thrust23THRUST_200600_302600_NS6detail15normal_iteratorINSC_10device_ptrIKyEEEESI_EEEEESK_NSA_INS5_IJNSE_INSF_IyEEEESM_EEEEEPS7_SP_SP_NSC_11hip_rocprim7__merge17predicate_wrapperIyyNSC_4lessImEEEEEE10hipError_tPvRmT0_T1_T2_T3_T4_T5_mmT6_P12ihipStream_tbEUlT_E_NS1_11comp_targetILNS1_3genE10ELNS1_11target_archE1200ELNS1_3gpuE4ELNS1_3repE0EEENS1_30default_config_static_selectorELNS0_4arch9wavefront6targetE0EEEvS10_.uses_vcc, 0
	.set _ZN7rocprim17ROCPRIM_400000_NS6detail17trampoline_kernelINS0_14default_configENS1_21merge_config_selectorINS0_5tupleIJyyEEENS0_10empty_typeEEEZNS1_10merge_implIS3_NS0_12zip_iteratorINS5_IJN6thrust23THRUST_200600_302600_NS6detail15normal_iteratorINSC_10device_ptrIKyEEEESI_EEEEESK_NSA_INS5_IJNSE_INSF_IyEEEESM_EEEEEPS7_SP_SP_NSC_11hip_rocprim7__merge17predicate_wrapperIyyNSC_4lessImEEEEEE10hipError_tPvRmT0_T1_T2_T3_T4_T5_mmT6_P12ihipStream_tbEUlT_E_NS1_11comp_targetILNS1_3genE10ELNS1_11target_archE1200ELNS1_3gpuE4ELNS1_3repE0EEENS1_30default_config_static_selectorELNS0_4arch9wavefront6targetE0EEEvS10_.uses_flat_scratch, 0
	.set _ZN7rocprim17ROCPRIM_400000_NS6detail17trampoline_kernelINS0_14default_configENS1_21merge_config_selectorINS0_5tupleIJyyEEENS0_10empty_typeEEEZNS1_10merge_implIS3_NS0_12zip_iteratorINS5_IJN6thrust23THRUST_200600_302600_NS6detail15normal_iteratorINSC_10device_ptrIKyEEEESI_EEEEESK_NSA_INS5_IJNSE_INSF_IyEEEESM_EEEEEPS7_SP_SP_NSC_11hip_rocprim7__merge17predicate_wrapperIyyNSC_4lessImEEEEEE10hipError_tPvRmT0_T1_T2_T3_T4_T5_mmT6_P12ihipStream_tbEUlT_E_NS1_11comp_targetILNS1_3genE10ELNS1_11target_archE1200ELNS1_3gpuE4ELNS1_3repE0EEENS1_30default_config_static_selectorELNS0_4arch9wavefront6targetE0EEEvS10_.has_dyn_sized_stack, 0
	.set _ZN7rocprim17ROCPRIM_400000_NS6detail17trampoline_kernelINS0_14default_configENS1_21merge_config_selectorINS0_5tupleIJyyEEENS0_10empty_typeEEEZNS1_10merge_implIS3_NS0_12zip_iteratorINS5_IJN6thrust23THRUST_200600_302600_NS6detail15normal_iteratorINSC_10device_ptrIKyEEEESI_EEEEESK_NSA_INS5_IJNSE_INSF_IyEEEESM_EEEEEPS7_SP_SP_NSC_11hip_rocprim7__merge17predicate_wrapperIyyNSC_4lessImEEEEEE10hipError_tPvRmT0_T1_T2_T3_T4_T5_mmT6_P12ihipStream_tbEUlT_E_NS1_11comp_targetILNS1_3genE10ELNS1_11target_archE1200ELNS1_3gpuE4ELNS1_3repE0EEENS1_30default_config_static_selectorELNS0_4arch9wavefront6targetE0EEEvS10_.has_recursion, 0
	.set _ZN7rocprim17ROCPRIM_400000_NS6detail17trampoline_kernelINS0_14default_configENS1_21merge_config_selectorINS0_5tupleIJyyEEENS0_10empty_typeEEEZNS1_10merge_implIS3_NS0_12zip_iteratorINS5_IJN6thrust23THRUST_200600_302600_NS6detail15normal_iteratorINSC_10device_ptrIKyEEEESI_EEEEESK_NSA_INS5_IJNSE_INSF_IyEEEESM_EEEEEPS7_SP_SP_NSC_11hip_rocprim7__merge17predicate_wrapperIyyNSC_4lessImEEEEEE10hipError_tPvRmT0_T1_T2_T3_T4_T5_mmT6_P12ihipStream_tbEUlT_E_NS1_11comp_targetILNS1_3genE10ELNS1_11target_archE1200ELNS1_3gpuE4ELNS1_3repE0EEENS1_30default_config_static_selectorELNS0_4arch9wavefront6targetE0EEEvS10_.has_indirect_call, 0
	.section	.AMDGPU.csdata,"",@progbits
; Kernel info:
; codeLenInByte = 0
; TotalNumSgprs: 0
; NumVgprs: 0
; ScratchSize: 0
; MemoryBound: 0
; FloatMode: 240
; IeeeMode: 1
; LDSByteSize: 0 bytes/workgroup (compile time only)
; SGPRBlocks: 0
; VGPRBlocks: 0
; NumSGPRsForWavesPerEU: 1
; NumVGPRsForWavesPerEU: 1
; NamedBarCnt: 0
; Occupancy: 16
; WaveLimiterHint : 0
; COMPUTE_PGM_RSRC2:SCRATCH_EN: 0
; COMPUTE_PGM_RSRC2:USER_SGPR: 2
; COMPUTE_PGM_RSRC2:TRAP_HANDLER: 0
; COMPUTE_PGM_RSRC2:TGID_X_EN: 1
; COMPUTE_PGM_RSRC2:TGID_Y_EN: 0
; COMPUTE_PGM_RSRC2:TGID_Z_EN: 0
; COMPUTE_PGM_RSRC2:TIDIG_COMP_CNT: 0
	.section	.text._ZN7rocprim17ROCPRIM_400000_NS6detail17trampoline_kernelINS0_14default_configENS1_21merge_config_selectorINS0_5tupleIJyyEEENS0_10empty_typeEEEZNS1_10merge_implIS3_NS0_12zip_iteratorINS5_IJN6thrust23THRUST_200600_302600_NS6detail15normal_iteratorINSC_10device_ptrIKyEEEESI_EEEEESK_NSA_INS5_IJNSE_INSF_IyEEEESM_EEEEEPS7_SP_SP_NSC_11hip_rocprim7__merge17predicate_wrapperIyyNSC_4lessImEEEEEE10hipError_tPvRmT0_T1_T2_T3_T4_T5_mmT6_P12ihipStream_tbEUlT_E_NS1_11comp_targetILNS1_3genE9ELNS1_11target_archE1100ELNS1_3gpuE3ELNS1_3repE0EEENS1_30default_config_static_selectorELNS0_4arch9wavefront6targetE0EEEvS10_,"axG",@progbits,_ZN7rocprim17ROCPRIM_400000_NS6detail17trampoline_kernelINS0_14default_configENS1_21merge_config_selectorINS0_5tupleIJyyEEENS0_10empty_typeEEEZNS1_10merge_implIS3_NS0_12zip_iteratorINS5_IJN6thrust23THRUST_200600_302600_NS6detail15normal_iteratorINSC_10device_ptrIKyEEEESI_EEEEESK_NSA_INS5_IJNSE_INSF_IyEEEESM_EEEEEPS7_SP_SP_NSC_11hip_rocprim7__merge17predicate_wrapperIyyNSC_4lessImEEEEEE10hipError_tPvRmT0_T1_T2_T3_T4_T5_mmT6_P12ihipStream_tbEUlT_E_NS1_11comp_targetILNS1_3genE9ELNS1_11target_archE1100ELNS1_3gpuE3ELNS1_3repE0EEENS1_30default_config_static_selectorELNS0_4arch9wavefront6targetE0EEEvS10_,comdat
	.protected	_ZN7rocprim17ROCPRIM_400000_NS6detail17trampoline_kernelINS0_14default_configENS1_21merge_config_selectorINS0_5tupleIJyyEEENS0_10empty_typeEEEZNS1_10merge_implIS3_NS0_12zip_iteratorINS5_IJN6thrust23THRUST_200600_302600_NS6detail15normal_iteratorINSC_10device_ptrIKyEEEESI_EEEEESK_NSA_INS5_IJNSE_INSF_IyEEEESM_EEEEEPS7_SP_SP_NSC_11hip_rocprim7__merge17predicate_wrapperIyyNSC_4lessImEEEEEE10hipError_tPvRmT0_T1_T2_T3_T4_T5_mmT6_P12ihipStream_tbEUlT_E_NS1_11comp_targetILNS1_3genE9ELNS1_11target_archE1100ELNS1_3gpuE3ELNS1_3repE0EEENS1_30default_config_static_selectorELNS0_4arch9wavefront6targetE0EEEvS10_ ; -- Begin function _ZN7rocprim17ROCPRIM_400000_NS6detail17trampoline_kernelINS0_14default_configENS1_21merge_config_selectorINS0_5tupleIJyyEEENS0_10empty_typeEEEZNS1_10merge_implIS3_NS0_12zip_iteratorINS5_IJN6thrust23THRUST_200600_302600_NS6detail15normal_iteratorINSC_10device_ptrIKyEEEESI_EEEEESK_NSA_INS5_IJNSE_INSF_IyEEEESM_EEEEEPS7_SP_SP_NSC_11hip_rocprim7__merge17predicate_wrapperIyyNSC_4lessImEEEEEE10hipError_tPvRmT0_T1_T2_T3_T4_T5_mmT6_P12ihipStream_tbEUlT_E_NS1_11comp_targetILNS1_3genE9ELNS1_11target_archE1100ELNS1_3gpuE3ELNS1_3repE0EEENS1_30default_config_static_selectorELNS0_4arch9wavefront6targetE0EEEvS10_
	.globl	_ZN7rocprim17ROCPRIM_400000_NS6detail17trampoline_kernelINS0_14default_configENS1_21merge_config_selectorINS0_5tupleIJyyEEENS0_10empty_typeEEEZNS1_10merge_implIS3_NS0_12zip_iteratorINS5_IJN6thrust23THRUST_200600_302600_NS6detail15normal_iteratorINSC_10device_ptrIKyEEEESI_EEEEESK_NSA_INS5_IJNSE_INSF_IyEEEESM_EEEEEPS7_SP_SP_NSC_11hip_rocprim7__merge17predicate_wrapperIyyNSC_4lessImEEEEEE10hipError_tPvRmT0_T1_T2_T3_T4_T5_mmT6_P12ihipStream_tbEUlT_E_NS1_11comp_targetILNS1_3genE9ELNS1_11target_archE1100ELNS1_3gpuE3ELNS1_3repE0EEENS1_30default_config_static_selectorELNS0_4arch9wavefront6targetE0EEEvS10_
	.p2align	8
	.type	_ZN7rocprim17ROCPRIM_400000_NS6detail17trampoline_kernelINS0_14default_configENS1_21merge_config_selectorINS0_5tupleIJyyEEENS0_10empty_typeEEEZNS1_10merge_implIS3_NS0_12zip_iteratorINS5_IJN6thrust23THRUST_200600_302600_NS6detail15normal_iteratorINSC_10device_ptrIKyEEEESI_EEEEESK_NSA_INS5_IJNSE_INSF_IyEEEESM_EEEEEPS7_SP_SP_NSC_11hip_rocprim7__merge17predicate_wrapperIyyNSC_4lessImEEEEEE10hipError_tPvRmT0_T1_T2_T3_T4_T5_mmT6_P12ihipStream_tbEUlT_E_NS1_11comp_targetILNS1_3genE9ELNS1_11target_archE1100ELNS1_3gpuE3ELNS1_3repE0EEENS1_30default_config_static_selectorELNS0_4arch9wavefront6targetE0EEEvS10_,@function
_ZN7rocprim17ROCPRIM_400000_NS6detail17trampoline_kernelINS0_14default_configENS1_21merge_config_selectorINS0_5tupleIJyyEEENS0_10empty_typeEEEZNS1_10merge_implIS3_NS0_12zip_iteratorINS5_IJN6thrust23THRUST_200600_302600_NS6detail15normal_iteratorINSC_10device_ptrIKyEEEESI_EEEEESK_NSA_INS5_IJNSE_INSF_IyEEEESM_EEEEEPS7_SP_SP_NSC_11hip_rocprim7__merge17predicate_wrapperIyyNSC_4lessImEEEEEE10hipError_tPvRmT0_T1_T2_T3_T4_T5_mmT6_P12ihipStream_tbEUlT_E_NS1_11comp_targetILNS1_3genE9ELNS1_11target_archE1100ELNS1_3gpuE3ELNS1_3repE0EEENS1_30default_config_static_selectorELNS0_4arch9wavefront6targetE0EEEvS10_: ; @_ZN7rocprim17ROCPRIM_400000_NS6detail17trampoline_kernelINS0_14default_configENS1_21merge_config_selectorINS0_5tupleIJyyEEENS0_10empty_typeEEEZNS1_10merge_implIS3_NS0_12zip_iteratorINS5_IJN6thrust23THRUST_200600_302600_NS6detail15normal_iteratorINSC_10device_ptrIKyEEEESI_EEEEESK_NSA_INS5_IJNSE_INSF_IyEEEESM_EEEEEPS7_SP_SP_NSC_11hip_rocprim7__merge17predicate_wrapperIyyNSC_4lessImEEEEEE10hipError_tPvRmT0_T1_T2_T3_T4_T5_mmT6_P12ihipStream_tbEUlT_E_NS1_11comp_targetILNS1_3genE9ELNS1_11target_archE1100ELNS1_3gpuE3ELNS1_3repE0EEENS1_30default_config_static_selectorELNS0_4arch9wavefront6targetE0EEEvS10_
; %bb.0:
	.section	.rodata,"a",@progbits
	.p2align	6, 0x0
	.amdhsa_kernel _ZN7rocprim17ROCPRIM_400000_NS6detail17trampoline_kernelINS0_14default_configENS1_21merge_config_selectorINS0_5tupleIJyyEEENS0_10empty_typeEEEZNS1_10merge_implIS3_NS0_12zip_iteratorINS5_IJN6thrust23THRUST_200600_302600_NS6detail15normal_iteratorINSC_10device_ptrIKyEEEESI_EEEEESK_NSA_INS5_IJNSE_INSF_IyEEEESM_EEEEEPS7_SP_SP_NSC_11hip_rocprim7__merge17predicate_wrapperIyyNSC_4lessImEEEEEE10hipError_tPvRmT0_T1_T2_T3_T4_T5_mmT6_P12ihipStream_tbEUlT_E_NS1_11comp_targetILNS1_3genE9ELNS1_11target_archE1100ELNS1_3gpuE3ELNS1_3repE0EEENS1_30default_config_static_selectorELNS0_4arch9wavefront6targetE0EEEvS10_
		.amdhsa_group_segment_fixed_size 0
		.amdhsa_private_segment_fixed_size 0
		.amdhsa_kernarg_size 64
		.amdhsa_user_sgpr_count 2
		.amdhsa_user_sgpr_dispatch_ptr 0
		.amdhsa_user_sgpr_queue_ptr 0
		.amdhsa_user_sgpr_kernarg_segment_ptr 1
		.amdhsa_user_sgpr_dispatch_id 0
		.amdhsa_user_sgpr_kernarg_preload_length 0
		.amdhsa_user_sgpr_kernarg_preload_offset 0
		.amdhsa_user_sgpr_private_segment_size 0
		.amdhsa_wavefront_size32 1
		.amdhsa_uses_dynamic_stack 0
		.amdhsa_enable_private_segment 0
		.amdhsa_system_sgpr_workgroup_id_x 1
		.amdhsa_system_sgpr_workgroup_id_y 0
		.amdhsa_system_sgpr_workgroup_id_z 0
		.amdhsa_system_sgpr_workgroup_info 0
		.amdhsa_system_vgpr_workitem_id 0
		.amdhsa_next_free_vgpr 1
		.amdhsa_next_free_sgpr 1
		.amdhsa_named_barrier_count 0
		.amdhsa_reserve_vcc 0
		.amdhsa_float_round_mode_32 0
		.amdhsa_float_round_mode_16_64 0
		.amdhsa_float_denorm_mode_32 3
		.amdhsa_float_denorm_mode_16_64 3
		.amdhsa_fp16_overflow 0
		.amdhsa_memory_ordered 1
		.amdhsa_forward_progress 1
		.amdhsa_inst_pref_size 0
		.amdhsa_round_robin_scheduling 0
		.amdhsa_exception_fp_ieee_invalid_op 0
		.amdhsa_exception_fp_denorm_src 0
		.amdhsa_exception_fp_ieee_div_zero 0
		.amdhsa_exception_fp_ieee_overflow 0
		.amdhsa_exception_fp_ieee_underflow 0
		.amdhsa_exception_fp_ieee_inexact 0
		.amdhsa_exception_int_div_zero 0
	.end_amdhsa_kernel
	.section	.text._ZN7rocprim17ROCPRIM_400000_NS6detail17trampoline_kernelINS0_14default_configENS1_21merge_config_selectorINS0_5tupleIJyyEEENS0_10empty_typeEEEZNS1_10merge_implIS3_NS0_12zip_iteratorINS5_IJN6thrust23THRUST_200600_302600_NS6detail15normal_iteratorINSC_10device_ptrIKyEEEESI_EEEEESK_NSA_INS5_IJNSE_INSF_IyEEEESM_EEEEEPS7_SP_SP_NSC_11hip_rocprim7__merge17predicate_wrapperIyyNSC_4lessImEEEEEE10hipError_tPvRmT0_T1_T2_T3_T4_T5_mmT6_P12ihipStream_tbEUlT_E_NS1_11comp_targetILNS1_3genE9ELNS1_11target_archE1100ELNS1_3gpuE3ELNS1_3repE0EEENS1_30default_config_static_selectorELNS0_4arch9wavefront6targetE0EEEvS10_,"axG",@progbits,_ZN7rocprim17ROCPRIM_400000_NS6detail17trampoline_kernelINS0_14default_configENS1_21merge_config_selectorINS0_5tupleIJyyEEENS0_10empty_typeEEEZNS1_10merge_implIS3_NS0_12zip_iteratorINS5_IJN6thrust23THRUST_200600_302600_NS6detail15normal_iteratorINSC_10device_ptrIKyEEEESI_EEEEESK_NSA_INS5_IJNSE_INSF_IyEEEESM_EEEEEPS7_SP_SP_NSC_11hip_rocprim7__merge17predicate_wrapperIyyNSC_4lessImEEEEEE10hipError_tPvRmT0_T1_T2_T3_T4_T5_mmT6_P12ihipStream_tbEUlT_E_NS1_11comp_targetILNS1_3genE9ELNS1_11target_archE1100ELNS1_3gpuE3ELNS1_3repE0EEENS1_30default_config_static_selectorELNS0_4arch9wavefront6targetE0EEEvS10_,comdat
.Lfunc_end468:
	.size	_ZN7rocprim17ROCPRIM_400000_NS6detail17trampoline_kernelINS0_14default_configENS1_21merge_config_selectorINS0_5tupleIJyyEEENS0_10empty_typeEEEZNS1_10merge_implIS3_NS0_12zip_iteratorINS5_IJN6thrust23THRUST_200600_302600_NS6detail15normal_iteratorINSC_10device_ptrIKyEEEESI_EEEEESK_NSA_INS5_IJNSE_INSF_IyEEEESM_EEEEEPS7_SP_SP_NSC_11hip_rocprim7__merge17predicate_wrapperIyyNSC_4lessImEEEEEE10hipError_tPvRmT0_T1_T2_T3_T4_T5_mmT6_P12ihipStream_tbEUlT_E_NS1_11comp_targetILNS1_3genE9ELNS1_11target_archE1100ELNS1_3gpuE3ELNS1_3repE0EEENS1_30default_config_static_selectorELNS0_4arch9wavefront6targetE0EEEvS10_, .Lfunc_end468-_ZN7rocprim17ROCPRIM_400000_NS6detail17trampoline_kernelINS0_14default_configENS1_21merge_config_selectorINS0_5tupleIJyyEEENS0_10empty_typeEEEZNS1_10merge_implIS3_NS0_12zip_iteratorINS5_IJN6thrust23THRUST_200600_302600_NS6detail15normal_iteratorINSC_10device_ptrIKyEEEESI_EEEEESK_NSA_INS5_IJNSE_INSF_IyEEEESM_EEEEEPS7_SP_SP_NSC_11hip_rocprim7__merge17predicate_wrapperIyyNSC_4lessImEEEEEE10hipError_tPvRmT0_T1_T2_T3_T4_T5_mmT6_P12ihipStream_tbEUlT_E_NS1_11comp_targetILNS1_3genE9ELNS1_11target_archE1100ELNS1_3gpuE3ELNS1_3repE0EEENS1_30default_config_static_selectorELNS0_4arch9wavefront6targetE0EEEvS10_
                                        ; -- End function
	.set _ZN7rocprim17ROCPRIM_400000_NS6detail17trampoline_kernelINS0_14default_configENS1_21merge_config_selectorINS0_5tupleIJyyEEENS0_10empty_typeEEEZNS1_10merge_implIS3_NS0_12zip_iteratorINS5_IJN6thrust23THRUST_200600_302600_NS6detail15normal_iteratorINSC_10device_ptrIKyEEEESI_EEEEESK_NSA_INS5_IJNSE_INSF_IyEEEESM_EEEEEPS7_SP_SP_NSC_11hip_rocprim7__merge17predicate_wrapperIyyNSC_4lessImEEEEEE10hipError_tPvRmT0_T1_T2_T3_T4_T5_mmT6_P12ihipStream_tbEUlT_E_NS1_11comp_targetILNS1_3genE9ELNS1_11target_archE1100ELNS1_3gpuE3ELNS1_3repE0EEENS1_30default_config_static_selectorELNS0_4arch9wavefront6targetE0EEEvS10_.num_vgpr, 0
	.set _ZN7rocprim17ROCPRIM_400000_NS6detail17trampoline_kernelINS0_14default_configENS1_21merge_config_selectorINS0_5tupleIJyyEEENS0_10empty_typeEEEZNS1_10merge_implIS3_NS0_12zip_iteratorINS5_IJN6thrust23THRUST_200600_302600_NS6detail15normal_iteratorINSC_10device_ptrIKyEEEESI_EEEEESK_NSA_INS5_IJNSE_INSF_IyEEEESM_EEEEEPS7_SP_SP_NSC_11hip_rocprim7__merge17predicate_wrapperIyyNSC_4lessImEEEEEE10hipError_tPvRmT0_T1_T2_T3_T4_T5_mmT6_P12ihipStream_tbEUlT_E_NS1_11comp_targetILNS1_3genE9ELNS1_11target_archE1100ELNS1_3gpuE3ELNS1_3repE0EEENS1_30default_config_static_selectorELNS0_4arch9wavefront6targetE0EEEvS10_.num_agpr, 0
	.set _ZN7rocprim17ROCPRIM_400000_NS6detail17trampoline_kernelINS0_14default_configENS1_21merge_config_selectorINS0_5tupleIJyyEEENS0_10empty_typeEEEZNS1_10merge_implIS3_NS0_12zip_iteratorINS5_IJN6thrust23THRUST_200600_302600_NS6detail15normal_iteratorINSC_10device_ptrIKyEEEESI_EEEEESK_NSA_INS5_IJNSE_INSF_IyEEEESM_EEEEEPS7_SP_SP_NSC_11hip_rocprim7__merge17predicate_wrapperIyyNSC_4lessImEEEEEE10hipError_tPvRmT0_T1_T2_T3_T4_T5_mmT6_P12ihipStream_tbEUlT_E_NS1_11comp_targetILNS1_3genE9ELNS1_11target_archE1100ELNS1_3gpuE3ELNS1_3repE0EEENS1_30default_config_static_selectorELNS0_4arch9wavefront6targetE0EEEvS10_.numbered_sgpr, 0
	.set _ZN7rocprim17ROCPRIM_400000_NS6detail17trampoline_kernelINS0_14default_configENS1_21merge_config_selectorINS0_5tupleIJyyEEENS0_10empty_typeEEEZNS1_10merge_implIS3_NS0_12zip_iteratorINS5_IJN6thrust23THRUST_200600_302600_NS6detail15normal_iteratorINSC_10device_ptrIKyEEEESI_EEEEESK_NSA_INS5_IJNSE_INSF_IyEEEESM_EEEEEPS7_SP_SP_NSC_11hip_rocprim7__merge17predicate_wrapperIyyNSC_4lessImEEEEEE10hipError_tPvRmT0_T1_T2_T3_T4_T5_mmT6_P12ihipStream_tbEUlT_E_NS1_11comp_targetILNS1_3genE9ELNS1_11target_archE1100ELNS1_3gpuE3ELNS1_3repE0EEENS1_30default_config_static_selectorELNS0_4arch9wavefront6targetE0EEEvS10_.num_named_barrier, 0
	.set _ZN7rocprim17ROCPRIM_400000_NS6detail17trampoline_kernelINS0_14default_configENS1_21merge_config_selectorINS0_5tupleIJyyEEENS0_10empty_typeEEEZNS1_10merge_implIS3_NS0_12zip_iteratorINS5_IJN6thrust23THRUST_200600_302600_NS6detail15normal_iteratorINSC_10device_ptrIKyEEEESI_EEEEESK_NSA_INS5_IJNSE_INSF_IyEEEESM_EEEEEPS7_SP_SP_NSC_11hip_rocprim7__merge17predicate_wrapperIyyNSC_4lessImEEEEEE10hipError_tPvRmT0_T1_T2_T3_T4_T5_mmT6_P12ihipStream_tbEUlT_E_NS1_11comp_targetILNS1_3genE9ELNS1_11target_archE1100ELNS1_3gpuE3ELNS1_3repE0EEENS1_30default_config_static_selectorELNS0_4arch9wavefront6targetE0EEEvS10_.private_seg_size, 0
	.set _ZN7rocprim17ROCPRIM_400000_NS6detail17trampoline_kernelINS0_14default_configENS1_21merge_config_selectorINS0_5tupleIJyyEEENS0_10empty_typeEEEZNS1_10merge_implIS3_NS0_12zip_iteratorINS5_IJN6thrust23THRUST_200600_302600_NS6detail15normal_iteratorINSC_10device_ptrIKyEEEESI_EEEEESK_NSA_INS5_IJNSE_INSF_IyEEEESM_EEEEEPS7_SP_SP_NSC_11hip_rocprim7__merge17predicate_wrapperIyyNSC_4lessImEEEEEE10hipError_tPvRmT0_T1_T2_T3_T4_T5_mmT6_P12ihipStream_tbEUlT_E_NS1_11comp_targetILNS1_3genE9ELNS1_11target_archE1100ELNS1_3gpuE3ELNS1_3repE0EEENS1_30default_config_static_selectorELNS0_4arch9wavefront6targetE0EEEvS10_.uses_vcc, 0
	.set _ZN7rocprim17ROCPRIM_400000_NS6detail17trampoline_kernelINS0_14default_configENS1_21merge_config_selectorINS0_5tupleIJyyEEENS0_10empty_typeEEEZNS1_10merge_implIS3_NS0_12zip_iteratorINS5_IJN6thrust23THRUST_200600_302600_NS6detail15normal_iteratorINSC_10device_ptrIKyEEEESI_EEEEESK_NSA_INS5_IJNSE_INSF_IyEEEESM_EEEEEPS7_SP_SP_NSC_11hip_rocprim7__merge17predicate_wrapperIyyNSC_4lessImEEEEEE10hipError_tPvRmT0_T1_T2_T3_T4_T5_mmT6_P12ihipStream_tbEUlT_E_NS1_11comp_targetILNS1_3genE9ELNS1_11target_archE1100ELNS1_3gpuE3ELNS1_3repE0EEENS1_30default_config_static_selectorELNS0_4arch9wavefront6targetE0EEEvS10_.uses_flat_scratch, 0
	.set _ZN7rocprim17ROCPRIM_400000_NS6detail17trampoline_kernelINS0_14default_configENS1_21merge_config_selectorINS0_5tupleIJyyEEENS0_10empty_typeEEEZNS1_10merge_implIS3_NS0_12zip_iteratorINS5_IJN6thrust23THRUST_200600_302600_NS6detail15normal_iteratorINSC_10device_ptrIKyEEEESI_EEEEESK_NSA_INS5_IJNSE_INSF_IyEEEESM_EEEEEPS7_SP_SP_NSC_11hip_rocprim7__merge17predicate_wrapperIyyNSC_4lessImEEEEEE10hipError_tPvRmT0_T1_T2_T3_T4_T5_mmT6_P12ihipStream_tbEUlT_E_NS1_11comp_targetILNS1_3genE9ELNS1_11target_archE1100ELNS1_3gpuE3ELNS1_3repE0EEENS1_30default_config_static_selectorELNS0_4arch9wavefront6targetE0EEEvS10_.has_dyn_sized_stack, 0
	.set _ZN7rocprim17ROCPRIM_400000_NS6detail17trampoline_kernelINS0_14default_configENS1_21merge_config_selectorINS0_5tupleIJyyEEENS0_10empty_typeEEEZNS1_10merge_implIS3_NS0_12zip_iteratorINS5_IJN6thrust23THRUST_200600_302600_NS6detail15normal_iteratorINSC_10device_ptrIKyEEEESI_EEEEESK_NSA_INS5_IJNSE_INSF_IyEEEESM_EEEEEPS7_SP_SP_NSC_11hip_rocprim7__merge17predicate_wrapperIyyNSC_4lessImEEEEEE10hipError_tPvRmT0_T1_T2_T3_T4_T5_mmT6_P12ihipStream_tbEUlT_E_NS1_11comp_targetILNS1_3genE9ELNS1_11target_archE1100ELNS1_3gpuE3ELNS1_3repE0EEENS1_30default_config_static_selectorELNS0_4arch9wavefront6targetE0EEEvS10_.has_recursion, 0
	.set _ZN7rocprim17ROCPRIM_400000_NS6detail17trampoline_kernelINS0_14default_configENS1_21merge_config_selectorINS0_5tupleIJyyEEENS0_10empty_typeEEEZNS1_10merge_implIS3_NS0_12zip_iteratorINS5_IJN6thrust23THRUST_200600_302600_NS6detail15normal_iteratorINSC_10device_ptrIKyEEEESI_EEEEESK_NSA_INS5_IJNSE_INSF_IyEEEESM_EEEEEPS7_SP_SP_NSC_11hip_rocprim7__merge17predicate_wrapperIyyNSC_4lessImEEEEEE10hipError_tPvRmT0_T1_T2_T3_T4_T5_mmT6_P12ihipStream_tbEUlT_E_NS1_11comp_targetILNS1_3genE9ELNS1_11target_archE1100ELNS1_3gpuE3ELNS1_3repE0EEENS1_30default_config_static_selectorELNS0_4arch9wavefront6targetE0EEEvS10_.has_indirect_call, 0
	.section	.AMDGPU.csdata,"",@progbits
; Kernel info:
; codeLenInByte = 0
; TotalNumSgprs: 0
; NumVgprs: 0
; ScratchSize: 0
; MemoryBound: 0
; FloatMode: 240
; IeeeMode: 1
; LDSByteSize: 0 bytes/workgroup (compile time only)
; SGPRBlocks: 0
; VGPRBlocks: 0
; NumSGPRsForWavesPerEU: 1
; NumVGPRsForWavesPerEU: 1
; NamedBarCnt: 0
; Occupancy: 16
; WaveLimiterHint : 0
; COMPUTE_PGM_RSRC2:SCRATCH_EN: 0
; COMPUTE_PGM_RSRC2:USER_SGPR: 2
; COMPUTE_PGM_RSRC2:TRAP_HANDLER: 0
; COMPUTE_PGM_RSRC2:TGID_X_EN: 1
; COMPUTE_PGM_RSRC2:TGID_Y_EN: 0
; COMPUTE_PGM_RSRC2:TGID_Z_EN: 0
; COMPUTE_PGM_RSRC2:TIDIG_COMP_CNT: 0
	.section	.text._ZN7rocprim17ROCPRIM_400000_NS6detail17trampoline_kernelINS0_14default_configENS1_21merge_config_selectorINS0_5tupleIJyyEEENS0_10empty_typeEEEZNS1_10merge_implIS3_NS0_12zip_iteratorINS5_IJN6thrust23THRUST_200600_302600_NS6detail15normal_iteratorINSC_10device_ptrIKyEEEESI_EEEEESK_NSA_INS5_IJNSE_INSF_IyEEEESM_EEEEEPS7_SP_SP_NSC_11hip_rocprim7__merge17predicate_wrapperIyyNSC_4lessImEEEEEE10hipError_tPvRmT0_T1_T2_T3_T4_T5_mmT6_P12ihipStream_tbEUlT_E_NS1_11comp_targetILNS1_3genE8ELNS1_11target_archE1030ELNS1_3gpuE2ELNS1_3repE0EEENS1_30default_config_static_selectorELNS0_4arch9wavefront6targetE0EEEvS10_,"axG",@progbits,_ZN7rocprim17ROCPRIM_400000_NS6detail17trampoline_kernelINS0_14default_configENS1_21merge_config_selectorINS0_5tupleIJyyEEENS0_10empty_typeEEEZNS1_10merge_implIS3_NS0_12zip_iteratorINS5_IJN6thrust23THRUST_200600_302600_NS6detail15normal_iteratorINSC_10device_ptrIKyEEEESI_EEEEESK_NSA_INS5_IJNSE_INSF_IyEEEESM_EEEEEPS7_SP_SP_NSC_11hip_rocprim7__merge17predicate_wrapperIyyNSC_4lessImEEEEEE10hipError_tPvRmT0_T1_T2_T3_T4_T5_mmT6_P12ihipStream_tbEUlT_E_NS1_11comp_targetILNS1_3genE8ELNS1_11target_archE1030ELNS1_3gpuE2ELNS1_3repE0EEENS1_30default_config_static_selectorELNS0_4arch9wavefront6targetE0EEEvS10_,comdat
	.protected	_ZN7rocprim17ROCPRIM_400000_NS6detail17trampoline_kernelINS0_14default_configENS1_21merge_config_selectorINS0_5tupleIJyyEEENS0_10empty_typeEEEZNS1_10merge_implIS3_NS0_12zip_iteratorINS5_IJN6thrust23THRUST_200600_302600_NS6detail15normal_iteratorINSC_10device_ptrIKyEEEESI_EEEEESK_NSA_INS5_IJNSE_INSF_IyEEEESM_EEEEEPS7_SP_SP_NSC_11hip_rocprim7__merge17predicate_wrapperIyyNSC_4lessImEEEEEE10hipError_tPvRmT0_T1_T2_T3_T4_T5_mmT6_P12ihipStream_tbEUlT_E_NS1_11comp_targetILNS1_3genE8ELNS1_11target_archE1030ELNS1_3gpuE2ELNS1_3repE0EEENS1_30default_config_static_selectorELNS0_4arch9wavefront6targetE0EEEvS10_ ; -- Begin function _ZN7rocprim17ROCPRIM_400000_NS6detail17trampoline_kernelINS0_14default_configENS1_21merge_config_selectorINS0_5tupleIJyyEEENS0_10empty_typeEEEZNS1_10merge_implIS3_NS0_12zip_iteratorINS5_IJN6thrust23THRUST_200600_302600_NS6detail15normal_iteratorINSC_10device_ptrIKyEEEESI_EEEEESK_NSA_INS5_IJNSE_INSF_IyEEEESM_EEEEEPS7_SP_SP_NSC_11hip_rocprim7__merge17predicate_wrapperIyyNSC_4lessImEEEEEE10hipError_tPvRmT0_T1_T2_T3_T4_T5_mmT6_P12ihipStream_tbEUlT_E_NS1_11comp_targetILNS1_3genE8ELNS1_11target_archE1030ELNS1_3gpuE2ELNS1_3repE0EEENS1_30default_config_static_selectorELNS0_4arch9wavefront6targetE0EEEvS10_
	.globl	_ZN7rocprim17ROCPRIM_400000_NS6detail17trampoline_kernelINS0_14default_configENS1_21merge_config_selectorINS0_5tupleIJyyEEENS0_10empty_typeEEEZNS1_10merge_implIS3_NS0_12zip_iteratorINS5_IJN6thrust23THRUST_200600_302600_NS6detail15normal_iteratorINSC_10device_ptrIKyEEEESI_EEEEESK_NSA_INS5_IJNSE_INSF_IyEEEESM_EEEEEPS7_SP_SP_NSC_11hip_rocprim7__merge17predicate_wrapperIyyNSC_4lessImEEEEEE10hipError_tPvRmT0_T1_T2_T3_T4_T5_mmT6_P12ihipStream_tbEUlT_E_NS1_11comp_targetILNS1_3genE8ELNS1_11target_archE1030ELNS1_3gpuE2ELNS1_3repE0EEENS1_30default_config_static_selectorELNS0_4arch9wavefront6targetE0EEEvS10_
	.p2align	8
	.type	_ZN7rocprim17ROCPRIM_400000_NS6detail17trampoline_kernelINS0_14default_configENS1_21merge_config_selectorINS0_5tupleIJyyEEENS0_10empty_typeEEEZNS1_10merge_implIS3_NS0_12zip_iteratorINS5_IJN6thrust23THRUST_200600_302600_NS6detail15normal_iteratorINSC_10device_ptrIKyEEEESI_EEEEESK_NSA_INS5_IJNSE_INSF_IyEEEESM_EEEEEPS7_SP_SP_NSC_11hip_rocprim7__merge17predicate_wrapperIyyNSC_4lessImEEEEEE10hipError_tPvRmT0_T1_T2_T3_T4_T5_mmT6_P12ihipStream_tbEUlT_E_NS1_11comp_targetILNS1_3genE8ELNS1_11target_archE1030ELNS1_3gpuE2ELNS1_3repE0EEENS1_30default_config_static_selectorELNS0_4arch9wavefront6targetE0EEEvS10_,@function
_ZN7rocprim17ROCPRIM_400000_NS6detail17trampoline_kernelINS0_14default_configENS1_21merge_config_selectorINS0_5tupleIJyyEEENS0_10empty_typeEEEZNS1_10merge_implIS3_NS0_12zip_iteratorINS5_IJN6thrust23THRUST_200600_302600_NS6detail15normal_iteratorINSC_10device_ptrIKyEEEESI_EEEEESK_NSA_INS5_IJNSE_INSF_IyEEEESM_EEEEEPS7_SP_SP_NSC_11hip_rocprim7__merge17predicate_wrapperIyyNSC_4lessImEEEEEE10hipError_tPvRmT0_T1_T2_T3_T4_T5_mmT6_P12ihipStream_tbEUlT_E_NS1_11comp_targetILNS1_3genE8ELNS1_11target_archE1030ELNS1_3gpuE2ELNS1_3repE0EEENS1_30default_config_static_selectorELNS0_4arch9wavefront6targetE0EEEvS10_: ; @_ZN7rocprim17ROCPRIM_400000_NS6detail17trampoline_kernelINS0_14default_configENS1_21merge_config_selectorINS0_5tupleIJyyEEENS0_10empty_typeEEEZNS1_10merge_implIS3_NS0_12zip_iteratorINS5_IJN6thrust23THRUST_200600_302600_NS6detail15normal_iteratorINSC_10device_ptrIKyEEEESI_EEEEESK_NSA_INS5_IJNSE_INSF_IyEEEESM_EEEEEPS7_SP_SP_NSC_11hip_rocprim7__merge17predicate_wrapperIyyNSC_4lessImEEEEEE10hipError_tPvRmT0_T1_T2_T3_T4_T5_mmT6_P12ihipStream_tbEUlT_E_NS1_11comp_targetILNS1_3genE8ELNS1_11target_archE1030ELNS1_3gpuE2ELNS1_3repE0EEENS1_30default_config_static_selectorELNS0_4arch9wavefront6targetE0EEEvS10_
; %bb.0:
	.section	.rodata,"a",@progbits
	.p2align	6, 0x0
	.amdhsa_kernel _ZN7rocprim17ROCPRIM_400000_NS6detail17trampoline_kernelINS0_14default_configENS1_21merge_config_selectorINS0_5tupleIJyyEEENS0_10empty_typeEEEZNS1_10merge_implIS3_NS0_12zip_iteratorINS5_IJN6thrust23THRUST_200600_302600_NS6detail15normal_iteratorINSC_10device_ptrIKyEEEESI_EEEEESK_NSA_INS5_IJNSE_INSF_IyEEEESM_EEEEEPS7_SP_SP_NSC_11hip_rocprim7__merge17predicate_wrapperIyyNSC_4lessImEEEEEE10hipError_tPvRmT0_T1_T2_T3_T4_T5_mmT6_P12ihipStream_tbEUlT_E_NS1_11comp_targetILNS1_3genE8ELNS1_11target_archE1030ELNS1_3gpuE2ELNS1_3repE0EEENS1_30default_config_static_selectorELNS0_4arch9wavefront6targetE0EEEvS10_
		.amdhsa_group_segment_fixed_size 0
		.amdhsa_private_segment_fixed_size 0
		.amdhsa_kernarg_size 64
		.amdhsa_user_sgpr_count 2
		.amdhsa_user_sgpr_dispatch_ptr 0
		.amdhsa_user_sgpr_queue_ptr 0
		.amdhsa_user_sgpr_kernarg_segment_ptr 1
		.amdhsa_user_sgpr_dispatch_id 0
		.amdhsa_user_sgpr_kernarg_preload_length 0
		.amdhsa_user_sgpr_kernarg_preload_offset 0
		.amdhsa_user_sgpr_private_segment_size 0
		.amdhsa_wavefront_size32 1
		.amdhsa_uses_dynamic_stack 0
		.amdhsa_enable_private_segment 0
		.amdhsa_system_sgpr_workgroup_id_x 1
		.amdhsa_system_sgpr_workgroup_id_y 0
		.amdhsa_system_sgpr_workgroup_id_z 0
		.amdhsa_system_sgpr_workgroup_info 0
		.amdhsa_system_vgpr_workitem_id 0
		.amdhsa_next_free_vgpr 1
		.amdhsa_next_free_sgpr 1
		.amdhsa_named_barrier_count 0
		.amdhsa_reserve_vcc 0
		.amdhsa_float_round_mode_32 0
		.amdhsa_float_round_mode_16_64 0
		.amdhsa_float_denorm_mode_32 3
		.amdhsa_float_denorm_mode_16_64 3
		.amdhsa_fp16_overflow 0
		.amdhsa_memory_ordered 1
		.amdhsa_forward_progress 1
		.amdhsa_inst_pref_size 0
		.amdhsa_round_robin_scheduling 0
		.amdhsa_exception_fp_ieee_invalid_op 0
		.amdhsa_exception_fp_denorm_src 0
		.amdhsa_exception_fp_ieee_div_zero 0
		.amdhsa_exception_fp_ieee_overflow 0
		.amdhsa_exception_fp_ieee_underflow 0
		.amdhsa_exception_fp_ieee_inexact 0
		.amdhsa_exception_int_div_zero 0
	.end_amdhsa_kernel
	.section	.text._ZN7rocprim17ROCPRIM_400000_NS6detail17trampoline_kernelINS0_14default_configENS1_21merge_config_selectorINS0_5tupleIJyyEEENS0_10empty_typeEEEZNS1_10merge_implIS3_NS0_12zip_iteratorINS5_IJN6thrust23THRUST_200600_302600_NS6detail15normal_iteratorINSC_10device_ptrIKyEEEESI_EEEEESK_NSA_INS5_IJNSE_INSF_IyEEEESM_EEEEEPS7_SP_SP_NSC_11hip_rocprim7__merge17predicate_wrapperIyyNSC_4lessImEEEEEE10hipError_tPvRmT0_T1_T2_T3_T4_T5_mmT6_P12ihipStream_tbEUlT_E_NS1_11comp_targetILNS1_3genE8ELNS1_11target_archE1030ELNS1_3gpuE2ELNS1_3repE0EEENS1_30default_config_static_selectorELNS0_4arch9wavefront6targetE0EEEvS10_,"axG",@progbits,_ZN7rocprim17ROCPRIM_400000_NS6detail17trampoline_kernelINS0_14default_configENS1_21merge_config_selectorINS0_5tupleIJyyEEENS0_10empty_typeEEEZNS1_10merge_implIS3_NS0_12zip_iteratorINS5_IJN6thrust23THRUST_200600_302600_NS6detail15normal_iteratorINSC_10device_ptrIKyEEEESI_EEEEESK_NSA_INS5_IJNSE_INSF_IyEEEESM_EEEEEPS7_SP_SP_NSC_11hip_rocprim7__merge17predicate_wrapperIyyNSC_4lessImEEEEEE10hipError_tPvRmT0_T1_T2_T3_T4_T5_mmT6_P12ihipStream_tbEUlT_E_NS1_11comp_targetILNS1_3genE8ELNS1_11target_archE1030ELNS1_3gpuE2ELNS1_3repE0EEENS1_30default_config_static_selectorELNS0_4arch9wavefront6targetE0EEEvS10_,comdat
.Lfunc_end469:
	.size	_ZN7rocprim17ROCPRIM_400000_NS6detail17trampoline_kernelINS0_14default_configENS1_21merge_config_selectorINS0_5tupleIJyyEEENS0_10empty_typeEEEZNS1_10merge_implIS3_NS0_12zip_iteratorINS5_IJN6thrust23THRUST_200600_302600_NS6detail15normal_iteratorINSC_10device_ptrIKyEEEESI_EEEEESK_NSA_INS5_IJNSE_INSF_IyEEEESM_EEEEEPS7_SP_SP_NSC_11hip_rocprim7__merge17predicate_wrapperIyyNSC_4lessImEEEEEE10hipError_tPvRmT0_T1_T2_T3_T4_T5_mmT6_P12ihipStream_tbEUlT_E_NS1_11comp_targetILNS1_3genE8ELNS1_11target_archE1030ELNS1_3gpuE2ELNS1_3repE0EEENS1_30default_config_static_selectorELNS0_4arch9wavefront6targetE0EEEvS10_, .Lfunc_end469-_ZN7rocprim17ROCPRIM_400000_NS6detail17trampoline_kernelINS0_14default_configENS1_21merge_config_selectorINS0_5tupleIJyyEEENS0_10empty_typeEEEZNS1_10merge_implIS3_NS0_12zip_iteratorINS5_IJN6thrust23THRUST_200600_302600_NS6detail15normal_iteratorINSC_10device_ptrIKyEEEESI_EEEEESK_NSA_INS5_IJNSE_INSF_IyEEEESM_EEEEEPS7_SP_SP_NSC_11hip_rocprim7__merge17predicate_wrapperIyyNSC_4lessImEEEEEE10hipError_tPvRmT0_T1_T2_T3_T4_T5_mmT6_P12ihipStream_tbEUlT_E_NS1_11comp_targetILNS1_3genE8ELNS1_11target_archE1030ELNS1_3gpuE2ELNS1_3repE0EEENS1_30default_config_static_selectorELNS0_4arch9wavefront6targetE0EEEvS10_
                                        ; -- End function
	.set _ZN7rocprim17ROCPRIM_400000_NS6detail17trampoline_kernelINS0_14default_configENS1_21merge_config_selectorINS0_5tupleIJyyEEENS0_10empty_typeEEEZNS1_10merge_implIS3_NS0_12zip_iteratorINS5_IJN6thrust23THRUST_200600_302600_NS6detail15normal_iteratorINSC_10device_ptrIKyEEEESI_EEEEESK_NSA_INS5_IJNSE_INSF_IyEEEESM_EEEEEPS7_SP_SP_NSC_11hip_rocprim7__merge17predicate_wrapperIyyNSC_4lessImEEEEEE10hipError_tPvRmT0_T1_T2_T3_T4_T5_mmT6_P12ihipStream_tbEUlT_E_NS1_11comp_targetILNS1_3genE8ELNS1_11target_archE1030ELNS1_3gpuE2ELNS1_3repE0EEENS1_30default_config_static_selectorELNS0_4arch9wavefront6targetE0EEEvS10_.num_vgpr, 0
	.set _ZN7rocprim17ROCPRIM_400000_NS6detail17trampoline_kernelINS0_14default_configENS1_21merge_config_selectorINS0_5tupleIJyyEEENS0_10empty_typeEEEZNS1_10merge_implIS3_NS0_12zip_iteratorINS5_IJN6thrust23THRUST_200600_302600_NS6detail15normal_iteratorINSC_10device_ptrIKyEEEESI_EEEEESK_NSA_INS5_IJNSE_INSF_IyEEEESM_EEEEEPS7_SP_SP_NSC_11hip_rocprim7__merge17predicate_wrapperIyyNSC_4lessImEEEEEE10hipError_tPvRmT0_T1_T2_T3_T4_T5_mmT6_P12ihipStream_tbEUlT_E_NS1_11comp_targetILNS1_3genE8ELNS1_11target_archE1030ELNS1_3gpuE2ELNS1_3repE0EEENS1_30default_config_static_selectorELNS0_4arch9wavefront6targetE0EEEvS10_.num_agpr, 0
	.set _ZN7rocprim17ROCPRIM_400000_NS6detail17trampoline_kernelINS0_14default_configENS1_21merge_config_selectorINS0_5tupleIJyyEEENS0_10empty_typeEEEZNS1_10merge_implIS3_NS0_12zip_iteratorINS5_IJN6thrust23THRUST_200600_302600_NS6detail15normal_iteratorINSC_10device_ptrIKyEEEESI_EEEEESK_NSA_INS5_IJNSE_INSF_IyEEEESM_EEEEEPS7_SP_SP_NSC_11hip_rocprim7__merge17predicate_wrapperIyyNSC_4lessImEEEEEE10hipError_tPvRmT0_T1_T2_T3_T4_T5_mmT6_P12ihipStream_tbEUlT_E_NS1_11comp_targetILNS1_3genE8ELNS1_11target_archE1030ELNS1_3gpuE2ELNS1_3repE0EEENS1_30default_config_static_selectorELNS0_4arch9wavefront6targetE0EEEvS10_.numbered_sgpr, 0
	.set _ZN7rocprim17ROCPRIM_400000_NS6detail17trampoline_kernelINS0_14default_configENS1_21merge_config_selectorINS0_5tupleIJyyEEENS0_10empty_typeEEEZNS1_10merge_implIS3_NS0_12zip_iteratorINS5_IJN6thrust23THRUST_200600_302600_NS6detail15normal_iteratorINSC_10device_ptrIKyEEEESI_EEEEESK_NSA_INS5_IJNSE_INSF_IyEEEESM_EEEEEPS7_SP_SP_NSC_11hip_rocprim7__merge17predicate_wrapperIyyNSC_4lessImEEEEEE10hipError_tPvRmT0_T1_T2_T3_T4_T5_mmT6_P12ihipStream_tbEUlT_E_NS1_11comp_targetILNS1_3genE8ELNS1_11target_archE1030ELNS1_3gpuE2ELNS1_3repE0EEENS1_30default_config_static_selectorELNS0_4arch9wavefront6targetE0EEEvS10_.num_named_barrier, 0
	.set _ZN7rocprim17ROCPRIM_400000_NS6detail17trampoline_kernelINS0_14default_configENS1_21merge_config_selectorINS0_5tupleIJyyEEENS0_10empty_typeEEEZNS1_10merge_implIS3_NS0_12zip_iteratorINS5_IJN6thrust23THRUST_200600_302600_NS6detail15normal_iteratorINSC_10device_ptrIKyEEEESI_EEEEESK_NSA_INS5_IJNSE_INSF_IyEEEESM_EEEEEPS7_SP_SP_NSC_11hip_rocprim7__merge17predicate_wrapperIyyNSC_4lessImEEEEEE10hipError_tPvRmT0_T1_T2_T3_T4_T5_mmT6_P12ihipStream_tbEUlT_E_NS1_11comp_targetILNS1_3genE8ELNS1_11target_archE1030ELNS1_3gpuE2ELNS1_3repE0EEENS1_30default_config_static_selectorELNS0_4arch9wavefront6targetE0EEEvS10_.private_seg_size, 0
	.set _ZN7rocprim17ROCPRIM_400000_NS6detail17trampoline_kernelINS0_14default_configENS1_21merge_config_selectorINS0_5tupleIJyyEEENS0_10empty_typeEEEZNS1_10merge_implIS3_NS0_12zip_iteratorINS5_IJN6thrust23THRUST_200600_302600_NS6detail15normal_iteratorINSC_10device_ptrIKyEEEESI_EEEEESK_NSA_INS5_IJNSE_INSF_IyEEEESM_EEEEEPS7_SP_SP_NSC_11hip_rocprim7__merge17predicate_wrapperIyyNSC_4lessImEEEEEE10hipError_tPvRmT0_T1_T2_T3_T4_T5_mmT6_P12ihipStream_tbEUlT_E_NS1_11comp_targetILNS1_3genE8ELNS1_11target_archE1030ELNS1_3gpuE2ELNS1_3repE0EEENS1_30default_config_static_selectorELNS0_4arch9wavefront6targetE0EEEvS10_.uses_vcc, 0
	.set _ZN7rocprim17ROCPRIM_400000_NS6detail17trampoline_kernelINS0_14default_configENS1_21merge_config_selectorINS0_5tupleIJyyEEENS0_10empty_typeEEEZNS1_10merge_implIS3_NS0_12zip_iteratorINS5_IJN6thrust23THRUST_200600_302600_NS6detail15normal_iteratorINSC_10device_ptrIKyEEEESI_EEEEESK_NSA_INS5_IJNSE_INSF_IyEEEESM_EEEEEPS7_SP_SP_NSC_11hip_rocprim7__merge17predicate_wrapperIyyNSC_4lessImEEEEEE10hipError_tPvRmT0_T1_T2_T3_T4_T5_mmT6_P12ihipStream_tbEUlT_E_NS1_11comp_targetILNS1_3genE8ELNS1_11target_archE1030ELNS1_3gpuE2ELNS1_3repE0EEENS1_30default_config_static_selectorELNS0_4arch9wavefront6targetE0EEEvS10_.uses_flat_scratch, 0
	.set _ZN7rocprim17ROCPRIM_400000_NS6detail17trampoline_kernelINS0_14default_configENS1_21merge_config_selectorINS0_5tupleIJyyEEENS0_10empty_typeEEEZNS1_10merge_implIS3_NS0_12zip_iteratorINS5_IJN6thrust23THRUST_200600_302600_NS6detail15normal_iteratorINSC_10device_ptrIKyEEEESI_EEEEESK_NSA_INS5_IJNSE_INSF_IyEEEESM_EEEEEPS7_SP_SP_NSC_11hip_rocprim7__merge17predicate_wrapperIyyNSC_4lessImEEEEEE10hipError_tPvRmT0_T1_T2_T3_T4_T5_mmT6_P12ihipStream_tbEUlT_E_NS1_11comp_targetILNS1_3genE8ELNS1_11target_archE1030ELNS1_3gpuE2ELNS1_3repE0EEENS1_30default_config_static_selectorELNS0_4arch9wavefront6targetE0EEEvS10_.has_dyn_sized_stack, 0
	.set _ZN7rocprim17ROCPRIM_400000_NS6detail17trampoline_kernelINS0_14default_configENS1_21merge_config_selectorINS0_5tupleIJyyEEENS0_10empty_typeEEEZNS1_10merge_implIS3_NS0_12zip_iteratorINS5_IJN6thrust23THRUST_200600_302600_NS6detail15normal_iteratorINSC_10device_ptrIKyEEEESI_EEEEESK_NSA_INS5_IJNSE_INSF_IyEEEESM_EEEEEPS7_SP_SP_NSC_11hip_rocprim7__merge17predicate_wrapperIyyNSC_4lessImEEEEEE10hipError_tPvRmT0_T1_T2_T3_T4_T5_mmT6_P12ihipStream_tbEUlT_E_NS1_11comp_targetILNS1_3genE8ELNS1_11target_archE1030ELNS1_3gpuE2ELNS1_3repE0EEENS1_30default_config_static_selectorELNS0_4arch9wavefront6targetE0EEEvS10_.has_recursion, 0
	.set _ZN7rocprim17ROCPRIM_400000_NS6detail17trampoline_kernelINS0_14default_configENS1_21merge_config_selectorINS0_5tupleIJyyEEENS0_10empty_typeEEEZNS1_10merge_implIS3_NS0_12zip_iteratorINS5_IJN6thrust23THRUST_200600_302600_NS6detail15normal_iteratorINSC_10device_ptrIKyEEEESI_EEEEESK_NSA_INS5_IJNSE_INSF_IyEEEESM_EEEEEPS7_SP_SP_NSC_11hip_rocprim7__merge17predicate_wrapperIyyNSC_4lessImEEEEEE10hipError_tPvRmT0_T1_T2_T3_T4_T5_mmT6_P12ihipStream_tbEUlT_E_NS1_11comp_targetILNS1_3genE8ELNS1_11target_archE1030ELNS1_3gpuE2ELNS1_3repE0EEENS1_30default_config_static_selectorELNS0_4arch9wavefront6targetE0EEEvS10_.has_indirect_call, 0
	.section	.AMDGPU.csdata,"",@progbits
; Kernel info:
; codeLenInByte = 0
; TotalNumSgprs: 0
; NumVgprs: 0
; ScratchSize: 0
; MemoryBound: 0
; FloatMode: 240
; IeeeMode: 1
; LDSByteSize: 0 bytes/workgroup (compile time only)
; SGPRBlocks: 0
; VGPRBlocks: 0
; NumSGPRsForWavesPerEU: 1
; NumVGPRsForWavesPerEU: 1
; NamedBarCnt: 0
; Occupancy: 16
; WaveLimiterHint : 0
; COMPUTE_PGM_RSRC2:SCRATCH_EN: 0
; COMPUTE_PGM_RSRC2:USER_SGPR: 2
; COMPUTE_PGM_RSRC2:TRAP_HANDLER: 0
; COMPUTE_PGM_RSRC2:TGID_X_EN: 1
; COMPUTE_PGM_RSRC2:TGID_Y_EN: 0
; COMPUTE_PGM_RSRC2:TGID_Z_EN: 0
; COMPUTE_PGM_RSRC2:TIDIG_COMP_CNT: 0
	.section	.text._ZN7rocprim17ROCPRIM_400000_NS6detail17trampoline_kernelINS0_14default_configENS1_21merge_config_selectorINS0_5tupleIJyyEEENS0_10empty_typeEEEZNS1_10merge_implIS3_NS0_12zip_iteratorINS5_IJN6thrust23THRUST_200600_302600_NS6detail15normal_iteratorINSC_10device_ptrIKyEEEESI_EEEEESK_NSA_INS5_IJNSE_INSF_IyEEEESM_EEEEEPS7_SP_SP_NSC_11hip_rocprim7__merge17predicate_wrapperIyyNSC_4lessImEEEEEE10hipError_tPvRmT0_T1_T2_T3_T4_T5_mmT6_P12ihipStream_tbEUlT_E0_NS1_11comp_targetILNS1_3genE0ELNS1_11target_archE4294967295ELNS1_3gpuE0ELNS1_3repE0EEENS1_30default_config_static_selectorELNS0_4arch9wavefront6targetE0EEEvS10_,"axG",@progbits,_ZN7rocprim17ROCPRIM_400000_NS6detail17trampoline_kernelINS0_14default_configENS1_21merge_config_selectorINS0_5tupleIJyyEEENS0_10empty_typeEEEZNS1_10merge_implIS3_NS0_12zip_iteratorINS5_IJN6thrust23THRUST_200600_302600_NS6detail15normal_iteratorINSC_10device_ptrIKyEEEESI_EEEEESK_NSA_INS5_IJNSE_INSF_IyEEEESM_EEEEEPS7_SP_SP_NSC_11hip_rocprim7__merge17predicate_wrapperIyyNSC_4lessImEEEEEE10hipError_tPvRmT0_T1_T2_T3_T4_T5_mmT6_P12ihipStream_tbEUlT_E0_NS1_11comp_targetILNS1_3genE0ELNS1_11target_archE4294967295ELNS1_3gpuE0ELNS1_3repE0EEENS1_30default_config_static_selectorELNS0_4arch9wavefront6targetE0EEEvS10_,comdat
	.protected	_ZN7rocprim17ROCPRIM_400000_NS6detail17trampoline_kernelINS0_14default_configENS1_21merge_config_selectorINS0_5tupleIJyyEEENS0_10empty_typeEEEZNS1_10merge_implIS3_NS0_12zip_iteratorINS5_IJN6thrust23THRUST_200600_302600_NS6detail15normal_iteratorINSC_10device_ptrIKyEEEESI_EEEEESK_NSA_INS5_IJNSE_INSF_IyEEEESM_EEEEEPS7_SP_SP_NSC_11hip_rocprim7__merge17predicate_wrapperIyyNSC_4lessImEEEEEE10hipError_tPvRmT0_T1_T2_T3_T4_T5_mmT6_P12ihipStream_tbEUlT_E0_NS1_11comp_targetILNS1_3genE0ELNS1_11target_archE4294967295ELNS1_3gpuE0ELNS1_3repE0EEENS1_30default_config_static_selectorELNS0_4arch9wavefront6targetE0EEEvS10_ ; -- Begin function _ZN7rocprim17ROCPRIM_400000_NS6detail17trampoline_kernelINS0_14default_configENS1_21merge_config_selectorINS0_5tupleIJyyEEENS0_10empty_typeEEEZNS1_10merge_implIS3_NS0_12zip_iteratorINS5_IJN6thrust23THRUST_200600_302600_NS6detail15normal_iteratorINSC_10device_ptrIKyEEEESI_EEEEESK_NSA_INS5_IJNSE_INSF_IyEEEESM_EEEEEPS7_SP_SP_NSC_11hip_rocprim7__merge17predicate_wrapperIyyNSC_4lessImEEEEEE10hipError_tPvRmT0_T1_T2_T3_T4_T5_mmT6_P12ihipStream_tbEUlT_E0_NS1_11comp_targetILNS1_3genE0ELNS1_11target_archE4294967295ELNS1_3gpuE0ELNS1_3repE0EEENS1_30default_config_static_selectorELNS0_4arch9wavefront6targetE0EEEvS10_
	.globl	_ZN7rocprim17ROCPRIM_400000_NS6detail17trampoline_kernelINS0_14default_configENS1_21merge_config_selectorINS0_5tupleIJyyEEENS0_10empty_typeEEEZNS1_10merge_implIS3_NS0_12zip_iteratorINS5_IJN6thrust23THRUST_200600_302600_NS6detail15normal_iteratorINSC_10device_ptrIKyEEEESI_EEEEESK_NSA_INS5_IJNSE_INSF_IyEEEESM_EEEEEPS7_SP_SP_NSC_11hip_rocprim7__merge17predicate_wrapperIyyNSC_4lessImEEEEEE10hipError_tPvRmT0_T1_T2_T3_T4_T5_mmT6_P12ihipStream_tbEUlT_E0_NS1_11comp_targetILNS1_3genE0ELNS1_11target_archE4294967295ELNS1_3gpuE0ELNS1_3repE0EEENS1_30default_config_static_selectorELNS0_4arch9wavefront6targetE0EEEvS10_
	.p2align	8
	.type	_ZN7rocprim17ROCPRIM_400000_NS6detail17trampoline_kernelINS0_14default_configENS1_21merge_config_selectorINS0_5tupleIJyyEEENS0_10empty_typeEEEZNS1_10merge_implIS3_NS0_12zip_iteratorINS5_IJN6thrust23THRUST_200600_302600_NS6detail15normal_iteratorINSC_10device_ptrIKyEEEESI_EEEEESK_NSA_INS5_IJNSE_INSF_IyEEEESM_EEEEEPS7_SP_SP_NSC_11hip_rocprim7__merge17predicate_wrapperIyyNSC_4lessImEEEEEE10hipError_tPvRmT0_T1_T2_T3_T4_T5_mmT6_P12ihipStream_tbEUlT_E0_NS1_11comp_targetILNS1_3genE0ELNS1_11target_archE4294967295ELNS1_3gpuE0ELNS1_3repE0EEENS1_30default_config_static_selectorELNS0_4arch9wavefront6targetE0EEEvS10_,@function
_ZN7rocprim17ROCPRIM_400000_NS6detail17trampoline_kernelINS0_14default_configENS1_21merge_config_selectorINS0_5tupleIJyyEEENS0_10empty_typeEEEZNS1_10merge_implIS3_NS0_12zip_iteratorINS5_IJN6thrust23THRUST_200600_302600_NS6detail15normal_iteratorINSC_10device_ptrIKyEEEESI_EEEEESK_NSA_INS5_IJNSE_INSF_IyEEEESM_EEEEEPS7_SP_SP_NSC_11hip_rocprim7__merge17predicate_wrapperIyyNSC_4lessImEEEEEE10hipError_tPvRmT0_T1_T2_T3_T4_T5_mmT6_P12ihipStream_tbEUlT_E0_NS1_11comp_targetILNS1_3genE0ELNS1_11target_archE4294967295ELNS1_3gpuE0ELNS1_3repE0EEENS1_30default_config_static_selectorELNS0_4arch9wavefront6targetE0EEEvS10_: ; @_ZN7rocprim17ROCPRIM_400000_NS6detail17trampoline_kernelINS0_14default_configENS1_21merge_config_selectorINS0_5tupleIJyyEEENS0_10empty_typeEEEZNS1_10merge_implIS3_NS0_12zip_iteratorINS5_IJN6thrust23THRUST_200600_302600_NS6detail15normal_iteratorINSC_10device_ptrIKyEEEESI_EEEEESK_NSA_INS5_IJNSE_INSF_IyEEEESM_EEEEEPS7_SP_SP_NSC_11hip_rocprim7__merge17predicate_wrapperIyyNSC_4lessImEEEEEE10hipError_tPvRmT0_T1_T2_T3_T4_T5_mmT6_P12ihipStream_tbEUlT_E0_NS1_11comp_targetILNS1_3genE0ELNS1_11target_archE4294967295ELNS1_3gpuE0ELNS1_3repE0EEENS1_30default_config_static_selectorELNS0_4arch9wavefront6targetE0EEEvS10_
; %bb.0:
	s_clause 0x1
	s_load_b128 s[12:15], s[0:1], 0x58
	s_load_b256 s[4:11], s[0:1], 0x8
	s_bfe_u32 s2, ttmp6, 0x4000c
	s_and_b32 s3, ttmp6, 15
	s_add_co_i32 s2, s2, 1
	s_wait_kmcnt 0x0
	s_getreg_b32 s13, hwreg(HW_REG_IB_STS2, 6, 4)
	s_mul_i32 s2, ttmp9, s2
	v_mov_b32_e32 v1, 0
	s_add_co_i32 s3, s3, s2
	s_cmp_eq_u32 s13, 0
	s_cselect_b32 s16, ttmp9, s3
	s_delay_alu instid0(SALU_CYCLE_1) | instskip(SKIP_1) | instid1(SALU_CYCLE_1)
	s_add_co_i32 s3, s16, 1
	s_add_co_i32 s24, s14, s12
	;; [unrolled: 1-line block ×3, first 2 shown]
	s_delay_alu instid0(SALU_CYCLE_1) | instskip(NEXT) | instid1(SALU_CYCLE_1)
	s_lshr_b32 s2, s2, 10
	s_min_u32 s17, s16, s2
	s_min_u32 s3, s3, s2
	s_clause 0x1
	s_load_b32 s2, s[4:5], s17 offset:0x0 scale_offset
	s_load_b32 s20, s[4:5], s3 offset:0x0 scale_offset
	s_load_b128 s[12:15], s[0:1], 0x28
	s_wait_xcnt 0x0
	s_mov_b32 s3, 0
	s_lshl_b32 s4, s16, 10
	s_mov_b32 s17, s3
	s_add_co_i32 s5, s4, 0x400
	s_delay_alu instid0(SALU_CYCLE_1)
	s_min_u32 s5, s24, s5
	s_wait_kmcnt 0x0
	s_sub_co_i32 s16, s4, s2
	s_lshl_b64 s[22:23], s[2:3], 3
	s_sub_co_i32 s2, s20, s2
	s_lshl_b64 s[18:19], s[16:17], 3
	s_add_co_i32 s20, s16, s20
	s_add_nc_u64 s[16:17], s[10:11], s[18:19]
	s_sub_co_i32 s10, s5, s20
	s_mov_b32 s11, s3
	s_add_nc_u64 s[12:13], s[12:13], s[18:19]
	s_add_nc_u64 s[20:21], s[10:11], s[2:3]
	s_mov_b32 s5, exec_lo
	v_cmpx_le_u32_e64 s2, v0
	s_xor_b32 s5, exec_lo, s5
	s_cbranch_execz .LBB470_4
; %bb.1:
	s_mov_b32 s11, exec_lo
	v_cmpx_gt_u64_e64 s[20:21], v[0:1]
	s_cbranch_execz .LBB470_3
; %bb.2:
	v_subrev_nc_u32_e32 v6, s2, v0
	s_clause 0x1
	global_load_b64 v[2:3], v6, s[16:17] scale_offset
	global_load_b64 v[4:5], v6, s[12:13] scale_offset
	s_wait_xcnt 0x0
	v_lshlrev_b32_e32 v6, 4, v0
	s_wait_loadcnt 0x0
	ds_store_b128 v6, v[2:5]
.LBB470_3:
	s_or_b32 exec_lo, exec_lo, s11
.LBB470_4:
	s_or_saveexec_b32 s5, s5
	v_lshlrev_b32_e32 v14, 4, v0
	s_add_nc_u64 s[18:19], s[6:7], s[22:23]
	s_add_nc_u64 s[8:9], s[8:9], s[22:23]
	s_xor_b32 exec_lo, exec_lo, s5
	s_cbranch_execz .LBB470_6
; %bb.5:
	s_clause 0x1
	global_load_b64 v[2:3], v0, s[18:19] scale_offset
	global_load_b64 v[4:5], v0, s[8:9] scale_offset
	s_wait_loadcnt 0x0
	ds_store_b128 v14, v[2:5]
.LBB470_6:
	s_or_b32 exec_lo, exec_lo, s5
	v_or_b32_e32 v12, 0x200, v0
	v_mov_b32_e32 v13, 0
	s_mov_b32 s5, exec_lo
	s_delay_alu instid0(VALU_DEP_2)
	v_cmpx_le_u32_e64 s2, v12
	s_xor_b32 s5, exec_lo, s5
	s_cbranch_execz .LBB470_10
; %bb.7:
	s_mov_b32 s6, exec_lo
	v_cmpx_gt_u64_e64 s[20:21], v[12:13]
	s_cbranch_execz .LBB470_9
; %bb.8:
	v_sub_nc_u64_e64 v[2:3], v[0:1], s[2:3]
	s_delay_alu instid0(VALU_DEP_1) | instskip(NEXT) | instid1(VALU_DEP_1)
	v_lshlrev_b64_e32 v[2:3], 3, v[2:3]
	v_add_nc_u64_e32 v[6:7], s[16:17], v[2:3]
	v_add_nc_u64_e32 v[8:9], s[12:13], v[2:3]
	global_load_b64 v[2:3], v[6:7], off offset:4096
	global_load_b64 v[4:5], v[8:9], off offset:4096
	s_wait_loadcnt 0x0
	ds_store_b128 v14, v[2:5] offset:8192
.LBB470_9:
	s_or_b32 exec_lo, exec_lo, s6
.LBB470_10:
	s_or_saveexec_b32 s3, s5
	s_load_b64 s[6:7], s[0:1], 0x38
	s_xor_b32 exec_lo, exec_lo, s3
	s_cbranch_execz .LBB470_12
; %bb.11:
	s_clause 0x1
	global_load_b64 v[2:3], v0, s[18:19] offset:4096 scale_offset
	global_load_b64 v[4:5], v0, s[8:9] offset:4096 scale_offset
	s_wait_loadcnt 0x0
	ds_store_b128 v14, v[2:5] offset:8192
.LBB470_12:
	s_or_b32 exec_lo, exec_lo, s3
	v_lshlrev_b32_e32 v1, 1, v0
	s_wait_xcnt 0x0
	s_mov_b32 s0, exec_lo
	s_wait_dscnt 0x0
	s_barrier_signal -1
	s_barrier_wait -1
	v_sub_nc_u32_e64 v13, v1, s10 clamp
	v_min_u32_e32 v2, s2, v1
	s_delay_alu instid0(VALU_DEP_1)
	v_cmpx_lt_u32_e64 v13, v2
	s_cbranch_execz .LBB470_16
; %bb.13:
	v_lshlrev_b32_e32 v3, 4, v1
	s_mov_b32 s1, 0
	s_delay_alu instid0(VALU_DEP_1)
	v_lshl_add_u32 v3, s2, 4, v3
.LBB470_14:                             ; =>This Inner Loop Header: Depth=1
	v_add_nc_u32_e32 v4, v2, v13
	s_delay_alu instid0(VALU_DEP_1) | instskip(NEXT) | instid1(VALU_DEP_1)
	v_lshrrev_b32_e32 v8, 1, v4
	v_not_b32_e32 v4, v8
	v_lshlrev_b32_e32 v5, 4, v8
	s_delay_alu instid0(VALU_DEP_2)
	v_lshl_add_u32 v6, v4, 4, v3
	ds_load_b64 v[4:5], v5
	ds_load_b64 v[6:7], v6
	s_wait_dscnt 0x0
	v_cmp_lt_u64_e32 vcc_lo, v[6:7], v[4:5]
	v_add_nc_u32_e32 v4, 1, v8
	s_delay_alu instid0(VALU_DEP_1) | instskip(NEXT) | instid1(VALU_DEP_1)
	v_dual_cndmask_b32 v13, v4, v13 :: v_dual_cndmask_b32 v2, v2, v8
	v_cmp_ge_u32_e32 vcc_lo, v13, v2
	s_or_b32 s1, vcc_lo, s1
	s_delay_alu instid0(SALU_CYCLE_1)
	s_and_not1_b32 exec_lo, exec_lo, s1
	s_cbranch_execnz .LBB470_14
; %bb.15:
	s_or_b32 exec_lo, exec_lo, s1
.LBB470_16:
	s_delay_alu instid0(SALU_CYCLE_1)
	s_or_b32 exec_lo, exec_lo, s0
	v_add_nc_u32_e32 v2, s2, v1
	s_add_co_i32 s5, s10, s2
	v_cmp_ge_u32_e32 vcc_lo, s2, v13
	v_mov_b64_e32 v[4:5], 0
	v_mov_b64_e32 v[8:9], 0
	v_sub_nc_u32_e32 v15, v2, v13
	v_mov_b64_e32 v[6:7], 0
	v_mov_b64_e32 v[2:3], 0
	s_delay_alu instid0(VALU_DEP_3) | instskip(SKIP_1) | instid1(SALU_CYCLE_1)
	v_cmp_ge_u32_e64 s0, s5, v15
	s_or_b32 s0, vcc_lo, s0
	s_and_saveexec_b32 s3, s0
	s_cbranch_execz .LBB470_22
; %bb.17:
	v_mov_b64_e32 v[10:11], 0
	v_mov_b64_e32 v[6:7], 0
	;; [unrolled: 1-line block ×3, first 2 shown]
	v_cmp_gt_u32_e32 vcc_lo, s2, v13
	s_and_saveexec_b32 s0, vcc_lo
; %bb.18:
	v_lshlrev_b32_e32 v2, 4, v13
	ds_load_b128 v[4:7], v2
; %bb.19:
	s_or_b32 exec_lo, exec_lo, s0
	v_mov_b64_e32 v[8:9], 0
	v_cmp_le_u32_e64 s0, s5, v15
	s_mov_b32 s8, exec_lo
	v_cmpx_gt_u32_e64 s5, v15
; %bb.20:
	v_lshlrev_b32_e32 v2, 4, v15
	ds_load_b128 v[8:11], v2
; %bb.21:
	s_or_b32 exec_lo, exec_lo, s8
	s_wait_dscnt 0x0
	v_cmp_ge_u64_e64 s1, v[8:9], v[4:5]
	s_and_b32 s1, vcc_lo, s1
	s_delay_alu instid0(SALU_CYCLE_1) | instskip(SKIP_1) | instid1(VALU_DEP_1)
	s_or_b32 vcc_lo, s0, s1
	v_dual_mov_b32 v2, s2 :: v_dual_cndmask_b32 v3, v15, v13
	v_dual_cndmask_b32 v2, s5, v2, vcc_lo :: v_dual_add_nc_u32 v22, 1, v3
	v_cndmask_b32_e32 v3, v9, v5, vcc_lo
	s_delay_alu instid0(VALU_DEP_2) | instskip(NEXT) | instid1(VALU_DEP_1)
	v_add_min_u32_e64 v2, v2, -1, v22
	v_lshlrev_b32_e32 v2, 4, v2
	ds_load_b128 v[16:19], v2
	s_wait_dscnt 0x0
	v_dual_cndmask_b32 v2, v8, v4 :: v_dual_cndmask_b32 v21, v17, v9
	v_dual_cndmask_b32 v20, v16, v8 :: v_dual_cndmask_b32 v17, v5, v17
	v_dual_cndmask_b32 v16, v4, v16, vcc_lo :: v_dual_cndmask_b32 v8, v13, v22, vcc_lo
	v_cndmask_b32_e32 v9, v22, v15, vcc_lo
	v_dual_cndmask_b32 v5, v11, v7 :: v_dual_cndmask_b32 v4, v10, v6
	s_delay_alu instid0(VALU_DEP_3) | instskip(NEXT) | instid1(VALU_DEP_4)
	v_cmp_ge_u64_e64 s0, v[20:21], v[16:17]
	v_cmp_gt_u32_e64 s1, s2, v8
	s_delay_alu instid0(VALU_DEP_4) | instskip(SKIP_3) | instid1(SALU_CYCLE_1)
	v_cmp_le_u32_e64 s2, s5, v9
	v_dual_cndmask_b32 v8, v18, v10 :: v_dual_cndmask_b32 v9, v19, v11
	v_dual_cndmask_b32 v10, v7, v19 :: v_dual_cndmask_b32 v11, v6, v18
	s_and_b32 s0, s1, s0
	s_or_b32 vcc_lo, s2, s0
	v_dual_cndmask_b32 v7, v21, v17 :: v_dual_cndmask_b32 v6, v20, v16
	s_delay_alu instid0(VALU_DEP_2)
	v_dual_cndmask_b32 v9, v9, v10 :: v_dual_cndmask_b32 v8, v8, v11
.LBB470_22:
	s_or_b32 exec_lo, exec_lo, s3
	v_and_b32_e32 v10, 0x1f0, v0
	s_mov_b32 s5, 0
	s_sub_co_i32 s8, s24, s4
	s_lshl_b64 s[2:3], s[4:5], 3
	s_cmp_gt_u32 s8, 0x3ff
	v_lshl_add_u32 v10, v1, 4, v10
	v_lshrrev_b32_e32 v1, 1, v12
	s_add_nc_u64 s[0:1], s[14:15], s[2:3]
	s_wait_kmcnt 0x0
	s_add_nc_u64 s[2:3], s[6:7], s[2:3]
	s_barrier_signal -1
	s_barrier_wait -1
	ds_store_b128 v10, v[2:5]
	ds_store_b128 v10, v[6:9] offset:16
	s_wait_dscnt 0x0
	s_cbranch_scc0 .LBB470_24
; %bb.23:
	v_and_b32_e32 v3, 0x1f0, v1
	v_lshrrev_b32_e32 v2, 1, v0
	s_barrier_signal -1
	s_barrier_wait -1
	s_delay_alu instid0(VALU_DEP_2) | instskip(NEXT) | instid1(VALU_DEP_2)
	v_add_nc_u32_e32 v3, v3, v14
	v_and_b32_e32 v2, 0xf0, v2
	s_mov_b32 s5, -1
	s_delay_alu instid0(VALU_DEP_1)
	v_add_nc_u32_e32 v2, v2, v14
	ds_load_b128 v[6:9], v2
	ds_load_b128 v[2:5], v3 offset:8192
	s_wait_dscnt 0x1
	s_clause 0x1
	global_store_b64 v0, v[6:7], s[0:1] scale_offset
	global_store_b64 v0, v[8:9], s[2:3] scale_offset
	s_cbranch_execz .LBB470_25
	s_branch .LBB470_28
.LBB470_24:
                                        ; implicit-def: $vgpr4_vgpr5
.LBB470_25:
	v_and_b32_e32 v1, 0x1f0, v1
	s_barrier_signal -1
	s_barrier_wait -1
	s_wait_storecnt_dscnt 0x0
	s_mov_b32 s4, exec_lo
	v_lshl_add_u32 v1, v0, 4, v1
	ds_load_b128 v[2:5], v1 offset:8192
	s_wait_xcnt 0x0
	v_cmpx_gt_u32_e64 s8, v0
	s_cbranch_execz .LBB470_27
; %bb.26:
	v_lshrrev_b32_e32 v1, 1, v0
	s_delay_alu instid0(VALU_DEP_1) | instskip(NEXT) | instid1(VALU_DEP_1)
	v_and_b32_e32 v1, 0xf0, v1
	v_lshl_add_u32 v1, v0, 4, v1
	ds_load_b128 v[6:9], v1
	s_wait_dscnt 0x0
	s_clause 0x1
	global_store_b64 v0, v[6:7], s[0:1] scale_offset
	global_store_b64 v0, v[8:9], s[2:3] scale_offset
.LBB470_27:
	s_wait_xcnt 0x0
	s_or_b32 exec_lo, exec_lo, s4
	v_cmp_gt_u32_e64 s5, s8, v12
.LBB470_28:
	s_wait_xcnt 0x0
	s_delay_alu instid0(VALU_DEP_1)
	s_and_saveexec_b32 s4, s5
	s_cbranch_execnz .LBB470_30
; %bb.29:
	s_endpgm
.LBB470_30:
	s_wait_dscnt 0x0
	s_clause 0x1
	global_store_b64 v0, v[2:3], s[0:1] offset:4096 scale_offset
	global_store_b64 v0, v[4:5], s[2:3] offset:4096 scale_offset
	s_endpgm
	.section	.rodata,"a",@progbits
	.p2align	6, 0x0
	.amdhsa_kernel _ZN7rocprim17ROCPRIM_400000_NS6detail17trampoline_kernelINS0_14default_configENS1_21merge_config_selectorINS0_5tupleIJyyEEENS0_10empty_typeEEEZNS1_10merge_implIS3_NS0_12zip_iteratorINS5_IJN6thrust23THRUST_200600_302600_NS6detail15normal_iteratorINSC_10device_ptrIKyEEEESI_EEEEESK_NSA_INS5_IJNSE_INSF_IyEEEESM_EEEEEPS7_SP_SP_NSC_11hip_rocprim7__merge17predicate_wrapperIyyNSC_4lessImEEEEEE10hipError_tPvRmT0_T1_T2_T3_T4_T5_mmT6_P12ihipStream_tbEUlT_E0_NS1_11comp_targetILNS1_3genE0ELNS1_11target_archE4294967295ELNS1_3gpuE0ELNS1_3repE0EEENS1_30default_config_static_selectorELNS0_4arch9wavefront6targetE0EEEvS10_
		.amdhsa_group_segment_fixed_size 16896
		.amdhsa_private_segment_fixed_size 0
		.amdhsa_kernarg_size 112
		.amdhsa_user_sgpr_count 2
		.amdhsa_user_sgpr_dispatch_ptr 0
		.amdhsa_user_sgpr_queue_ptr 0
		.amdhsa_user_sgpr_kernarg_segment_ptr 1
		.amdhsa_user_sgpr_dispatch_id 0
		.amdhsa_user_sgpr_kernarg_preload_length 0
		.amdhsa_user_sgpr_kernarg_preload_offset 0
		.amdhsa_user_sgpr_private_segment_size 0
		.amdhsa_wavefront_size32 1
		.amdhsa_uses_dynamic_stack 0
		.amdhsa_enable_private_segment 0
		.amdhsa_system_sgpr_workgroup_id_x 1
		.amdhsa_system_sgpr_workgroup_id_y 0
		.amdhsa_system_sgpr_workgroup_id_z 0
		.amdhsa_system_sgpr_workgroup_info 0
		.amdhsa_system_vgpr_workitem_id 0
		.amdhsa_next_free_vgpr 23
		.amdhsa_next_free_sgpr 25
		.amdhsa_named_barrier_count 0
		.amdhsa_reserve_vcc 1
		.amdhsa_float_round_mode_32 0
		.amdhsa_float_round_mode_16_64 0
		.amdhsa_float_denorm_mode_32 3
		.amdhsa_float_denorm_mode_16_64 3
		.amdhsa_fp16_overflow 0
		.amdhsa_memory_ordered 1
		.amdhsa_forward_progress 1
		.amdhsa_inst_pref_size 12
		.amdhsa_round_robin_scheduling 0
		.amdhsa_exception_fp_ieee_invalid_op 0
		.amdhsa_exception_fp_denorm_src 0
		.amdhsa_exception_fp_ieee_div_zero 0
		.amdhsa_exception_fp_ieee_overflow 0
		.amdhsa_exception_fp_ieee_underflow 0
		.amdhsa_exception_fp_ieee_inexact 0
		.amdhsa_exception_int_div_zero 0
	.end_amdhsa_kernel
	.section	.text._ZN7rocprim17ROCPRIM_400000_NS6detail17trampoline_kernelINS0_14default_configENS1_21merge_config_selectorINS0_5tupleIJyyEEENS0_10empty_typeEEEZNS1_10merge_implIS3_NS0_12zip_iteratorINS5_IJN6thrust23THRUST_200600_302600_NS6detail15normal_iteratorINSC_10device_ptrIKyEEEESI_EEEEESK_NSA_INS5_IJNSE_INSF_IyEEEESM_EEEEEPS7_SP_SP_NSC_11hip_rocprim7__merge17predicate_wrapperIyyNSC_4lessImEEEEEE10hipError_tPvRmT0_T1_T2_T3_T4_T5_mmT6_P12ihipStream_tbEUlT_E0_NS1_11comp_targetILNS1_3genE0ELNS1_11target_archE4294967295ELNS1_3gpuE0ELNS1_3repE0EEENS1_30default_config_static_selectorELNS0_4arch9wavefront6targetE0EEEvS10_,"axG",@progbits,_ZN7rocprim17ROCPRIM_400000_NS6detail17trampoline_kernelINS0_14default_configENS1_21merge_config_selectorINS0_5tupleIJyyEEENS0_10empty_typeEEEZNS1_10merge_implIS3_NS0_12zip_iteratorINS5_IJN6thrust23THRUST_200600_302600_NS6detail15normal_iteratorINSC_10device_ptrIKyEEEESI_EEEEESK_NSA_INS5_IJNSE_INSF_IyEEEESM_EEEEEPS7_SP_SP_NSC_11hip_rocprim7__merge17predicate_wrapperIyyNSC_4lessImEEEEEE10hipError_tPvRmT0_T1_T2_T3_T4_T5_mmT6_P12ihipStream_tbEUlT_E0_NS1_11comp_targetILNS1_3genE0ELNS1_11target_archE4294967295ELNS1_3gpuE0ELNS1_3repE0EEENS1_30default_config_static_selectorELNS0_4arch9wavefront6targetE0EEEvS10_,comdat
.Lfunc_end470:
	.size	_ZN7rocprim17ROCPRIM_400000_NS6detail17trampoline_kernelINS0_14default_configENS1_21merge_config_selectorINS0_5tupleIJyyEEENS0_10empty_typeEEEZNS1_10merge_implIS3_NS0_12zip_iteratorINS5_IJN6thrust23THRUST_200600_302600_NS6detail15normal_iteratorINSC_10device_ptrIKyEEEESI_EEEEESK_NSA_INS5_IJNSE_INSF_IyEEEESM_EEEEEPS7_SP_SP_NSC_11hip_rocprim7__merge17predicate_wrapperIyyNSC_4lessImEEEEEE10hipError_tPvRmT0_T1_T2_T3_T4_T5_mmT6_P12ihipStream_tbEUlT_E0_NS1_11comp_targetILNS1_3genE0ELNS1_11target_archE4294967295ELNS1_3gpuE0ELNS1_3repE0EEENS1_30default_config_static_selectorELNS0_4arch9wavefront6targetE0EEEvS10_, .Lfunc_end470-_ZN7rocprim17ROCPRIM_400000_NS6detail17trampoline_kernelINS0_14default_configENS1_21merge_config_selectorINS0_5tupleIJyyEEENS0_10empty_typeEEEZNS1_10merge_implIS3_NS0_12zip_iteratorINS5_IJN6thrust23THRUST_200600_302600_NS6detail15normal_iteratorINSC_10device_ptrIKyEEEESI_EEEEESK_NSA_INS5_IJNSE_INSF_IyEEEESM_EEEEEPS7_SP_SP_NSC_11hip_rocprim7__merge17predicate_wrapperIyyNSC_4lessImEEEEEE10hipError_tPvRmT0_T1_T2_T3_T4_T5_mmT6_P12ihipStream_tbEUlT_E0_NS1_11comp_targetILNS1_3genE0ELNS1_11target_archE4294967295ELNS1_3gpuE0ELNS1_3repE0EEENS1_30default_config_static_selectorELNS0_4arch9wavefront6targetE0EEEvS10_
                                        ; -- End function
	.set _ZN7rocprim17ROCPRIM_400000_NS6detail17trampoline_kernelINS0_14default_configENS1_21merge_config_selectorINS0_5tupleIJyyEEENS0_10empty_typeEEEZNS1_10merge_implIS3_NS0_12zip_iteratorINS5_IJN6thrust23THRUST_200600_302600_NS6detail15normal_iteratorINSC_10device_ptrIKyEEEESI_EEEEESK_NSA_INS5_IJNSE_INSF_IyEEEESM_EEEEEPS7_SP_SP_NSC_11hip_rocprim7__merge17predicate_wrapperIyyNSC_4lessImEEEEEE10hipError_tPvRmT0_T1_T2_T3_T4_T5_mmT6_P12ihipStream_tbEUlT_E0_NS1_11comp_targetILNS1_3genE0ELNS1_11target_archE4294967295ELNS1_3gpuE0ELNS1_3repE0EEENS1_30default_config_static_selectorELNS0_4arch9wavefront6targetE0EEEvS10_.num_vgpr, 23
	.set _ZN7rocprim17ROCPRIM_400000_NS6detail17trampoline_kernelINS0_14default_configENS1_21merge_config_selectorINS0_5tupleIJyyEEENS0_10empty_typeEEEZNS1_10merge_implIS3_NS0_12zip_iteratorINS5_IJN6thrust23THRUST_200600_302600_NS6detail15normal_iteratorINSC_10device_ptrIKyEEEESI_EEEEESK_NSA_INS5_IJNSE_INSF_IyEEEESM_EEEEEPS7_SP_SP_NSC_11hip_rocprim7__merge17predicate_wrapperIyyNSC_4lessImEEEEEE10hipError_tPvRmT0_T1_T2_T3_T4_T5_mmT6_P12ihipStream_tbEUlT_E0_NS1_11comp_targetILNS1_3genE0ELNS1_11target_archE4294967295ELNS1_3gpuE0ELNS1_3repE0EEENS1_30default_config_static_selectorELNS0_4arch9wavefront6targetE0EEEvS10_.num_agpr, 0
	.set _ZN7rocprim17ROCPRIM_400000_NS6detail17trampoline_kernelINS0_14default_configENS1_21merge_config_selectorINS0_5tupleIJyyEEENS0_10empty_typeEEEZNS1_10merge_implIS3_NS0_12zip_iteratorINS5_IJN6thrust23THRUST_200600_302600_NS6detail15normal_iteratorINSC_10device_ptrIKyEEEESI_EEEEESK_NSA_INS5_IJNSE_INSF_IyEEEESM_EEEEEPS7_SP_SP_NSC_11hip_rocprim7__merge17predicate_wrapperIyyNSC_4lessImEEEEEE10hipError_tPvRmT0_T1_T2_T3_T4_T5_mmT6_P12ihipStream_tbEUlT_E0_NS1_11comp_targetILNS1_3genE0ELNS1_11target_archE4294967295ELNS1_3gpuE0ELNS1_3repE0EEENS1_30default_config_static_selectorELNS0_4arch9wavefront6targetE0EEEvS10_.numbered_sgpr, 25
	.set _ZN7rocprim17ROCPRIM_400000_NS6detail17trampoline_kernelINS0_14default_configENS1_21merge_config_selectorINS0_5tupleIJyyEEENS0_10empty_typeEEEZNS1_10merge_implIS3_NS0_12zip_iteratorINS5_IJN6thrust23THRUST_200600_302600_NS6detail15normal_iteratorINSC_10device_ptrIKyEEEESI_EEEEESK_NSA_INS5_IJNSE_INSF_IyEEEESM_EEEEEPS7_SP_SP_NSC_11hip_rocprim7__merge17predicate_wrapperIyyNSC_4lessImEEEEEE10hipError_tPvRmT0_T1_T2_T3_T4_T5_mmT6_P12ihipStream_tbEUlT_E0_NS1_11comp_targetILNS1_3genE0ELNS1_11target_archE4294967295ELNS1_3gpuE0ELNS1_3repE0EEENS1_30default_config_static_selectorELNS0_4arch9wavefront6targetE0EEEvS10_.num_named_barrier, 0
	.set _ZN7rocprim17ROCPRIM_400000_NS6detail17trampoline_kernelINS0_14default_configENS1_21merge_config_selectorINS0_5tupleIJyyEEENS0_10empty_typeEEEZNS1_10merge_implIS3_NS0_12zip_iteratorINS5_IJN6thrust23THRUST_200600_302600_NS6detail15normal_iteratorINSC_10device_ptrIKyEEEESI_EEEEESK_NSA_INS5_IJNSE_INSF_IyEEEESM_EEEEEPS7_SP_SP_NSC_11hip_rocprim7__merge17predicate_wrapperIyyNSC_4lessImEEEEEE10hipError_tPvRmT0_T1_T2_T3_T4_T5_mmT6_P12ihipStream_tbEUlT_E0_NS1_11comp_targetILNS1_3genE0ELNS1_11target_archE4294967295ELNS1_3gpuE0ELNS1_3repE0EEENS1_30default_config_static_selectorELNS0_4arch9wavefront6targetE0EEEvS10_.private_seg_size, 0
	.set _ZN7rocprim17ROCPRIM_400000_NS6detail17trampoline_kernelINS0_14default_configENS1_21merge_config_selectorINS0_5tupleIJyyEEENS0_10empty_typeEEEZNS1_10merge_implIS3_NS0_12zip_iteratorINS5_IJN6thrust23THRUST_200600_302600_NS6detail15normal_iteratorINSC_10device_ptrIKyEEEESI_EEEEESK_NSA_INS5_IJNSE_INSF_IyEEEESM_EEEEEPS7_SP_SP_NSC_11hip_rocprim7__merge17predicate_wrapperIyyNSC_4lessImEEEEEE10hipError_tPvRmT0_T1_T2_T3_T4_T5_mmT6_P12ihipStream_tbEUlT_E0_NS1_11comp_targetILNS1_3genE0ELNS1_11target_archE4294967295ELNS1_3gpuE0ELNS1_3repE0EEENS1_30default_config_static_selectorELNS0_4arch9wavefront6targetE0EEEvS10_.uses_vcc, 1
	.set _ZN7rocprim17ROCPRIM_400000_NS6detail17trampoline_kernelINS0_14default_configENS1_21merge_config_selectorINS0_5tupleIJyyEEENS0_10empty_typeEEEZNS1_10merge_implIS3_NS0_12zip_iteratorINS5_IJN6thrust23THRUST_200600_302600_NS6detail15normal_iteratorINSC_10device_ptrIKyEEEESI_EEEEESK_NSA_INS5_IJNSE_INSF_IyEEEESM_EEEEEPS7_SP_SP_NSC_11hip_rocprim7__merge17predicate_wrapperIyyNSC_4lessImEEEEEE10hipError_tPvRmT0_T1_T2_T3_T4_T5_mmT6_P12ihipStream_tbEUlT_E0_NS1_11comp_targetILNS1_3genE0ELNS1_11target_archE4294967295ELNS1_3gpuE0ELNS1_3repE0EEENS1_30default_config_static_selectorELNS0_4arch9wavefront6targetE0EEEvS10_.uses_flat_scratch, 0
	.set _ZN7rocprim17ROCPRIM_400000_NS6detail17trampoline_kernelINS0_14default_configENS1_21merge_config_selectorINS0_5tupleIJyyEEENS0_10empty_typeEEEZNS1_10merge_implIS3_NS0_12zip_iteratorINS5_IJN6thrust23THRUST_200600_302600_NS6detail15normal_iteratorINSC_10device_ptrIKyEEEESI_EEEEESK_NSA_INS5_IJNSE_INSF_IyEEEESM_EEEEEPS7_SP_SP_NSC_11hip_rocprim7__merge17predicate_wrapperIyyNSC_4lessImEEEEEE10hipError_tPvRmT0_T1_T2_T3_T4_T5_mmT6_P12ihipStream_tbEUlT_E0_NS1_11comp_targetILNS1_3genE0ELNS1_11target_archE4294967295ELNS1_3gpuE0ELNS1_3repE0EEENS1_30default_config_static_selectorELNS0_4arch9wavefront6targetE0EEEvS10_.has_dyn_sized_stack, 0
	.set _ZN7rocprim17ROCPRIM_400000_NS6detail17trampoline_kernelINS0_14default_configENS1_21merge_config_selectorINS0_5tupleIJyyEEENS0_10empty_typeEEEZNS1_10merge_implIS3_NS0_12zip_iteratorINS5_IJN6thrust23THRUST_200600_302600_NS6detail15normal_iteratorINSC_10device_ptrIKyEEEESI_EEEEESK_NSA_INS5_IJNSE_INSF_IyEEEESM_EEEEEPS7_SP_SP_NSC_11hip_rocprim7__merge17predicate_wrapperIyyNSC_4lessImEEEEEE10hipError_tPvRmT0_T1_T2_T3_T4_T5_mmT6_P12ihipStream_tbEUlT_E0_NS1_11comp_targetILNS1_3genE0ELNS1_11target_archE4294967295ELNS1_3gpuE0ELNS1_3repE0EEENS1_30default_config_static_selectorELNS0_4arch9wavefront6targetE0EEEvS10_.has_recursion, 0
	.set _ZN7rocprim17ROCPRIM_400000_NS6detail17trampoline_kernelINS0_14default_configENS1_21merge_config_selectorINS0_5tupleIJyyEEENS0_10empty_typeEEEZNS1_10merge_implIS3_NS0_12zip_iteratorINS5_IJN6thrust23THRUST_200600_302600_NS6detail15normal_iteratorINSC_10device_ptrIKyEEEESI_EEEEESK_NSA_INS5_IJNSE_INSF_IyEEEESM_EEEEEPS7_SP_SP_NSC_11hip_rocprim7__merge17predicate_wrapperIyyNSC_4lessImEEEEEE10hipError_tPvRmT0_T1_T2_T3_T4_T5_mmT6_P12ihipStream_tbEUlT_E0_NS1_11comp_targetILNS1_3genE0ELNS1_11target_archE4294967295ELNS1_3gpuE0ELNS1_3repE0EEENS1_30default_config_static_selectorELNS0_4arch9wavefront6targetE0EEEvS10_.has_indirect_call, 0
	.section	.AMDGPU.csdata,"",@progbits
; Kernel info:
; codeLenInByte = 1428
; TotalNumSgprs: 27
; NumVgprs: 23
; ScratchSize: 0
; MemoryBound: 0
; FloatMode: 240
; IeeeMode: 1
; LDSByteSize: 16896 bytes/workgroup (compile time only)
; SGPRBlocks: 0
; VGPRBlocks: 1
; NumSGPRsForWavesPerEU: 27
; NumVGPRsForWavesPerEU: 23
; NamedBarCnt: 0
; Occupancy: 16
; WaveLimiterHint : 1
; COMPUTE_PGM_RSRC2:SCRATCH_EN: 0
; COMPUTE_PGM_RSRC2:USER_SGPR: 2
; COMPUTE_PGM_RSRC2:TRAP_HANDLER: 0
; COMPUTE_PGM_RSRC2:TGID_X_EN: 1
; COMPUTE_PGM_RSRC2:TGID_Y_EN: 0
; COMPUTE_PGM_RSRC2:TGID_Z_EN: 0
; COMPUTE_PGM_RSRC2:TIDIG_COMP_CNT: 0
	.section	.text._ZN7rocprim17ROCPRIM_400000_NS6detail17trampoline_kernelINS0_14default_configENS1_21merge_config_selectorINS0_5tupleIJyyEEENS0_10empty_typeEEEZNS1_10merge_implIS3_NS0_12zip_iteratorINS5_IJN6thrust23THRUST_200600_302600_NS6detail15normal_iteratorINSC_10device_ptrIKyEEEESI_EEEEESK_NSA_INS5_IJNSE_INSF_IyEEEESM_EEEEEPS7_SP_SP_NSC_11hip_rocprim7__merge17predicate_wrapperIyyNSC_4lessImEEEEEE10hipError_tPvRmT0_T1_T2_T3_T4_T5_mmT6_P12ihipStream_tbEUlT_E0_NS1_11comp_targetILNS1_3genE5ELNS1_11target_archE942ELNS1_3gpuE9ELNS1_3repE0EEENS1_30default_config_static_selectorELNS0_4arch9wavefront6targetE0EEEvS10_,"axG",@progbits,_ZN7rocprim17ROCPRIM_400000_NS6detail17trampoline_kernelINS0_14default_configENS1_21merge_config_selectorINS0_5tupleIJyyEEENS0_10empty_typeEEEZNS1_10merge_implIS3_NS0_12zip_iteratorINS5_IJN6thrust23THRUST_200600_302600_NS6detail15normal_iteratorINSC_10device_ptrIKyEEEESI_EEEEESK_NSA_INS5_IJNSE_INSF_IyEEEESM_EEEEEPS7_SP_SP_NSC_11hip_rocprim7__merge17predicate_wrapperIyyNSC_4lessImEEEEEE10hipError_tPvRmT0_T1_T2_T3_T4_T5_mmT6_P12ihipStream_tbEUlT_E0_NS1_11comp_targetILNS1_3genE5ELNS1_11target_archE942ELNS1_3gpuE9ELNS1_3repE0EEENS1_30default_config_static_selectorELNS0_4arch9wavefront6targetE0EEEvS10_,comdat
	.protected	_ZN7rocprim17ROCPRIM_400000_NS6detail17trampoline_kernelINS0_14default_configENS1_21merge_config_selectorINS0_5tupleIJyyEEENS0_10empty_typeEEEZNS1_10merge_implIS3_NS0_12zip_iteratorINS5_IJN6thrust23THRUST_200600_302600_NS6detail15normal_iteratorINSC_10device_ptrIKyEEEESI_EEEEESK_NSA_INS5_IJNSE_INSF_IyEEEESM_EEEEEPS7_SP_SP_NSC_11hip_rocprim7__merge17predicate_wrapperIyyNSC_4lessImEEEEEE10hipError_tPvRmT0_T1_T2_T3_T4_T5_mmT6_P12ihipStream_tbEUlT_E0_NS1_11comp_targetILNS1_3genE5ELNS1_11target_archE942ELNS1_3gpuE9ELNS1_3repE0EEENS1_30default_config_static_selectorELNS0_4arch9wavefront6targetE0EEEvS10_ ; -- Begin function _ZN7rocprim17ROCPRIM_400000_NS6detail17trampoline_kernelINS0_14default_configENS1_21merge_config_selectorINS0_5tupleIJyyEEENS0_10empty_typeEEEZNS1_10merge_implIS3_NS0_12zip_iteratorINS5_IJN6thrust23THRUST_200600_302600_NS6detail15normal_iteratorINSC_10device_ptrIKyEEEESI_EEEEESK_NSA_INS5_IJNSE_INSF_IyEEEESM_EEEEEPS7_SP_SP_NSC_11hip_rocprim7__merge17predicate_wrapperIyyNSC_4lessImEEEEEE10hipError_tPvRmT0_T1_T2_T3_T4_T5_mmT6_P12ihipStream_tbEUlT_E0_NS1_11comp_targetILNS1_3genE5ELNS1_11target_archE942ELNS1_3gpuE9ELNS1_3repE0EEENS1_30default_config_static_selectorELNS0_4arch9wavefront6targetE0EEEvS10_
	.globl	_ZN7rocprim17ROCPRIM_400000_NS6detail17trampoline_kernelINS0_14default_configENS1_21merge_config_selectorINS0_5tupleIJyyEEENS0_10empty_typeEEEZNS1_10merge_implIS3_NS0_12zip_iteratorINS5_IJN6thrust23THRUST_200600_302600_NS6detail15normal_iteratorINSC_10device_ptrIKyEEEESI_EEEEESK_NSA_INS5_IJNSE_INSF_IyEEEESM_EEEEEPS7_SP_SP_NSC_11hip_rocprim7__merge17predicate_wrapperIyyNSC_4lessImEEEEEE10hipError_tPvRmT0_T1_T2_T3_T4_T5_mmT6_P12ihipStream_tbEUlT_E0_NS1_11comp_targetILNS1_3genE5ELNS1_11target_archE942ELNS1_3gpuE9ELNS1_3repE0EEENS1_30default_config_static_selectorELNS0_4arch9wavefront6targetE0EEEvS10_
	.p2align	8
	.type	_ZN7rocprim17ROCPRIM_400000_NS6detail17trampoline_kernelINS0_14default_configENS1_21merge_config_selectorINS0_5tupleIJyyEEENS0_10empty_typeEEEZNS1_10merge_implIS3_NS0_12zip_iteratorINS5_IJN6thrust23THRUST_200600_302600_NS6detail15normal_iteratorINSC_10device_ptrIKyEEEESI_EEEEESK_NSA_INS5_IJNSE_INSF_IyEEEESM_EEEEEPS7_SP_SP_NSC_11hip_rocprim7__merge17predicate_wrapperIyyNSC_4lessImEEEEEE10hipError_tPvRmT0_T1_T2_T3_T4_T5_mmT6_P12ihipStream_tbEUlT_E0_NS1_11comp_targetILNS1_3genE5ELNS1_11target_archE942ELNS1_3gpuE9ELNS1_3repE0EEENS1_30default_config_static_selectorELNS0_4arch9wavefront6targetE0EEEvS10_,@function
_ZN7rocprim17ROCPRIM_400000_NS6detail17trampoline_kernelINS0_14default_configENS1_21merge_config_selectorINS0_5tupleIJyyEEENS0_10empty_typeEEEZNS1_10merge_implIS3_NS0_12zip_iteratorINS5_IJN6thrust23THRUST_200600_302600_NS6detail15normal_iteratorINSC_10device_ptrIKyEEEESI_EEEEESK_NSA_INS5_IJNSE_INSF_IyEEEESM_EEEEEPS7_SP_SP_NSC_11hip_rocprim7__merge17predicate_wrapperIyyNSC_4lessImEEEEEE10hipError_tPvRmT0_T1_T2_T3_T4_T5_mmT6_P12ihipStream_tbEUlT_E0_NS1_11comp_targetILNS1_3genE5ELNS1_11target_archE942ELNS1_3gpuE9ELNS1_3repE0EEENS1_30default_config_static_selectorELNS0_4arch9wavefront6targetE0EEEvS10_: ; @_ZN7rocprim17ROCPRIM_400000_NS6detail17trampoline_kernelINS0_14default_configENS1_21merge_config_selectorINS0_5tupleIJyyEEENS0_10empty_typeEEEZNS1_10merge_implIS3_NS0_12zip_iteratorINS5_IJN6thrust23THRUST_200600_302600_NS6detail15normal_iteratorINSC_10device_ptrIKyEEEESI_EEEEESK_NSA_INS5_IJNSE_INSF_IyEEEESM_EEEEEPS7_SP_SP_NSC_11hip_rocprim7__merge17predicate_wrapperIyyNSC_4lessImEEEEEE10hipError_tPvRmT0_T1_T2_T3_T4_T5_mmT6_P12ihipStream_tbEUlT_E0_NS1_11comp_targetILNS1_3genE5ELNS1_11target_archE942ELNS1_3gpuE9ELNS1_3repE0EEENS1_30default_config_static_selectorELNS0_4arch9wavefront6targetE0EEEvS10_
; %bb.0:
	.section	.rodata,"a",@progbits
	.p2align	6, 0x0
	.amdhsa_kernel _ZN7rocprim17ROCPRIM_400000_NS6detail17trampoline_kernelINS0_14default_configENS1_21merge_config_selectorINS0_5tupleIJyyEEENS0_10empty_typeEEEZNS1_10merge_implIS3_NS0_12zip_iteratorINS5_IJN6thrust23THRUST_200600_302600_NS6detail15normal_iteratorINSC_10device_ptrIKyEEEESI_EEEEESK_NSA_INS5_IJNSE_INSF_IyEEEESM_EEEEEPS7_SP_SP_NSC_11hip_rocprim7__merge17predicate_wrapperIyyNSC_4lessImEEEEEE10hipError_tPvRmT0_T1_T2_T3_T4_T5_mmT6_P12ihipStream_tbEUlT_E0_NS1_11comp_targetILNS1_3genE5ELNS1_11target_archE942ELNS1_3gpuE9ELNS1_3repE0EEENS1_30default_config_static_selectorELNS0_4arch9wavefront6targetE0EEEvS10_
		.amdhsa_group_segment_fixed_size 0
		.amdhsa_private_segment_fixed_size 0
		.amdhsa_kernarg_size 112
		.amdhsa_user_sgpr_count 2
		.amdhsa_user_sgpr_dispatch_ptr 0
		.amdhsa_user_sgpr_queue_ptr 0
		.amdhsa_user_sgpr_kernarg_segment_ptr 1
		.amdhsa_user_sgpr_dispatch_id 0
		.amdhsa_user_sgpr_kernarg_preload_length 0
		.amdhsa_user_sgpr_kernarg_preload_offset 0
		.amdhsa_user_sgpr_private_segment_size 0
		.amdhsa_wavefront_size32 1
		.amdhsa_uses_dynamic_stack 0
		.amdhsa_enable_private_segment 0
		.amdhsa_system_sgpr_workgroup_id_x 1
		.amdhsa_system_sgpr_workgroup_id_y 0
		.amdhsa_system_sgpr_workgroup_id_z 0
		.amdhsa_system_sgpr_workgroup_info 0
		.amdhsa_system_vgpr_workitem_id 0
		.amdhsa_next_free_vgpr 1
		.amdhsa_next_free_sgpr 1
		.amdhsa_named_barrier_count 0
		.amdhsa_reserve_vcc 0
		.amdhsa_float_round_mode_32 0
		.amdhsa_float_round_mode_16_64 0
		.amdhsa_float_denorm_mode_32 3
		.amdhsa_float_denorm_mode_16_64 3
		.amdhsa_fp16_overflow 0
		.amdhsa_memory_ordered 1
		.amdhsa_forward_progress 1
		.amdhsa_inst_pref_size 0
		.amdhsa_round_robin_scheduling 0
		.amdhsa_exception_fp_ieee_invalid_op 0
		.amdhsa_exception_fp_denorm_src 0
		.amdhsa_exception_fp_ieee_div_zero 0
		.amdhsa_exception_fp_ieee_overflow 0
		.amdhsa_exception_fp_ieee_underflow 0
		.amdhsa_exception_fp_ieee_inexact 0
		.amdhsa_exception_int_div_zero 0
	.end_amdhsa_kernel
	.section	.text._ZN7rocprim17ROCPRIM_400000_NS6detail17trampoline_kernelINS0_14default_configENS1_21merge_config_selectorINS0_5tupleIJyyEEENS0_10empty_typeEEEZNS1_10merge_implIS3_NS0_12zip_iteratorINS5_IJN6thrust23THRUST_200600_302600_NS6detail15normal_iteratorINSC_10device_ptrIKyEEEESI_EEEEESK_NSA_INS5_IJNSE_INSF_IyEEEESM_EEEEEPS7_SP_SP_NSC_11hip_rocprim7__merge17predicate_wrapperIyyNSC_4lessImEEEEEE10hipError_tPvRmT0_T1_T2_T3_T4_T5_mmT6_P12ihipStream_tbEUlT_E0_NS1_11comp_targetILNS1_3genE5ELNS1_11target_archE942ELNS1_3gpuE9ELNS1_3repE0EEENS1_30default_config_static_selectorELNS0_4arch9wavefront6targetE0EEEvS10_,"axG",@progbits,_ZN7rocprim17ROCPRIM_400000_NS6detail17trampoline_kernelINS0_14default_configENS1_21merge_config_selectorINS0_5tupleIJyyEEENS0_10empty_typeEEEZNS1_10merge_implIS3_NS0_12zip_iteratorINS5_IJN6thrust23THRUST_200600_302600_NS6detail15normal_iteratorINSC_10device_ptrIKyEEEESI_EEEEESK_NSA_INS5_IJNSE_INSF_IyEEEESM_EEEEEPS7_SP_SP_NSC_11hip_rocprim7__merge17predicate_wrapperIyyNSC_4lessImEEEEEE10hipError_tPvRmT0_T1_T2_T3_T4_T5_mmT6_P12ihipStream_tbEUlT_E0_NS1_11comp_targetILNS1_3genE5ELNS1_11target_archE942ELNS1_3gpuE9ELNS1_3repE0EEENS1_30default_config_static_selectorELNS0_4arch9wavefront6targetE0EEEvS10_,comdat
.Lfunc_end471:
	.size	_ZN7rocprim17ROCPRIM_400000_NS6detail17trampoline_kernelINS0_14default_configENS1_21merge_config_selectorINS0_5tupleIJyyEEENS0_10empty_typeEEEZNS1_10merge_implIS3_NS0_12zip_iteratorINS5_IJN6thrust23THRUST_200600_302600_NS6detail15normal_iteratorINSC_10device_ptrIKyEEEESI_EEEEESK_NSA_INS5_IJNSE_INSF_IyEEEESM_EEEEEPS7_SP_SP_NSC_11hip_rocprim7__merge17predicate_wrapperIyyNSC_4lessImEEEEEE10hipError_tPvRmT0_T1_T2_T3_T4_T5_mmT6_P12ihipStream_tbEUlT_E0_NS1_11comp_targetILNS1_3genE5ELNS1_11target_archE942ELNS1_3gpuE9ELNS1_3repE0EEENS1_30default_config_static_selectorELNS0_4arch9wavefront6targetE0EEEvS10_, .Lfunc_end471-_ZN7rocprim17ROCPRIM_400000_NS6detail17trampoline_kernelINS0_14default_configENS1_21merge_config_selectorINS0_5tupleIJyyEEENS0_10empty_typeEEEZNS1_10merge_implIS3_NS0_12zip_iteratorINS5_IJN6thrust23THRUST_200600_302600_NS6detail15normal_iteratorINSC_10device_ptrIKyEEEESI_EEEEESK_NSA_INS5_IJNSE_INSF_IyEEEESM_EEEEEPS7_SP_SP_NSC_11hip_rocprim7__merge17predicate_wrapperIyyNSC_4lessImEEEEEE10hipError_tPvRmT0_T1_T2_T3_T4_T5_mmT6_P12ihipStream_tbEUlT_E0_NS1_11comp_targetILNS1_3genE5ELNS1_11target_archE942ELNS1_3gpuE9ELNS1_3repE0EEENS1_30default_config_static_selectorELNS0_4arch9wavefront6targetE0EEEvS10_
                                        ; -- End function
	.set _ZN7rocprim17ROCPRIM_400000_NS6detail17trampoline_kernelINS0_14default_configENS1_21merge_config_selectorINS0_5tupleIJyyEEENS0_10empty_typeEEEZNS1_10merge_implIS3_NS0_12zip_iteratorINS5_IJN6thrust23THRUST_200600_302600_NS6detail15normal_iteratorINSC_10device_ptrIKyEEEESI_EEEEESK_NSA_INS5_IJNSE_INSF_IyEEEESM_EEEEEPS7_SP_SP_NSC_11hip_rocprim7__merge17predicate_wrapperIyyNSC_4lessImEEEEEE10hipError_tPvRmT0_T1_T2_T3_T4_T5_mmT6_P12ihipStream_tbEUlT_E0_NS1_11comp_targetILNS1_3genE5ELNS1_11target_archE942ELNS1_3gpuE9ELNS1_3repE0EEENS1_30default_config_static_selectorELNS0_4arch9wavefront6targetE0EEEvS10_.num_vgpr, 0
	.set _ZN7rocprim17ROCPRIM_400000_NS6detail17trampoline_kernelINS0_14default_configENS1_21merge_config_selectorINS0_5tupleIJyyEEENS0_10empty_typeEEEZNS1_10merge_implIS3_NS0_12zip_iteratorINS5_IJN6thrust23THRUST_200600_302600_NS6detail15normal_iteratorINSC_10device_ptrIKyEEEESI_EEEEESK_NSA_INS5_IJNSE_INSF_IyEEEESM_EEEEEPS7_SP_SP_NSC_11hip_rocprim7__merge17predicate_wrapperIyyNSC_4lessImEEEEEE10hipError_tPvRmT0_T1_T2_T3_T4_T5_mmT6_P12ihipStream_tbEUlT_E0_NS1_11comp_targetILNS1_3genE5ELNS1_11target_archE942ELNS1_3gpuE9ELNS1_3repE0EEENS1_30default_config_static_selectorELNS0_4arch9wavefront6targetE0EEEvS10_.num_agpr, 0
	.set _ZN7rocprim17ROCPRIM_400000_NS6detail17trampoline_kernelINS0_14default_configENS1_21merge_config_selectorINS0_5tupleIJyyEEENS0_10empty_typeEEEZNS1_10merge_implIS3_NS0_12zip_iteratorINS5_IJN6thrust23THRUST_200600_302600_NS6detail15normal_iteratorINSC_10device_ptrIKyEEEESI_EEEEESK_NSA_INS5_IJNSE_INSF_IyEEEESM_EEEEEPS7_SP_SP_NSC_11hip_rocprim7__merge17predicate_wrapperIyyNSC_4lessImEEEEEE10hipError_tPvRmT0_T1_T2_T3_T4_T5_mmT6_P12ihipStream_tbEUlT_E0_NS1_11comp_targetILNS1_3genE5ELNS1_11target_archE942ELNS1_3gpuE9ELNS1_3repE0EEENS1_30default_config_static_selectorELNS0_4arch9wavefront6targetE0EEEvS10_.numbered_sgpr, 0
	.set _ZN7rocprim17ROCPRIM_400000_NS6detail17trampoline_kernelINS0_14default_configENS1_21merge_config_selectorINS0_5tupleIJyyEEENS0_10empty_typeEEEZNS1_10merge_implIS3_NS0_12zip_iteratorINS5_IJN6thrust23THRUST_200600_302600_NS6detail15normal_iteratorINSC_10device_ptrIKyEEEESI_EEEEESK_NSA_INS5_IJNSE_INSF_IyEEEESM_EEEEEPS7_SP_SP_NSC_11hip_rocprim7__merge17predicate_wrapperIyyNSC_4lessImEEEEEE10hipError_tPvRmT0_T1_T2_T3_T4_T5_mmT6_P12ihipStream_tbEUlT_E0_NS1_11comp_targetILNS1_3genE5ELNS1_11target_archE942ELNS1_3gpuE9ELNS1_3repE0EEENS1_30default_config_static_selectorELNS0_4arch9wavefront6targetE0EEEvS10_.num_named_barrier, 0
	.set _ZN7rocprim17ROCPRIM_400000_NS6detail17trampoline_kernelINS0_14default_configENS1_21merge_config_selectorINS0_5tupleIJyyEEENS0_10empty_typeEEEZNS1_10merge_implIS3_NS0_12zip_iteratorINS5_IJN6thrust23THRUST_200600_302600_NS6detail15normal_iteratorINSC_10device_ptrIKyEEEESI_EEEEESK_NSA_INS5_IJNSE_INSF_IyEEEESM_EEEEEPS7_SP_SP_NSC_11hip_rocprim7__merge17predicate_wrapperIyyNSC_4lessImEEEEEE10hipError_tPvRmT0_T1_T2_T3_T4_T5_mmT6_P12ihipStream_tbEUlT_E0_NS1_11comp_targetILNS1_3genE5ELNS1_11target_archE942ELNS1_3gpuE9ELNS1_3repE0EEENS1_30default_config_static_selectorELNS0_4arch9wavefront6targetE0EEEvS10_.private_seg_size, 0
	.set _ZN7rocprim17ROCPRIM_400000_NS6detail17trampoline_kernelINS0_14default_configENS1_21merge_config_selectorINS0_5tupleIJyyEEENS0_10empty_typeEEEZNS1_10merge_implIS3_NS0_12zip_iteratorINS5_IJN6thrust23THRUST_200600_302600_NS6detail15normal_iteratorINSC_10device_ptrIKyEEEESI_EEEEESK_NSA_INS5_IJNSE_INSF_IyEEEESM_EEEEEPS7_SP_SP_NSC_11hip_rocprim7__merge17predicate_wrapperIyyNSC_4lessImEEEEEE10hipError_tPvRmT0_T1_T2_T3_T4_T5_mmT6_P12ihipStream_tbEUlT_E0_NS1_11comp_targetILNS1_3genE5ELNS1_11target_archE942ELNS1_3gpuE9ELNS1_3repE0EEENS1_30default_config_static_selectorELNS0_4arch9wavefront6targetE0EEEvS10_.uses_vcc, 0
	.set _ZN7rocprim17ROCPRIM_400000_NS6detail17trampoline_kernelINS0_14default_configENS1_21merge_config_selectorINS0_5tupleIJyyEEENS0_10empty_typeEEEZNS1_10merge_implIS3_NS0_12zip_iteratorINS5_IJN6thrust23THRUST_200600_302600_NS6detail15normal_iteratorINSC_10device_ptrIKyEEEESI_EEEEESK_NSA_INS5_IJNSE_INSF_IyEEEESM_EEEEEPS7_SP_SP_NSC_11hip_rocprim7__merge17predicate_wrapperIyyNSC_4lessImEEEEEE10hipError_tPvRmT0_T1_T2_T3_T4_T5_mmT6_P12ihipStream_tbEUlT_E0_NS1_11comp_targetILNS1_3genE5ELNS1_11target_archE942ELNS1_3gpuE9ELNS1_3repE0EEENS1_30default_config_static_selectorELNS0_4arch9wavefront6targetE0EEEvS10_.uses_flat_scratch, 0
	.set _ZN7rocprim17ROCPRIM_400000_NS6detail17trampoline_kernelINS0_14default_configENS1_21merge_config_selectorINS0_5tupleIJyyEEENS0_10empty_typeEEEZNS1_10merge_implIS3_NS0_12zip_iteratorINS5_IJN6thrust23THRUST_200600_302600_NS6detail15normal_iteratorINSC_10device_ptrIKyEEEESI_EEEEESK_NSA_INS5_IJNSE_INSF_IyEEEESM_EEEEEPS7_SP_SP_NSC_11hip_rocprim7__merge17predicate_wrapperIyyNSC_4lessImEEEEEE10hipError_tPvRmT0_T1_T2_T3_T4_T5_mmT6_P12ihipStream_tbEUlT_E0_NS1_11comp_targetILNS1_3genE5ELNS1_11target_archE942ELNS1_3gpuE9ELNS1_3repE0EEENS1_30default_config_static_selectorELNS0_4arch9wavefront6targetE0EEEvS10_.has_dyn_sized_stack, 0
	.set _ZN7rocprim17ROCPRIM_400000_NS6detail17trampoline_kernelINS0_14default_configENS1_21merge_config_selectorINS0_5tupleIJyyEEENS0_10empty_typeEEEZNS1_10merge_implIS3_NS0_12zip_iteratorINS5_IJN6thrust23THRUST_200600_302600_NS6detail15normal_iteratorINSC_10device_ptrIKyEEEESI_EEEEESK_NSA_INS5_IJNSE_INSF_IyEEEESM_EEEEEPS7_SP_SP_NSC_11hip_rocprim7__merge17predicate_wrapperIyyNSC_4lessImEEEEEE10hipError_tPvRmT0_T1_T2_T3_T4_T5_mmT6_P12ihipStream_tbEUlT_E0_NS1_11comp_targetILNS1_3genE5ELNS1_11target_archE942ELNS1_3gpuE9ELNS1_3repE0EEENS1_30default_config_static_selectorELNS0_4arch9wavefront6targetE0EEEvS10_.has_recursion, 0
	.set _ZN7rocprim17ROCPRIM_400000_NS6detail17trampoline_kernelINS0_14default_configENS1_21merge_config_selectorINS0_5tupleIJyyEEENS0_10empty_typeEEEZNS1_10merge_implIS3_NS0_12zip_iteratorINS5_IJN6thrust23THRUST_200600_302600_NS6detail15normal_iteratorINSC_10device_ptrIKyEEEESI_EEEEESK_NSA_INS5_IJNSE_INSF_IyEEEESM_EEEEEPS7_SP_SP_NSC_11hip_rocprim7__merge17predicate_wrapperIyyNSC_4lessImEEEEEE10hipError_tPvRmT0_T1_T2_T3_T4_T5_mmT6_P12ihipStream_tbEUlT_E0_NS1_11comp_targetILNS1_3genE5ELNS1_11target_archE942ELNS1_3gpuE9ELNS1_3repE0EEENS1_30default_config_static_selectorELNS0_4arch9wavefront6targetE0EEEvS10_.has_indirect_call, 0
	.section	.AMDGPU.csdata,"",@progbits
; Kernel info:
; codeLenInByte = 0
; TotalNumSgprs: 0
; NumVgprs: 0
; ScratchSize: 0
; MemoryBound: 0
; FloatMode: 240
; IeeeMode: 1
; LDSByteSize: 0 bytes/workgroup (compile time only)
; SGPRBlocks: 0
; VGPRBlocks: 0
; NumSGPRsForWavesPerEU: 1
; NumVGPRsForWavesPerEU: 1
; NamedBarCnt: 0
; Occupancy: 16
; WaveLimiterHint : 0
; COMPUTE_PGM_RSRC2:SCRATCH_EN: 0
; COMPUTE_PGM_RSRC2:USER_SGPR: 2
; COMPUTE_PGM_RSRC2:TRAP_HANDLER: 0
; COMPUTE_PGM_RSRC2:TGID_X_EN: 1
; COMPUTE_PGM_RSRC2:TGID_Y_EN: 0
; COMPUTE_PGM_RSRC2:TGID_Z_EN: 0
; COMPUTE_PGM_RSRC2:TIDIG_COMP_CNT: 0
	.section	.text._ZN7rocprim17ROCPRIM_400000_NS6detail17trampoline_kernelINS0_14default_configENS1_21merge_config_selectorINS0_5tupleIJyyEEENS0_10empty_typeEEEZNS1_10merge_implIS3_NS0_12zip_iteratorINS5_IJN6thrust23THRUST_200600_302600_NS6detail15normal_iteratorINSC_10device_ptrIKyEEEESI_EEEEESK_NSA_INS5_IJNSE_INSF_IyEEEESM_EEEEEPS7_SP_SP_NSC_11hip_rocprim7__merge17predicate_wrapperIyyNSC_4lessImEEEEEE10hipError_tPvRmT0_T1_T2_T3_T4_T5_mmT6_P12ihipStream_tbEUlT_E0_NS1_11comp_targetILNS1_3genE4ELNS1_11target_archE910ELNS1_3gpuE8ELNS1_3repE0EEENS1_30default_config_static_selectorELNS0_4arch9wavefront6targetE0EEEvS10_,"axG",@progbits,_ZN7rocprim17ROCPRIM_400000_NS6detail17trampoline_kernelINS0_14default_configENS1_21merge_config_selectorINS0_5tupleIJyyEEENS0_10empty_typeEEEZNS1_10merge_implIS3_NS0_12zip_iteratorINS5_IJN6thrust23THRUST_200600_302600_NS6detail15normal_iteratorINSC_10device_ptrIKyEEEESI_EEEEESK_NSA_INS5_IJNSE_INSF_IyEEEESM_EEEEEPS7_SP_SP_NSC_11hip_rocprim7__merge17predicate_wrapperIyyNSC_4lessImEEEEEE10hipError_tPvRmT0_T1_T2_T3_T4_T5_mmT6_P12ihipStream_tbEUlT_E0_NS1_11comp_targetILNS1_3genE4ELNS1_11target_archE910ELNS1_3gpuE8ELNS1_3repE0EEENS1_30default_config_static_selectorELNS0_4arch9wavefront6targetE0EEEvS10_,comdat
	.protected	_ZN7rocprim17ROCPRIM_400000_NS6detail17trampoline_kernelINS0_14default_configENS1_21merge_config_selectorINS0_5tupleIJyyEEENS0_10empty_typeEEEZNS1_10merge_implIS3_NS0_12zip_iteratorINS5_IJN6thrust23THRUST_200600_302600_NS6detail15normal_iteratorINSC_10device_ptrIKyEEEESI_EEEEESK_NSA_INS5_IJNSE_INSF_IyEEEESM_EEEEEPS7_SP_SP_NSC_11hip_rocprim7__merge17predicate_wrapperIyyNSC_4lessImEEEEEE10hipError_tPvRmT0_T1_T2_T3_T4_T5_mmT6_P12ihipStream_tbEUlT_E0_NS1_11comp_targetILNS1_3genE4ELNS1_11target_archE910ELNS1_3gpuE8ELNS1_3repE0EEENS1_30default_config_static_selectorELNS0_4arch9wavefront6targetE0EEEvS10_ ; -- Begin function _ZN7rocprim17ROCPRIM_400000_NS6detail17trampoline_kernelINS0_14default_configENS1_21merge_config_selectorINS0_5tupleIJyyEEENS0_10empty_typeEEEZNS1_10merge_implIS3_NS0_12zip_iteratorINS5_IJN6thrust23THRUST_200600_302600_NS6detail15normal_iteratorINSC_10device_ptrIKyEEEESI_EEEEESK_NSA_INS5_IJNSE_INSF_IyEEEESM_EEEEEPS7_SP_SP_NSC_11hip_rocprim7__merge17predicate_wrapperIyyNSC_4lessImEEEEEE10hipError_tPvRmT0_T1_T2_T3_T4_T5_mmT6_P12ihipStream_tbEUlT_E0_NS1_11comp_targetILNS1_3genE4ELNS1_11target_archE910ELNS1_3gpuE8ELNS1_3repE0EEENS1_30default_config_static_selectorELNS0_4arch9wavefront6targetE0EEEvS10_
	.globl	_ZN7rocprim17ROCPRIM_400000_NS6detail17trampoline_kernelINS0_14default_configENS1_21merge_config_selectorINS0_5tupleIJyyEEENS0_10empty_typeEEEZNS1_10merge_implIS3_NS0_12zip_iteratorINS5_IJN6thrust23THRUST_200600_302600_NS6detail15normal_iteratorINSC_10device_ptrIKyEEEESI_EEEEESK_NSA_INS5_IJNSE_INSF_IyEEEESM_EEEEEPS7_SP_SP_NSC_11hip_rocprim7__merge17predicate_wrapperIyyNSC_4lessImEEEEEE10hipError_tPvRmT0_T1_T2_T3_T4_T5_mmT6_P12ihipStream_tbEUlT_E0_NS1_11comp_targetILNS1_3genE4ELNS1_11target_archE910ELNS1_3gpuE8ELNS1_3repE0EEENS1_30default_config_static_selectorELNS0_4arch9wavefront6targetE0EEEvS10_
	.p2align	8
	.type	_ZN7rocprim17ROCPRIM_400000_NS6detail17trampoline_kernelINS0_14default_configENS1_21merge_config_selectorINS0_5tupleIJyyEEENS0_10empty_typeEEEZNS1_10merge_implIS3_NS0_12zip_iteratorINS5_IJN6thrust23THRUST_200600_302600_NS6detail15normal_iteratorINSC_10device_ptrIKyEEEESI_EEEEESK_NSA_INS5_IJNSE_INSF_IyEEEESM_EEEEEPS7_SP_SP_NSC_11hip_rocprim7__merge17predicate_wrapperIyyNSC_4lessImEEEEEE10hipError_tPvRmT0_T1_T2_T3_T4_T5_mmT6_P12ihipStream_tbEUlT_E0_NS1_11comp_targetILNS1_3genE4ELNS1_11target_archE910ELNS1_3gpuE8ELNS1_3repE0EEENS1_30default_config_static_selectorELNS0_4arch9wavefront6targetE0EEEvS10_,@function
_ZN7rocprim17ROCPRIM_400000_NS6detail17trampoline_kernelINS0_14default_configENS1_21merge_config_selectorINS0_5tupleIJyyEEENS0_10empty_typeEEEZNS1_10merge_implIS3_NS0_12zip_iteratorINS5_IJN6thrust23THRUST_200600_302600_NS6detail15normal_iteratorINSC_10device_ptrIKyEEEESI_EEEEESK_NSA_INS5_IJNSE_INSF_IyEEEESM_EEEEEPS7_SP_SP_NSC_11hip_rocprim7__merge17predicate_wrapperIyyNSC_4lessImEEEEEE10hipError_tPvRmT0_T1_T2_T3_T4_T5_mmT6_P12ihipStream_tbEUlT_E0_NS1_11comp_targetILNS1_3genE4ELNS1_11target_archE910ELNS1_3gpuE8ELNS1_3repE0EEENS1_30default_config_static_selectorELNS0_4arch9wavefront6targetE0EEEvS10_: ; @_ZN7rocprim17ROCPRIM_400000_NS6detail17trampoline_kernelINS0_14default_configENS1_21merge_config_selectorINS0_5tupleIJyyEEENS0_10empty_typeEEEZNS1_10merge_implIS3_NS0_12zip_iteratorINS5_IJN6thrust23THRUST_200600_302600_NS6detail15normal_iteratorINSC_10device_ptrIKyEEEESI_EEEEESK_NSA_INS5_IJNSE_INSF_IyEEEESM_EEEEEPS7_SP_SP_NSC_11hip_rocprim7__merge17predicate_wrapperIyyNSC_4lessImEEEEEE10hipError_tPvRmT0_T1_T2_T3_T4_T5_mmT6_P12ihipStream_tbEUlT_E0_NS1_11comp_targetILNS1_3genE4ELNS1_11target_archE910ELNS1_3gpuE8ELNS1_3repE0EEENS1_30default_config_static_selectorELNS0_4arch9wavefront6targetE0EEEvS10_
; %bb.0:
	.section	.rodata,"a",@progbits
	.p2align	6, 0x0
	.amdhsa_kernel _ZN7rocprim17ROCPRIM_400000_NS6detail17trampoline_kernelINS0_14default_configENS1_21merge_config_selectorINS0_5tupleIJyyEEENS0_10empty_typeEEEZNS1_10merge_implIS3_NS0_12zip_iteratorINS5_IJN6thrust23THRUST_200600_302600_NS6detail15normal_iteratorINSC_10device_ptrIKyEEEESI_EEEEESK_NSA_INS5_IJNSE_INSF_IyEEEESM_EEEEEPS7_SP_SP_NSC_11hip_rocprim7__merge17predicate_wrapperIyyNSC_4lessImEEEEEE10hipError_tPvRmT0_T1_T2_T3_T4_T5_mmT6_P12ihipStream_tbEUlT_E0_NS1_11comp_targetILNS1_3genE4ELNS1_11target_archE910ELNS1_3gpuE8ELNS1_3repE0EEENS1_30default_config_static_selectorELNS0_4arch9wavefront6targetE0EEEvS10_
		.amdhsa_group_segment_fixed_size 0
		.amdhsa_private_segment_fixed_size 0
		.amdhsa_kernarg_size 112
		.amdhsa_user_sgpr_count 2
		.amdhsa_user_sgpr_dispatch_ptr 0
		.amdhsa_user_sgpr_queue_ptr 0
		.amdhsa_user_sgpr_kernarg_segment_ptr 1
		.amdhsa_user_sgpr_dispatch_id 0
		.amdhsa_user_sgpr_kernarg_preload_length 0
		.amdhsa_user_sgpr_kernarg_preload_offset 0
		.amdhsa_user_sgpr_private_segment_size 0
		.amdhsa_wavefront_size32 1
		.amdhsa_uses_dynamic_stack 0
		.amdhsa_enable_private_segment 0
		.amdhsa_system_sgpr_workgroup_id_x 1
		.amdhsa_system_sgpr_workgroup_id_y 0
		.amdhsa_system_sgpr_workgroup_id_z 0
		.amdhsa_system_sgpr_workgroup_info 0
		.amdhsa_system_vgpr_workitem_id 0
		.amdhsa_next_free_vgpr 1
		.amdhsa_next_free_sgpr 1
		.amdhsa_named_barrier_count 0
		.amdhsa_reserve_vcc 0
		.amdhsa_float_round_mode_32 0
		.amdhsa_float_round_mode_16_64 0
		.amdhsa_float_denorm_mode_32 3
		.amdhsa_float_denorm_mode_16_64 3
		.amdhsa_fp16_overflow 0
		.amdhsa_memory_ordered 1
		.amdhsa_forward_progress 1
		.amdhsa_inst_pref_size 0
		.amdhsa_round_robin_scheduling 0
		.amdhsa_exception_fp_ieee_invalid_op 0
		.amdhsa_exception_fp_denorm_src 0
		.amdhsa_exception_fp_ieee_div_zero 0
		.amdhsa_exception_fp_ieee_overflow 0
		.amdhsa_exception_fp_ieee_underflow 0
		.amdhsa_exception_fp_ieee_inexact 0
		.amdhsa_exception_int_div_zero 0
	.end_amdhsa_kernel
	.section	.text._ZN7rocprim17ROCPRIM_400000_NS6detail17trampoline_kernelINS0_14default_configENS1_21merge_config_selectorINS0_5tupleIJyyEEENS0_10empty_typeEEEZNS1_10merge_implIS3_NS0_12zip_iteratorINS5_IJN6thrust23THRUST_200600_302600_NS6detail15normal_iteratorINSC_10device_ptrIKyEEEESI_EEEEESK_NSA_INS5_IJNSE_INSF_IyEEEESM_EEEEEPS7_SP_SP_NSC_11hip_rocprim7__merge17predicate_wrapperIyyNSC_4lessImEEEEEE10hipError_tPvRmT0_T1_T2_T3_T4_T5_mmT6_P12ihipStream_tbEUlT_E0_NS1_11comp_targetILNS1_3genE4ELNS1_11target_archE910ELNS1_3gpuE8ELNS1_3repE0EEENS1_30default_config_static_selectorELNS0_4arch9wavefront6targetE0EEEvS10_,"axG",@progbits,_ZN7rocprim17ROCPRIM_400000_NS6detail17trampoline_kernelINS0_14default_configENS1_21merge_config_selectorINS0_5tupleIJyyEEENS0_10empty_typeEEEZNS1_10merge_implIS3_NS0_12zip_iteratorINS5_IJN6thrust23THRUST_200600_302600_NS6detail15normal_iteratorINSC_10device_ptrIKyEEEESI_EEEEESK_NSA_INS5_IJNSE_INSF_IyEEEESM_EEEEEPS7_SP_SP_NSC_11hip_rocprim7__merge17predicate_wrapperIyyNSC_4lessImEEEEEE10hipError_tPvRmT0_T1_T2_T3_T4_T5_mmT6_P12ihipStream_tbEUlT_E0_NS1_11comp_targetILNS1_3genE4ELNS1_11target_archE910ELNS1_3gpuE8ELNS1_3repE0EEENS1_30default_config_static_selectorELNS0_4arch9wavefront6targetE0EEEvS10_,comdat
.Lfunc_end472:
	.size	_ZN7rocprim17ROCPRIM_400000_NS6detail17trampoline_kernelINS0_14default_configENS1_21merge_config_selectorINS0_5tupleIJyyEEENS0_10empty_typeEEEZNS1_10merge_implIS3_NS0_12zip_iteratorINS5_IJN6thrust23THRUST_200600_302600_NS6detail15normal_iteratorINSC_10device_ptrIKyEEEESI_EEEEESK_NSA_INS5_IJNSE_INSF_IyEEEESM_EEEEEPS7_SP_SP_NSC_11hip_rocprim7__merge17predicate_wrapperIyyNSC_4lessImEEEEEE10hipError_tPvRmT0_T1_T2_T3_T4_T5_mmT6_P12ihipStream_tbEUlT_E0_NS1_11comp_targetILNS1_3genE4ELNS1_11target_archE910ELNS1_3gpuE8ELNS1_3repE0EEENS1_30default_config_static_selectorELNS0_4arch9wavefront6targetE0EEEvS10_, .Lfunc_end472-_ZN7rocprim17ROCPRIM_400000_NS6detail17trampoline_kernelINS0_14default_configENS1_21merge_config_selectorINS0_5tupleIJyyEEENS0_10empty_typeEEEZNS1_10merge_implIS3_NS0_12zip_iteratorINS5_IJN6thrust23THRUST_200600_302600_NS6detail15normal_iteratorINSC_10device_ptrIKyEEEESI_EEEEESK_NSA_INS5_IJNSE_INSF_IyEEEESM_EEEEEPS7_SP_SP_NSC_11hip_rocprim7__merge17predicate_wrapperIyyNSC_4lessImEEEEEE10hipError_tPvRmT0_T1_T2_T3_T4_T5_mmT6_P12ihipStream_tbEUlT_E0_NS1_11comp_targetILNS1_3genE4ELNS1_11target_archE910ELNS1_3gpuE8ELNS1_3repE0EEENS1_30default_config_static_selectorELNS0_4arch9wavefront6targetE0EEEvS10_
                                        ; -- End function
	.set _ZN7rocprim17ROCPRIM_400000_NS6detail17trampoline_kernelINS0_14default_configENS1_21merge_config_selectorINS0_5tupleIJyyEEENS0_10empty_typeEEEZNS1_10merge_implIS3_NS0_12zip_iteratorINS5_IJN6thrust23THRUST_200600_302600_NS6detail15normal_iteratorINSC_10device_ptrIKyEEEESI_EEEEESK_NSA_INS5_IJNSE_INSF_IyEEEESM_EEEEEPS7_SP_SP_NSC_11hip_rocprim7__merge17predicate_wrapperIyyNSC_4lessImEEEEEE10hipError_tPvRmT0_T1_T2_T3_T4_T5_mmT6_P12ihipStream_tbEUlT_E0_NS1_11comp_targetILNS1_3genE4ELNS1_11target_archE910ELNS1_3gpuE8ELNS1_3repE0EEENS1_30default_config_static_selectorELNS0_4arch9wavefront6targetE0EEEvS10_.num_vgpr, 0
	.set _ZN7rocprim17ROCPRIM_400000_NS6detail17trampoline_kernelINS0_14default_configENS1_21merge_config_selectorINS0_5tupleIJyyEEENS0_10empty_typeEEEZNS1_10merge_implIS3_NS0_12zip_iteratorINS5_IJN6thrust23THRUST_200600_302600_NS6detail15normal_iteratorINSC_10device_ptrIKyEEEESI_EEEEESK_NSA_INS5_IJNSE_INSF_IyEEEESM_EEEEEPS7_SP_SP_NSC_11hip_rocprim7__merge17predicate_wrapperIyyNSC_4lessImEEEEEE10hipError_tPvRmT0_T1_T2_T3_T4_T5_mmT6_P12ihipStream_tbEUlT_E0_NS1_11comp_targetILNS1_3genE4ELNS1_11target_archE910ELNS1_3gpuE8ELNS1_3repE0EEENS1_30default_config_static_selectorELNS0_4arch9wavefront6targetE0EEEvS10_.num_agpr, 0
	.set _ZN7rocprim17ROCPRIM_400000_NS6detail17trampoline_kernelINS0_14default_configENS1_21merge_config_selectorINS0_5tupleIJyyEEENS0_10empty_typeEEEZNS1_10merge_implIS3_NS0_12zip_iteratorINS5_IJN6thrust23THRUST_200600_302600_NS6detail15normal_iteratorINSC_10device_ptrIKyEEEESI_EEEEESK_NSA_INS5_IJNSE_INSF_IyEEEESM_EEEEEPS7_SP_SP_NSC_11hip_rocprim7__merge17predicate_wrapperIyyNSC_4lessImEEEEEE10hipError_tPvRmT0_T1_T2_T3_T4_T5_mmT6_P12ihipStream_tbEUlT_E0_NS1_11comp_targetILNS1_3genE4ELNS1_11target_archE910ELNS1_3gpuE8ELNS1_3repE0EEENS1_30default_config_static_selectorELNS0_4arch9wavefront6targetE0EEEvS10_.numbered_sgpr, 0
	.set _ZN7rocprim17ROCPRIM_400000_NS6detail17trampoline_kernelINS0_14default_configENS1_21merge_config_selectorINS0_5tupleIJyyEEENS0_10empty_typeEEEZNS1_10merge_implIS3_NS0_12zip_iteratorINS5_IJN6thrust23THRUST_200600_302600_NS6detail15normal_iteratorINSC_10device_ptrIKyEEEESI_EEEEESK_NSA_INS5_IJNSE_INSF_IyEEEESM_EEEEEPS7_SP_SP_NSC_11hip_rocprim7__merge17predicate_wrapperIyyNSC_4lessImEEEEEE10hipError_tPvRmT0_T1_T2_T3_T4_T5_mmT6_P12ihipStream_tbEUlT_E0_NS1_11comp_targetILNS1_3genE4ELNS1_11target_archE910ELNS1_3gpuE8ELNS1_3repE0EEENS1_30default_config_static_selectorELNS0_4arch9wavefront6targetE0EEEvS10_.num_named_barrier, 0
	.set _ZN7rocprim17ROCPRIM_400000_NS6detail17trampoline_kernelINS0_14default_configENS1_21merge_config_selectorINS0_5tupleIJyyEEENS0_10empty_typeEEEZNS1_10merge_implIS3_NS0_12zip_iteratorINS5_IJN6thrust23THRUST_200600_302600_NS6detail15normal_iteratorINSC_10device_ptrIKyEEEESI_EEEEESK_NSA_INS5_IJNSE_INSF_IyEEEESM_EEEEEPS7_SP_SP_NSC_11hip_rocprim7__merge17predicate_wrapperIyyNSC_4lessImEEEEEE10hipError_tPvRmT0_T1_T2_T3_T4_T5_mmT6_P12ihipStream_tbEUlT_E0_NS1_11comp_targetILNS1_3genE4ELNS1_11target_archE910ELNS1_3gpuE8ELNS1_3repE0EEENS1_30default_config_static_selectorELNS0_4arch9wavefront6targetE0EEEvS10_.private_seg_size, 0
	.set _ZN7rocprim17ROCPRIM_400000_NS6detail17trampoline_kernelINS0_14default_configENS1_21merge_config_selectorINS0_5tupleIJyyEEENS0_10empty_typeEEEZNS1_10merge_implIS3_NS0_12zip_iteratorINS5_IJN6thrust23THRUST_200600_302600_NS6detail15normal_iteratorINSC_10device_ptrIKyEEEESI_EEEEESK_NSA_INS5_IJNSE_INSF_IyEEEESM_EEEEEPS7_SP_SP_NSC_11hip_rocprim7__merge17predicate_wrapperIyyNSC_4lessImEEEEEE10hipError_tPvRmT0_T1_T2_T3_T4_T5_mmT6_P12ihipStream_tbEUlT_E0_NS1_11comp_targetILNS1_3genE4ELNS1_11target_archE910ELNS1_3gpuE8ELNS1_3repE0EEENS1_30default_config_static_selectorELNS0_4arch9wavefront6targetE0EEEvS10_.uses_vcc, 0
	.set _ZN7rocprim17ROCPRIM_400000_NS6detail17trampoline_kernelINS0_14default_configENS1_21merge_config_selectorINS0_5tupleIJyyEEENS0_10empty_typeEEEZNS1_10merge_implIS3_NS0_12zip_iteratorINS5_IJN6thrust23THRUST_200600_302600_NS6detail15normal_iteratorINSC_10device_ptrIKyEEEESI_EEEEESK_NSA_INS5_IJNSE_INSF_IyEEEESM_EEEEEPS7_SP_SP_NSC_11hip_rocprim7__merge17predicate_wrapperIyyNSC_4lessImEEEEEE10hipError_tPvRmT0_T1_T2_T3_T4_T5_mmT6_P12ihipStream_tbEUlT_E0_NS1_11comp_targetILNS1_3genE4ELNS1_11target_archE910ELNS1_3gpuE8ELNS1_3repE0EEENS1_30default_config_static_selectorELNS0_4arch9wavefront6targetE0EEEvS10_.uses_flat_scratch, 0
	.set _ZN7rocprim17ROCPRIM_400000_NS6detail17trampoline_kernelINS0_14default_configENS1_21merge_config_selectorINS0_5tupleIJyyEEENS0_10empty_typeEEEZNS1_10merge_implIS3_NS0_12zip_iteratorINS5_IJN6thrust23THRUST_200600_302600_NS6detail15normal_iteratorINSC_10device_ptrIKyEEEESI_EEEEESK_NSA_INS5_IJNSE_INSF_IyEEEESM_EEEEEPS7_SP_SP_NSC_11hip_rocprim7__merge17predicate_wrapperIyyNSC_4lessImEEEEEE10hipError_tPvRmT0_T1_T2_T3_T4_T5_mmT6_P12ihipStream_tbEUlT_E0_NS1_11comp_targetILNS1_3genE4ELNS1_11target_archE910ELNS1_3gpuE8ELNS1_3repE0EEENS1_30default_config_static_selectorELNS0_4arch9wavefront6targetE0EEEvS10_.has_dyn_sized_stack, 0
	.set _ZN7rocprim17ROCPRIM_400000_NS6detail17trampoline_kernelINS0_14default_configENS1_21merge_config_selectorINS0_5tupleIJyyEEENS0_10empty_typeEEEZNS1_10merge_implIS3_NS0_12zip_iteratorINS5_IJN6thrust23THRUST_200600_302600_NS6detail15normal_iteratorINSC_10device_ptrIKyEEEESI_EEEEESK_NSA_INS5_IJNSE_INSF_IyEEEESM_EEEEEPS7_SP_SP_NSC_11hip_rocprim7__merge17predicate_wrapperIyyNSC_4lessImEEEEEE10hipError_tPvRmT0_T1_T2_T3_T4_T5_mmT6_P12ihipStream_tbEUlT_E0_NS1_11comp_targetILNS1_3genE4ELNS1_11target_archE910ELNS1_3gpuE8ELNS1_3repE0EEENS1_30default_config_static_selectorELNS0_4arch9wavefront6targetE0EEEvS10_.has_recursion, 0
	.set _ZN7rocprim17ROCPRIM_400000_NS6detail17trampoline_kernelINS0_14default_configENS1_21merge_config_selectorINS0_5tupleIJyyEEENS0_10empty_typeEEEZNS1_10merge_implIS3_NS0_12zip_iteratorINS5_IJN6thrust23THRUST_200600_302600_NS6detail15normal_iteratorINSC_10device_ptrIKyEEEESI_EEEEESK_NSA_INS5_IJNSE_INSF_IyEEEESM_EEEEEPS7_SP_SP_NSC_11hip_rocprim7__merge17predicate_wrapperIyyNSC_4lessImEEEEEE10hipError_tPvRmT0_T1_T2_T3_T4_T5_mmT6_P12ihipStream_tbEUlT_E0_NS1_11comp_targetILNS1_3genE4ELNS1_11target_archE910ELNS1_3gpuE8ELNS1_3repE0EEENS1_30default_config_static_selectorELNS0_4arch9wavefront6targetE0EEEvS10_.has_indirect_call, 0
	.section	.AMDGPU.csdata,"",@progbits
; Kernel info:
; codeLenInByte = 0
; TotalNumSgprs: 0
; NumVgprs: 0
; ScratchSize: 0
; MemoryBound: 0
; FloatMode: 240
; IeeeMode: 1
; LDSByteSize: 0 bytes/workgroup (compile time only)
; SGPRBlocks: 0
; VGPRBlocks: 0
; NumSGPRsForWavesPerEU: 1
; NumVGPRsForWavesPerEU: 1
; NamedBarCnt: 0
; Occupancy: 16
; WaveLimiterHint : 0
; COMPUTE_PGM_RSRC2:SCRATCH_EN: 0
; COMPUTE_PGM_RSRC2:USER_SGPR: 2
; COMPUTE_PGM_RSRC2:TRAP_HANDLER: 0
; COMPUTE_PGM_RSRC2:TGID_X_EN: 1
; COMPUTE_PGM_RSRC2:TGID_Y_EN: 0
; COMPUTE_PGM_RSRC2:TGID_Z_EN: 0
; COMPUTE_PGM_RSRC2:TIDIG_COMP_CNT: 0
	.section	.text._ZN7rocprim17ROCPRIM_400000_NS6detail17trampoline_kernelINS0_14default_configENS1_21merge_config_selectorINS0_5tupleIJyyEEENS0_10empty_typeEEEZNS1_10merge_implIS3_NS0_12zip_iteratorINS5_IJN6thrust23THRUST_200600_302600_NS6detail15normal_iteratorINSC_10device_ptrIKyEEEESI_EEEEESK_NSA_INS5_IJNSE_INSF_IyEEEESM_EEEEEPS7_SP_SP_NSC_11hip_rocprim7__merge17predicate_wrapperIyyNSC_4lessImEEEEEE10hipError_tPvRmT0_T1_T2_T3_T4_T5_mmT6_P12ihipStream_tbEUlT_E0_NS1_11comp_targetILNS1_3genE3ELNS1_11target_archE908ELNS1_3gpuE7ELNS1_3repE0EEENS1_30default_config_static_selectorELNS0_4arch9wavefront6targetE0EEEvS10_,"axG",@progbits,_ZN7rocprim17ROCPRIM_400000_NS6detail17trampoline_kernelINS0_14default_configENS1_21merge_config_selectorINS0_5tupleIJyyEEENS0_10empty_typeEEEZNS1_10merge_implIS3_NS0_12zip_iteratorINS5_IJN6thrust23THRUST_200600_302600_NS6detail15normal_iteratorINSC_10device_ptrIKyEEEESI_EEEEESK_NSA_INS5_IJNSE_INSF_IyEEEESM_EEEEEPS7_SP_SP_NSC_11hip_rocprim7__merge17predicate_wrapperIyyNSC_4lessImEEEEEE10hipError_tPvRmT0_T1_T2_T3_T4_T5_mmT6_P12ihipStream_tbEUlT_E0_NS1_11comp_targetILNS1_3genE3ELNS1_11target_archE908ELNS1_3gpuE7ELNS1_3repE0EEENS1_30default_config_static_selectorELNS0_4arch9wavefront6targetE0EEEvS10_,comdat
	.protected	_ZN7rocprim17ROCPRIM_400000_NS6detail17trampoline_kernelINS0_14default_configENS1_21merge_config_selectorINS0_5tupleIJyyEEENS0_10empty_typeEEEZNS1_10merge_implIS3_NS0_12zip_iteratorINS5_IJN6thrust23THRUST_200600_302600_NS6detail15normal_iteratorINSC_10device_ptrIKyEEEESI_EEEEESK_NSA_INS5_IJNSE_INSF_IyEEEESM_EEEEEPS7_SP_SP_NSC_11hip_rocprim7__merge17predicate_wrapperIyyNSC_4lessImEEEEEE10hipError_tPvRmT0_T1_T2_T3_T4_T5_mmT6_P12ihipStream_tbEUlT_E0_NS1_11comp_targetILNS1_3genE3ELNS1_11target_archE908ELNS1_3gpuE7ELNS1_3repE0EEENS1_30default_config_static_selectorELNS0_4arch9wavefront6targetE0EEEvS10_ ; -- Begin function _ZN7rocprim17ROCPRIM_400000_NS6detail17trampoline_kernelINS0_14default_configENS1_21merge_config_selectorINS0_5tupleIJyyEEENS0_10empty_typeEEEZNS1_10merge_implIS3_NS0_12zip_iteratorINS5_IJN6thrust23THRUST_200600_302600_NS6detail15normal_iteratorINSC_10device_ptrIKyEEEESI_EEEEESK_NSA_INS5_IJNSE_INSF_IyEEEESM_EEEEEPS7_SP_SP_NSC_11hip_rocprim7__merge17predicate_wrapperIyyNSC_4lessImEEEEEE10hipError_tPvRmT0_T1_T2_T3_T4_T5_mmT6_P12ihipStream_tbEUlT_E0_NS1_11comp_targetILNS1_3genE3ELNS1_11target_archE908ELNS1_3gpuE7ELNS1_3repE0EEENS1_30default_config_static_selectorELNS0_4arch9wavefront6targetE0EEEvS10_
	.globl	_ZN7rocprim17ROCPRIM_400000_NS6detail17trampoline_kernelINS0_14default_configENS1_21merge_config_selectorINS0_5tupleIJyyEEENS0_10empty_typeEEEZNS1_10merge_implIS3_NS0_12zip_iteratorINS5_IJN6thrust23THRUST_200600_302600_NS6detail15normal_iteratorINSC_10device_ptrIKyEEEESI_EEEEESK_NSA_INS5_IJNSE_INSF_IyEEEESM_EEEEEPS7_SP_SP_NSC_11hip_rocprim7__merge17predicate_wrapperIyyNSC_4lessImEEEEEE10hipError_tPvRmT0_T1_T2_T3_T4_T5_mmT6_P12ihipStream_tbEUlT_E0_NS1_11comp_targetILNS1_3genE3ELNS1_11target_archE908ELNS1_3gpuE7ELNS1_3repE0EEENS1_30default_config_static_selectorELNS0_4arch9wavefront6targetE0EEEvS10_
	.p2align	8
	.type	_ZN7rocprim17ROCPRIM_400000_NS6detail17trampoline_kernelINS0_14default_configENS1_21merge_config_selectorINS0_5tupleIJyyEEENS0_10empty_typeEEEZNS1_10merge_implIS3_NS0_12zip_iteratorINS5_IJN6thrust23THRUST_200600_302600_NS6detail15normal_iteratorINSC_10device_ptrIKyEEEESI_EEEEESK_NSA_INS5_IJNSE_INSF_IyEEEESM_EEEEEPS7_SP_SP_NSC_11hip_rocprim7__merge17predicate_wrapperIyyNSC_4lessImEEEEEE10hipError_tPvRmT0_T1_T2_T3_T4_T5_mmT6_P12ihipStream_tbEUlT_E0_NS1_11comp_targetILNS1_3genE3ELNS1_11target_archE908ELNS1_3gpuE7ELNS1_3repE0EEENS1_30default_config_static_selectorELNS0_4arch9wavefront6targetE0EEEvS10_,@function
_ZN7rocprim17ROCPRIM_400000_NS6detail17trampoline_kernelINS0_14default_configENS1_21merge_config_selectorINS0_5tupleIJyyEEENS0_10empty_typeEEEZNS1_10merge_implIS3_NS0_12zip_iteratorINS5_IJN6thrust23THRUST_200600_302600_NS6detail15normal_iteratorINSC_10device_ptrIKyEEEESI_EEEEESK_NSA_INS5_IJNSE_INSF_IyEEEESM_EEEEEPS7_SP_SP_NSC_11hip_rocprim7__merge17predicate_wrapperIyyNSC_4lessImEEEEEE10hipError_tPvRmT0_T1_T2_T3_T4_T5_mmT6_P12ihipStream_tbEUlT_E0_NS1_11comp_targetILNS1_3genE3ELNS1_11target_archE908ELNS1_3gpuE7ELNS1_3repE0EEENS1_30default_config_static_selectorELNS0_4arch9wavefront6targetE0EEEvS10_: ; @_ZN7rocprim17ROCPRIM_400000_NS6detail17trampoline_kernelINS0_14default_configENS1_21merge_config_selectorINS0_5tupleIJyyEEENS0_10empty_typeEEEZNS1_10merge_implIS3_NS0_12zip_iteratorINS5_IJN6thrust23THRUST_200600_302600_NS6detail15normal_iteratorINSC_10device_ptrIKyEEEESI_EEEEESK_NSA_INS5_IJNSE_INSF_IyEEEESM_EEEEEPS7_SP_SP_NSC_11hip_rocprim7__merge17predicate_wrapperIyyNSC_4lessImEEEEEE10hipError_tPvRmT0_T1_T2_T3_T4_T5_mmT6_P12ihipStream_tbEUlT_E0_NS1_11comp_targetILNS1_3genE3ELNS1_11target_archE908ELNS1_3gpuE7ELNS1_3repE0EEENS1_30default_config_static_selectorELNS0_4arch9wavefront6targetE0EEEvS10_
; %bb.0:
	.section	.rodata,"a",@progbits
	.p2align	6, 0x0
	.amdhsa_kernel _ZN7rocprim17ROCPRIM_400000_NS6detail17trampoline_kernelINS0_14default_configENS1_21merge_config_selectorINS0_5tupleIJyyEEENS0_10empty_typeEEEZNS1_10merge_implIS3_NS0_12zip_iteratorINS5_IJN6thrust23THRUST_200600_302600_NS6detail15normal_iteratorINSC_10device_ptrIKyEEEESI_EEEEESK_NSA_INS5_IJNSE_INSF_IyEEEESM_EEEEEPS7_SP_SP_NSC_11hip_rocprim7__merge17predicate_wrapperIyyNSC_4lessImEEEEEE10hipError_tPvRmT0_T1_T2_T3_T4_T5_mmT6_P12ihipStream_tbEUlT_E0_NS1_11comp_targetILNS1_3genE3ELNS1_11target_archE908ELNS1_3gpuE7ELNS1_3repE0EEENS1_30default_config_static_selectorELNS0_4arch9wavefront6targetE0EEEvS10_
		.amdhsa_group_segment_fixed_size 0
		.amdhsa_private_segment_fixed_size 0
		.amdhsa_kernarg_size 112
		.amdhsa_user_sgpr_count 2
		.amdhsa_user_sgpr_dispatch_ptr 0
		.amdhsa_user_sgpr_queue_ptr 0
		.amdhsa_user_sgpr_kernarg_segment_ptr 1
		.amdhsa_user_sgpr_dispatch_id 0
		.amdhsa_user_sgpr_kernarg_preload_length 0
		.amdhsa_user_sgpr_kernarg_preload_offset 0
		.amdhsa_user_sgpr_private_segment_size 0
		.amdhsa_wavefront_size32 1
		.amdhsa_uses_dynamic_stack 0
		.amdhsa_enable_private_segment 0
		.amdhsa_system_sgpr_workgroup_id_x 1
		.amdhsa_system_sgpr_workgroup_id_y 0
		.amdhsa_system_sgpr_workgroup_id_z 0
		.amdhsa_system_sgpr_workgroup_info 0
		.amdhsa_system_vgpr_workitem_id 0
		.amdhsa_next_free_vgpr 1
		.amdhsa_next_free_sgpr 1
		.amdhsa_named_barrier_count 0
		.amdhsa_reserve_vcc 0
		.amdhsa_float_round_mode_32 0
		.amdhsa_float_round_mode_16_64 0
		.amdhsa_float_denorm_mode_32 3
		.amdhsa_float_denorm_mode_16_64 3
		.amdhsa_fp16_overflow 0
		.amdhsa_memory_ordered 1
		.amdhsa_forward_progress 1
		.amdhsa_inst_pref_size 0
		.amdhsa_round_robin_scheduling 0
		.amdhsa_exception_fp_ieee_invalid_op 0
		.amdhsa_exception_fp_denorm_src 0
		.amdhsa_exception_fp_ieee_div_zero 0
		.amdhsa_exception_fp_ieee_overflow 0
		.amdhsa_exception_fp_ieee_underflow 0
		.amdhsa_exception_fp_ieee_inexact 0
		.amdhsa_exception_int_div_zero 0
	.end_amdhsa_kernel
	.section	.text._ZN7rocprim17ROCPRIM_400000_NS6detail17trampoline_kernelINS0_14default_configENS1_21merge_config_selectorINS0_5tupleIJyyEEENS0_10empty_typeEEEZNS1_10merge_implIS3_NS0_12zip_iteratorINS5_IJN6thrust23THRUST_200600_302600_NS6detail15normal_iteratorINSC_10device_ptrIKyEEEESI_EEEEESK_NSA_INS5_IJNSE_INSF_IyEEEESM_EEEEEPS7_SP_SP_NSC_11hip_rocprim7__merge17predicate_wrapperIyyNSC_4lessImEEEEEE10hipError_tPvRmT0_T1_T2_T3_T4_T5_mmT6_P12ihipStream_tbEUlT_E0_NS1_11comp_targetILNS1_3genE3ELNS1_11target_archE908ELNS1_3gpuE7ELNS1_3repE0EEENS1_30default_config_static_selectorELNS0_4arch9wavefront6targetE0EEEvS10_,"axG",@progbits,_ZN7rocprim17ROCPRIM_400000_NS6detail17trampoline_kernelINS0_14default_configENS1_21merge_config_selectorINS0_5tupleIJyyEEENS0_10empty_typeEEEZNS1_10merge_implIS3_NS0_12zip_iteratorINS5_IJN6thrust23THRUST_200600_302600_NS6detail15normal_iteratorINSC_10device_ptrIKyEEEESI_EEEEESK_NSA_INS5_IJNSE_INSF_IyEEEESM_EEEEEPS7_SP_SP_NSC_11hip_rocprim7__merge17predicate_wrapperIyyNSC_4lessImEEEEEE10hipError_tPvRmT0_T1_T2_T3_T4_T5_mmT6_P12ihipStream_tbEUlT_E0_NS1_11comp_targetILNS1_3genE3ELNS1_11target_archE908ELNS1_3gpuE7ELNS1_3repE0EEENS1_30default_config_static_selectorELNS0_4arch9wavefront6targetE0EEEvS10_,comdat
.Lfunc_end473:
	.size	_ZN7rocprim17ROCPRIM_400000_NS6detail17trampoline_kernelINS0_14default_configENS1_21merge_config_selectorINS0_5tupleIJyyEEENS0_10empty_typeEEEZNS1_10merge_implIS3_NS0_12zip_iteratorINS5_IJN6thrust23THRUST_200600_302600_NS6detail15normal_iteratorINSC_10device_ptrIKyEEEESI_EEEEESK_NSA_INS5_IJNSE_INSF_IyEEEESM_EEEEEPS7_SP_SP_NSC_11hip_rocprim7__merge17predicate_wrapperIyyNSC_4lessImEEEEEE10hipError_tPvRmT0_T1_T2_T3_T4_T5_mmT6_P12ihipStream_tbEUlT_E0_NS1_11comp_targetILNS1_3genE3ELNS1_11target_archE908ELNS1_3gpuE7ELNS1_3repE0EEENS1_30default_config_static_selectorELNS0_4arch9wavefront6targetE0EEEvS10_, .Lfunc_end473-_ZN7rocprim17ROCPRIM_400000_NS6detail17trampoline_kernelINS0_14default_configENS1_21merge_config_selectorINS0_5tupleIJyyEEENS0_10empty_typeEEEZNS1_10merge_implIS3_NS0_12zip_iteratorINS5_IJN6thrust23THRUST_200600_302600_NS6detail15normal_iteratorINSC_10device_ptrIKyEEEESI_EEEEESK_NSA_INS5_IJNSE_INSF_IyEEEESM_EEEEEPS7_SP_SP_NSC_11hip_rocprim7__merge17predicate_wrapperIyyNSC_4lessImEEEEEE10hipError_tPvRmT0_T1_T2_T3_T4_T5_mmT6_P12ihipStream_tbEUlT_E0_NS1_11comp_targetILNS1_3genE3ELNS1_11target_archE908ELNS1_3gpuE7ELNS1_3repE0EEENS1_30default_config_static_selectorELNS0_4arch9wavefront6targetE0EEEvS10_
                                        ; -- End function
	.set _ZN7rocprim17ROCPRIM_400000_NS6detail17trampoline_kernelINS0_14default_configENS1_21merge_config_selectorINS0_5tupleIJyyEEENS0_10empty_typeEEEZNS1_10merge_implIS3_NS0_12zip_iteratorINS5_IJN6thrust23THRUST_200600_302600_NS6detail15normal_iteratorINSC_10device_ptrIKyEEEESI_EEEEESK_NSA_INS5_IJNSE_INSF_IyEEEESM_EEEEEPS7_SP_SP_NSC_11hip_rocprim7__merge17predicate_wrapperIyyNSC_4lessImEEEEEE10hipError_tPvRmT0_T1_T2_T3_T4_T5_mmT6_P12ihipStream_tbEUlT_E0_NS1_11comp_targetILNS1_3genE3ELNS1_11target_archE908ELNS1_3gpuE7ELNS1_3repE0EEENS1_30default_config_static_selectorELNS0_4arch9wavefront6targetE0EEEvS10_.num_vgpr, 0
	.set _ZN7rocprim17ROCPRIM_400000_NS6detail17trampoline_kernelINS0_14default_configENS1_21merge_config_selectorINS0_5tupleIJyyEEENS0_10empty_typeEEEZNS1_10merge_implIS3_NS0_12zip_iteratorINS5_IJN6thrust23THRUST_200600_302600_NS6detail15normal_iteratorINSC_10device_ptrIKyEEEESI_EEEEESK_NSA_INS5_IJNSE_INSF_IyEEEESM_EEEEEPS7_SP_SP_NSC_11hip_rocprim7__merge17predicate_wrapperIyyNSC_4lessImEEEEEE10hipError_tPvRmT0_T1_T2_T3_T4_T5_mmT6_P12ihipStream_tbEUlT_E0_NS1_11comp_targetILNS1_3genE3ELNS1_11target_archE908ELNS1_3gpuE7ELNS1_3repE0EEENS1_30default_config_static_selectorELNS0_4arch9wavefront6targetE0EEEvS10_.num_agpr, 0
	.set _ZN7rocprim17ROCPRIM_400000_NS6detail17trampoline_kernelINS0_14default_configENS1_21merge_config_selectorINS0_5tupleIJyyEEENS0_10empty_typeEEEZNS1_10merge_implIS3_NS0_12zip_iteratorINS5_IJN6thrust23THRUST_200600_302600_NS6detail15normal_iteratorINSC_10device_ptrIKyEEEESI_EEEEESK_NSA_INS5_IJNSE_INSF_IyEEEESM_EEEEEPS7_SP_SP_NSC_11hip_rocprim7__merge17predicate_wrapperIyyNSC_4lessImEEEEEE10hipError_tPvRmT0_T1_T2_T3_T4_T5_mmT6_P12ihipStream_tbEUlT_E0_NS1_11comp_targetILNS1_3genE3ELNS1_11target_archE908ELNS1_3gpuE7ELNS1_3repE0EEENS1_30default_config_static_selectorELNS0_4arch9wavefront6targetE0EEEvS10_.numbered_sgpr, 0
	.set _ZN7rocprim17ROCPRIM_400000_NS6detail17trampoline_kernelINS0_14default_configENS1_21merge_config_selectorINS0_5tupleIJyyEEENS0_10empty_typeEEEZNS1_10merge_implIS3_NS0_12zip_iteratorINS5_IJN6thrust23THRUST_200600_302600_NS6detail15normal_iteratorINSC_10device_ptrIKyEEEESI_EEEEESK_NSA_INS5_IJNSE_INSF_IyEEEESM_EEEEEPS7_SP_SP_NSC_11hip_rocprim7__merge17predicate_wrapperIyyNSC_4lessImEEEEEE10hipError_tPvRmT0_T1_T2_T3_T4_T5_mmT6_P12ihipStream_tbEUlT_E0_NS1_11comp_targetILNS1_3genE3ELNS1_11target_archE908ELNS1_3gpuE7ELNS1_3repE0EEENS1_30default_config_static_selectorELNS0_4arch9wavefront6targetE0EEEvS10_.num_named_barrier, 0
	.set _ZN7rocprim17ROCPRIM_400000_NS6detail17trampoline_kernelINS0_14default_configENS1_21merge_config_selectorINS0_5tupleIJyyEEENS0_10empty_typeEEEZNS1_10merge_implIS3_NS0_12zip_iteratorINS5_IJN6thrust23THRUST_200600_302600_NS6detail15normal_iteratorINSC_10device_ptrIKyEEEESI_EEEEESK_NSA_INS5_IJNSE_INSF_IyEEEESM_EEEEEPS7_SP_SP_NSC_11hip_rocprim7__merge17predicate_wrapperIyyNSC_4lessImEEEEEE10hipError_tPvRmT0_T1_T2_T3_T4_T5_mmT6_P12ihipStream_tbEUlT_E0_NS1_11comp_targetILNS1_3genE3ELNS1_11target_archE908ELNS1_3gpuE7ELNS1_3repE0EEENS1_30default_config_static_selectorELNS0_4arch9wavefront6targetE0EEEvS10_.private_seg_size, 0
	.set _ZN7rocprim17ROCPRIM_400000_NS6detail17trampoline_kernelINS0_14default_configENS1_21merge_config_selectorINS0_5tupleIJyyEEENS0_10empty_typeEEEZNS1_10merge_implIS3_NS0_12zip_iteratorINS5_IJN6thrust23THRUST_200600_302600_NS6detail15normal_iteratorINSC_10device_ptrIKyEEEESI_EEEEESK_NSA_INS5_IJNSE_INSF_IyEEEESM_EEEEEPS7_SP_SP_NSC_11hip_rocprim7__merge17predicate_wrapperIyyNSC_4lessImEEEEEE10hipError_tPvRmT0_T1_T2_T3_T4_T5_mmT6_P12ihipStream_tbEUlT_E0_NS1_11comp_targetILNS1_3genE3ELNS1_11target_archE908ELNS1_3gpuE7ELNS1_3repE0EEENS1_30default_config_static_selectorELNS0_4arch9wavefront6targetE0EEEvS10_.uses_vcc, 0
	.set _ZN7rocprim17ROCPRIM_400000_NS6detail17trampoline_kernelINS0_14default_configENS1_21merge_config_selectorINS0_5tupleIJyyEEENS0_10empty_typeEEEZNS1_10merge_implIS3_NS0_12zip_iteratorINS5_IJN6thrust23THRUST_200600_302600_NS6detail15normal_iteratorINSC_10device_ptrIKyEEEESI_EEEEESK_NSA_INS5_IJNSE_INSF_IyEEEESM_EEEEEPS7_SP_SP_NSC_11hip_rocprim7__merge17predicate_wrapperIyyNSC_4lessImEEEEEE10hipError_tPvRmT0_T1_T2_T3_T4_T5_mmT6_P12ihipStream_tbEUlT_E0_NS1_11comp_targetILNS1_3genE3ELNS1_11target_archE908ELNS1_3gpuE7ELNS1_3repE0EEENS1_30default_config_static_selectorELNS0_4arch9wavefront6targetE0EEEvS10_.uses_flat_scratch, 0
	.set _ZN7rocprim17ROCPRIM_400000_NS6detail17trampoline_kernelINS0_14default_configENS1_21merge_config_selectorINS0_5tupleIJyyEEENS0_10empty_typeEEEZNS1_10merge_implIS3_NS0_12zip_iteratorINS5_IJN6thrust23THRUST_200600_302600_NS6detail15normal_iteratorINSC_10device_ptrIKyEEEESI_EEEEESK_NSA_INS5_IJNSE_INSF_IyEEEESM_EEEEEPS7_SP_SP_NSC_11hip_rocprim7__merge17predicate_wrapperIyyNSC_4lessImEEEEEE10hipError_tPvRmT0_T1_T2_T3_T4_T5_mmT6_P12ihipStream_tbEUlT_E0_NS1_11comp_targetILNS1_3genE3ELNS1_11target_archE908ELNS1_3gpuE7ELNS1_3repE0EEENS1_30default_config_static_selectorELNS0_4arch9wavefront6targetE0EEEvS10_.has_dyn_sized_stack, 0
	.set _ZN7rocprim17ROCPRIM_400000_NS6detail17trampoline_kernelINS0_14default_configENS1_21merge_config_selectorINS0_5tupleIJyyEEENS0_10empty_typeEEEZNS1_10merge_implIS3_NS0_12zip_iteratorINS5_IJN6thrust23THRUST_200600_302600_NS6detail15normal_iteratorINSC_10device_ptrIKyEEEESI_EEEEESK_NSA_INS5_IJNSE_INSF_IyEEEESM_EEEEEPS7_SP_SP_NSC_11hip_rocprim7__merge17predicate_wrapperIyyNSC_4lessImEEEEEE10hipError_tPvRmT0_T1_T2_T3_T4_T5_mmT6_P12ihipStream_tbEUlT_E0_NS1_11comp_targetILNS1_3genE3ELNS1_11target_archE908ELNS1_3gpuE7ELNS1_3repE0EEENS1_30default_config_static_selectorELNS0_4arch9wavefront6targetE0EEEvS10_.has_recursion, 0
	.set _ZN7rocprim17ROCPRIM_400000_NS6detail17trampoline_kernelINS0_14default_configENS1_21merge_config_selectorINS0_5tupleIJyyEEENS0_10empty_typeEEEZNS1_10merge_implIS3_NS0_12zip_iteratorINS5_IJN6thrust23THRUST_200600_302600_NS6detail15normal_iteratorINSC_10device_ptrIKyEEEESI_EEEEESK_NSA_INS5_IJNSE_INSF_IyEEEESM_EEEEEPS7_SP_SP_NSC_11hip_rocprim7__merge17predicate_wrapperIyyNSC_4lessImEEEEEE10hipError_tPvRmT0_T1_T2_T3_T4_T5_mmT6_P12ihipStream_tbEUlT_E0_NS1_11comp_targetILNS1_3genE3ELNS1_11target_archE908ELNS1_3gpuE7ELNS1_3repE0EEENS1_30default_config_static_selectorELNS0_4arch9wavefront6targetE0EEEvS10_.has_indirect_call, 0
	.section	.AMDGPU.csdata,"",@progbits
; Kernel info:
; codeLenInByte = 0
; TotalNumSgprs: 0
; NumVgprs: 0
; ScratchSize: 0
; MemoryBound: 0
; FloatMode: 240
; IeeeMode: 1
; LDSByteSize: 0 bytes/workgroup (compile time only)
; SGPRBlocks: 0
; VGPRBlocks: 0
; NumSGPRsForWavesPerEU: 1
; NumVGPRsForWavesPerEU: 1
; NamedBarCnt: 0
; Occupancy: 16
; WaveLimiterHint : 0
; COMPUTE_PGM_RSRC2:SCRATCH_EN: 0
; COMPUTE_PGM_RSRC2:USER_SGPR: 2
; COMPUTE_PGM_RSRC2:TRAP_HANDLER: 0
; COMPUTE_PGM_RSRC2:TGID_X_EN: 1
; COMPUTE_PGM_RSRC2:TGID_Y_EN: 0
; COMPUTE_PGM_RSRC2:TGID_Z_EN: 0
; COMPUTE_PGM_RSRC2:TIDIG_COMP_CNT: 0
	.section	.text._ZN7rocprim17ROCPRIM_400000_NS6detail17trampoline_kernelINS0_14default_configENS1_21merge_config_selectorINS0_5tupleIJyyEEENS0_10empty_typeEEEZNS1_10merge_implIS3_NS0_12zip_iteratorINS5_IJN6thrust23THRUST_200600_302600_NS6detail15normal_iteratorINSC_10device_ptrIKyEEEESI_EEEEESK_NSA_INS5_IJNSE_INSF_IyEEEESM_EEEEEPS7_SP_SP_NSC_11hip_rocprim7__merge17predicate_wrapperIyyNSC_4lessImEEEEEE10hipError_tPvRmT0_T1_T2_T3_T4_T5_mmT6_P12ihipStream_tbEUlT_E0_NS1_11comp_targetILNS1_3genE2ELNS1_11target_archE906ELNS1_3gpuE6ELNS1_3repE0EEENS1_30default_config_static_selectorELNS0_4arch9wavefront6targetE0EEEvS10_,"axG",@progbits,_ZN7rocprim17ROCPRIM_400000_NS6detail17trampoline_kernelINS0_14default_configENS1_21merge_config_selectorINS0_5tupleIJyyEEENS0_10empty_typeEEEZNS1_10merge_implIS3_NS0_12zip_iteratorINS5_IJN6thrust23THRUST_200600_302600_NS6detail15normal_iteratorINSC_10device_ptrIKyEEEESI_EEEEESK_NSA_INS5_IJNSE_INSF_IyEEEESM_EEEEEPS7_SP_SP_NSC_11hip_rocprim7__merge17predicate_wrapperIyyNSC_4lessImEEEEEE10hipError_tPvRmT0_T1_T2_T3_T4_T5_mmT6_P12ihipStream_tbEUlT_E0_NS1_11comp_targetILNS1_3genE2ELNS1_11target_archE906ELNS1_3gpuE6ELNS1_3repE0EEENS1_30default_config_static_selectorELNS0_4arch9wavefront6targetE0EEEvS10_,comdat
	.protected	_ZN7rocprim17ROCPRIM_400000_NS6detail17trampoline_kernelINS0_14default_configENS1_21merge_config_selectorINS0_5tupleIJyyEEENS0_10empty_typeEEEZNS1_10merge_implIS3_NS0_12zip_iteratorINS5_IJN6thrust23THRUST_200600_302600_NS6detail15normal_iteratorINSC_10device_ptrIKyEEEESI_EEEEESK_NSA_INS5_IJNSE_INSF_IyEEEESM_EEEEEPS7_SP_SP_NSC_11hip_rocprim7__merge17predicate_wrapperIyyNSC_4lessImEEEEEE10hipError_tPvRmT0_T1_T2_T3_T4_T5_mmT6_P12ihipStream_tbEUlT_E0_NS1_11comp_targetILNS1_3genE2ELNS1_11target_archE906ELNS1_3gpuE6ELNS1_3repE0EEENS1_30default_config_static_selectorELNS0_4arch9wavefront6targetE0EEEvS10_ ; -- Begin function _ZN7rocprim17ROCPRIM_400000_NS6detail17trampoline_kernelINS0_14default_configENS1_21merge_config_selectorINS0_5tupleIJyyEEENS0_10empty_typeEEEZNS1_10merge_implIS3_NS0_12zip_iteratorINS5_IJN6thrust23THRUST_200600_302600_NS6detail15normal_iteratorINSC_10device_ptrIKyEEEESI_EEEEESK_NSA_INS5_IJNSE_INSF_IyEEEESM_EEEEEPS7_SP_SP_NSC_11hip_rocprim7__merge17predicate_wrapperIyyNSC_4lessImEEEEEE10hipError_tPvRmT0_T1_T2_T3_T4_T5_mmT6_P12ihipStream_tbEUlT_E0_NS1_11comp_targetILNS1_3genE2ELNS1_11target_archE906ELNS1_3gpuE6ELNS1_3repE0EEENS1_30default_config_static_selectorELNS0_4arch9wavefront6targetE0EEEvS10_
	.globl	_ZN7rocprim17ROCPRIM_400000_NS6detail17trampoline_kernelINS0_14default_configENS1_21merge_config_selectorINS0_5tupleIJyyEEENS0_10empty_typeEEEZNS1_10merge_implIS3_NS0_12zip_iteratorINS5_IJN6thrust23THRUST_200600_302600_NS6detail15normal_iteratorINSC_10device_ptrIKyEEEESI_EEEEESK_NSA_INS5_IJNSE_INSF_IyEEEESM_EEEEEPS7_SP_SP_NSC_11hip_rocprim7__merge17predicate_wrapperIyyNSC_4lessImEEEEEE10hipError_tPvRmT0_T1_T2_T3_T4_T5_mmT6_P12ihipStream_tbEUlT_E0_NS1_11comp_targetILNS1_3genE2ELNS1_11target_archE906ELNS1_3gpuE6ELNS1_3repE0EEENS1_30default_config_static_selectorELNS0_4arch9wavefront6targetE0EEEvS10_
	.p2align	8
	.type	_ZN7rocprim17ROCPRIM_400000_NS6detail17trampoline_kernelINS0_14default_configENS1_21merge_config_selectorINS0_5tupleIJyyEEENS0_10empty_typeEEEZNS1_10merge_implIS3_NS0_12zip_iteratorINS5_IJN6thrust23THRUST_200600_302600_NS6detail15normal_iteratorINSC_10device_ptrIKyEEEESI_EEEEESK_NSA_INS5_IJNSE_INSF_IyEEEESM_EEEEEPS7_SP_SP_NSC_11hip_rocprim7__merge17predicate_wrapperIyyNSC_4lessImEEEEEE10hipError_tPvRmT0_T1_T2_T3_T4_T5_mmT6_P12ihipStream_tbEUlT_E0_NS1_11comp_targetILNS1_3genE2ELNS1_11target_archE906ELNS1_3gpuE6ELNS1_3repE0EEENS1_30default_config_static_selectorELNS0_4arch9wavefront6targetE0EEEvS10_,@function
_ZN7rocprim17ROCPRIM_400000_NS6detail17trampoline_kernelINS0_14default_configENS1_21merge_config_selectorINS0_5tupleIJyyEEENS0_10empty_typeEEEZNS1_10merge_implIS3_NS0_12zip_iteratorINS5_IJN6thrust23THRUST_200600_302600_NS6detail15normal_iteratorINSC_10device_ptrIKyEEEESI_EEEEESK_NSA_INS5_IJNSE_INSF_IyEEEESM_EEEEEPS7_SP_SP_NSC_11hip_rocprim7__merge17predicate_wrapperIyyNSC_4lessImEEEEEE10hipError_tPvRmT0_T1_T2_T3_T4_T5_mmT6_P12ihipStream_tbEUlT_E0_NS1_11comp_targetILNS1_3genE2ELNS1_11target_archE906ELNS1_3gpuE6ELNS1_3repE0EEENS1_30default_config_static_selectorELNS0_4arch9wavefront6targetE0EEEvS10_: ; @_ZN7rocprim17ROCPRIM_400000_NS6detail17trampoline_kernelINS0_14default_configENS1_21merge_config_selectorINS0_5tupleIJyyEEENS0_10empty_typeEEEZNS1_10merge_implIS3_NS0_12zip_iteratorINS5_IJN6thrust23THRUST_200600_302600_NS6detail15normal_iteratorINSC_10device_ptrIKyEEEESI_EEEEESK_NSA_INS5_IJNSE_INSF_IyEEEESM_EEEEEPS7_SP_SP_NSC_11hip_rocprim7__merge17predicate_wrapperIyyNSC_4lessImEEEEEE10hipError_tPvRmT0_T1_T2_T3_T4_T5_mmT6_P12ihipStream_tbEUlT_E0_NS1_11comp_targetILNS1_3genE2ELNS1_11target_archE906ELNS1_3gpuE6ELNS1_3repE0EEENS1_30default_config_static_selectorELNS0_4arch9wavefront6targetE0EEEvS10_
; %bb.0:
	.section	.rodata,"a",@progbits
	.p2align	6, 0x0
	.amdhsa_kernel _ZN7rocprim17ROCPRIM_400000_NS6detail17trampoline_kernelINS0_14default_configENS1_21merge_config_selectorINS0_5tupleIJyyEEENS0_10empty_typeEEEZNS1_10merge_implIS3_NS0_12zip_iteratorINS5_IJN6thrust23THRUST_200600_302600_NS6detail15normal_iteratorINSC_10device_ptrIKyEEEESI_EEEEESK_NSA_INS5_IJNSE_INSF_IyEEEESM_EEEEEPS7_SP_SP_NSC_11hip_rocprim7__merge17predicate_wrapperIyyNSC_4lessImEEEEEE10hipError_tPvRmT0_T1_T2_T3_T4_T5_mmT6_P12ihipStream_tbEUlT_E0_NS1_11comp_targetILNS1_3genE2ELNS1_11target_archE906ELNS1_3gpuE6ELNS1_3repE0EEENS1_30default_config_static_selectorELNS0_4arch9wavefront6targetE0EEEvS10_
		.amdhsa_group_segment_fixed_size 0
		.amdhsa_private_segment_fixed_size 0
		.amdhsa_kernarg_size 112
		.amdhsa_user_sgpr_count 2
		.amdhsa_user_sgpr_dispatch_ptr 0
		.amdhsa_user_sgpr_queue_ptr 0
		.amdhsa_user_sgpr_kernarg_segment_ptr 1
		.amdhsa_user_sgpr_dispatch_id 0
		.amdhsa_user_sgpr_kernarg_preload_length 0
		.amdhsa_user_sgpr_kernarg_preload_offset 0
		.amdhsa_user_sgpr_private_segment_size 0
		.amdhsa_wavefront_size32 1
		.amdhsa_uses_dynamic_stack 0
		.amdhsa_enable_private_segment 0
		.amdhsa_system_sgpr_workgroup_id_x 1
		.amdhsa_system_sgpr_workgroup_id_y 0
		.amdhsa_system_sgpr_workgroup_id_z 0
		.amdhsa_system_sgpr_workgroup_info 0
		.amdhsa_system_vgpr_workitem_id 0
		.amdhsa_next_free_vgpr 1
		.amdhsa_next_free_sgpr 1
		.amdhsa_named_barrier_count 0
		.amdhsa_reserve_vcc 0
		.amdhsa_float_round_mode_32 0
		.amdhsa_float_round_mode_16_64 0
		.amdhsa_float_denorm_mode_32 3
		.amdhsa_float_denorm_mode_16_64 3
		.amdhsa_fp16_overflow 0
		.amdhsa_memory_ordered 1
		.amdhsa_forward_progress 1
		.amdhsa_inst_pref_size 0
		.amdhsa_round_robin_scheduling 0
		.amdhsa_exception_fp_ieee_invalid_op 0
		.amdhsa_exception_fp_denorm_src 0
		.amdhsa_exception_fp_ieee_div_zero 0
		.amdhsa_exception_fp_ieee_overflow 0
		.amdhsa_exception_fp_ieee_underflow 0
		.amdhsa_exception_fp_ieee_inexact 0
		.amdhsa_exception_int_div_zero 0
	.end_amdhsa_kernel
	.section	.text._ZN7rocprim17ROCPRIM_400000_NS6detail17trampoline_kernelINS0_14default_configENS1_21merge_config_selectorINS0_5tupleIJyyEEENS0_10empty_typeEEEZNS1_10merge_implIS3_NS0_12zip_iteratorINS5_IJN6thrust23THRUST_200600_302600_NS6detail15normal_iteratorINSC_10device_ptrIKyEEEESI_EEEEESK_NSA_INS5_IJNSE_INSF_IyEEEESM_EEEEEPS7_SP_SP_NSC_11hip_rocprim7__merge17predicate_wrapperIyyNSC_4lessImEEEEEE10hipError_tPvRmT0_T1_T2_T3_T4_T5_mmT6_P12ihipStream_tbEUlT_E0_NS1_11comp_targetILNS1_3genE2ELNS1_11target_archE906ELNS1_3gpuE6ELNS1_3repE0EEENS1_30default_config_static_selectorELNS0_4arch9wavefront6targetE0EEEvS10_,"axG",@progbits,_ZN7rocprim17ROCPRIM_400000_NS6detail17trampoline_kernelINS0_14default_configENS1_21merge_config_selectorINS0_5tupleIJyyEEENS0_10empty_typeEEEZNS1_10merge_implIS3_NS0_12zip_iteratorINS5_IJN6thrust23THRUST_200600_302600_NS6detail15normal_iteratorINSC_10device_ptrIKyEEEESI_EEEEESK_NSA_INS5_IJNSE_INSF_IyEEEESM_EEEEEPS7_SP_SP_NSC_11hip_rocprim7__merge17predicate_wrapperIyyNSC_4lessImEEEEEE10hipError_tPvRmT0_T1_T2_T3_T4_T5_mmT6_P12ihipStream_tbEUlT_E0_NS1_11comp_targetILNS1_3genE2ELNS1_11target_archE906ELNS1_3gpuE6ELNS1_3repE0EEENS1_30default_config_static_selectorELNS0_4arch9wavefront6targetE0EEEvS10_,comdat
.Lfunc_end474:
	.size	_ZN7rocprim17ROCPRIM_400000_NS6detail17trampoline_kernelINS0_14default_configENS1_21merge_config_selectorINS0_5tupleIJyyEEENS0_10empty_typeEEEZNS1_10merge_implIS3_NS0_12zip_iteratorINS5_IJN6thrust23THRUST_200600_302600_NS6detail15normal_iteratorINSC_10device_ptrIKyEEEESI_EEEEESK_NSA_INS5_IJNSE_INSF_IyEEEESM_EEEEEPS7_SP_SP_NSC_11hip_rocprim7__merge17predicate_wrapperIyyNSC_4lessImEEEEEE10hipError_tPvRmT0_T1_T2_T3_T4_T5_mmT6_P12ihipStream_tbEUlT_E0_NS1_11comp_targetILNS1_3genE2ELNS1_11target_archE906ELNS1_3gpuE6ELNS1_3repE0EEENS1_30default_config_static_selectorELNS0_4arch9wavefront6targetE0EEEvS10_, .Lfunc_end474-_ZN7rocprim17ROCPRIM_400000_NS6detail17trampoline_kernelINS0_14default_configENS1_21merge_config_selectorINS0_5tupleIJyyEEENS0_10empty_typeEEEZNS1_10merge_implIS3_NS0_12zip_iteratorINS5_IJN6thrust23THRUST_200600_302600_NS6detail15normal_iteratorINSC_10device_ptrIKyEEEESI_EEEEESK_NSA_INS5_IJNSE_INSF_IyEEEESM_EEEEEPS7_SP_SP_NSC_11hip_rocprim7__merge17predicate_wrapperIyyNSC_4lessImEEEEEE10hipError_tPvRmT0_T1_T2_T3_T4_T5_mmT6_P12ihipStream_tbEUlT_E0_NS1_11comp_targetILNS1_3genE2ELNS1_11target_archE906ELNS1_3gpuE6ELNS1_3repE0EEENS1_30default_config_static_selectorELNS0_4arch9wavefront6targetE0EEEvS10_
                                        ; -- End function
	.set _ZN7rocprim17ROCPRIM_400000_NS6detail17trampoline_kernelINS0_14default_configENS1_21merge_config_selectorINS0_5tupleIJyyEEENS0_10empty_typeEEEZNS1_10merge_implIS3_NS0_12zip_iteratorINS5_IJN6thrust23THRUST_200600_302600_NS6detail15normal_iteratorINSC_10device_ptrIKyEEEESI_EEEEESK_NSA_INS5_IJNSE_INSF_IyEEEESM_EEEEEPS7_SP_SP_NSC_11hip_rocprim7__merge17predicate_wrapperIyyNSC_4lessImEEEEEE10hipError_tPvRmT0_T1_T2_T3_T4_T5_mmT6_P12ihipStream_tbEUlT_E0_NS1_11comp_targetILNS1_3genE2ELNS1_11target_archE906ELNS1_3gpuE6ELNS1_3repE0EEENS1_30default_config_static_selectorELNS0_4arch9wavefront6targetE0EEEvS10_.num_vgpr, 0
	.set _ZN7rocprim17ROCPRIM_400000_NS6detail17trampoline_kernelINS0_14default_configENS1_21merge_config_selectorINS0_5tupleIJyyEEENS0_10empty_typeEEEZNS1_10merge_implIS3_NS0_12zip_iteratorINS5_IJN6thrust23THRUST_200600_302600_NS6detail15normal_iteratorINSC_10device_ptrIKyEEEESI_EEEEESK_NSA_INS5_IJNSE_INSF_IyEEEESM_EEEEEPS7_SP_SP_NSC_11hip_rocprim7__merge17predicate_wrapperIyyNSC_4lessImEEEEEE10hipError_tPvRmT0_T1_T2_T3_T4_T5_mmT6_P12ihipStream_tbEUlT_E0_NS1_11comp_targetILNS1_3genE2ELNS1_11target_archE906ELNS1_3gpuE6ELNS1_3repE0EEENS1_30default_config_static_selectorELNS0_4arch9wavefront6targetE0EEEvS10_.num_agpr, 0
	.set _ZN7rocprim17ROCPRIM_400000_NS6detail17trampoline_kernelINS0_14default_configENS1_21merge_config_selectorINS0_5tupleIJyyEEENS0_10empty_typeEEEZNS1_10merge_implIS3_NS0_12zip_iteratorINS5_IJN6thrust23THRUST_200600_302600_NS6detail15normal_iteratorINSC_10device_ptrIKyEEEESI_EEEEESK_NSA_INS5_IJNSE_INSF_IyEEEESM_EEEEEPS7_SP_SP_NSC_11hip_rocprim7__merge17predicate_wrapperIyyNSC_4lessImEEEEEE10hipError_tPvRmT0_T1_T2_T3_T4_T5_mmT6_P12ihipStream_tbEUlT_E0_NS1_11comp_targetILNS1_3genE2ELNS1_11target_archE906ELNS1_3gpuE6ELNS1_3repE0EEENS1_30default_config_static_selectorELNS0_4arch9wavefront6targetE0EEEvS10_.numbered_sgpr, 0
	.set _ZN7rocprim17ROCPRIM_400000_NS6detail17trampoline_kernelINS0_14default_configENS1_21merge_config_selectorINS0_5tupleIJyyEEENS0_10empty_typeEEEZNS1_10merge_implIS3_NS0_12zip_iteratorINS5_IJN6thrust23THRUST_200600_302600_NS6detail15normal_iteratorINSC_10device_ptrIKyEEEESI_EEEEESK_NSA_INS5_IJNSE_INSF_IyEEEESM_EEEEEPS7_SP_SP_NSC_11hip_rocprim7__merge17predicate_wrapperIyyNSC_4lessImEEEEEE10hipError_tPvRmT0_T1_T2_T3_T4_T5_mmT6_P12ihipStream_tbEUlT_E0_NS1_11comp_targetILNS1_3genE2ELNS1_11target_archE906ELNS1_3gpuE6ELNS1_3repE0EEENS1_30default_config_static_selectorELNS0_4arch9wavefront6targetE0EEEvS10_.num_named_barrier, 0
	.set _ZN7rocprim17ROCPRIM_400000_NS6detail17trampoline_kernelINS0_14default_configENS1_21merge_config_selectorINS0_5tupleIJyyEEENS0_10empty_typeEEEZNS1_10merge_implIS3_NS0_12zip_iteratorINS5_IJN6thrust23THRUST_200600_302600_NS6detail15normal_iteratorINSC_10device_ptrIKyEEEESI_EEEEESK_NSA_INS5_IJNSE_INSF_IyEEEESM_EEEEEPS7_SP_SP_NSC_11hip_rocprim7__merge17predicate_wrapperIyyNSC_4lessImEEEEEE10hipError_tPvRmT0_T1_T2_T3_T4_T5_mmT6_P12ihipStream_tbEUlT_E0_NS1_11comp_targetILNS1_3genE2ELNS1_11target_archE906ELNS1_3gpuE6ELNS1_3repE0EEENS1_30default_config_static_selectorELNS0_4arch9wavefront6targetE0EEEvS10_.private_seg_size, 0
	.set _ZN7rocprim17ROCPRIM_400000_NS6detail17trampoline_kernelINS0_14default_configENS1_21merge_config_selectorINS0_5tupleIJyyEEENS0_10empty_typeEEEZNS1_10merge_implIS3_NS0_12zip_iteratorINS5_IJN6thrust23THRUST_200600_302600_NS6detail15normal_iteratorINSC_10device_ptrIKyEEEESI_EEEEESK_NSA_INS5_IJNSE_INSF_IyEEEESM_EEEEEPS7_SP_SP_NSC_11hip_rocprim7__merge17predicate_wrapperIyyNSC_4lessImEEEEEE10hipError_tPvRmT0_T1_T2_T3_T4_T5_mmT6_P12ihipStream_tbEUlT_E0_NS1_11comp_targetILNS1_3genE2ELNS1_11target_archE906ELNS1_3gpuE6ELNS1_3repE0EEENS1_30default_config_static_selectorELNS0_4arch9wavefront6targetE0EEEvS10_.uses_vcc, 0
	.set _ZN7rocprim17ROCPRIM_400000_NS6detail17trampoline_kernelINS0_14default_configENS1_21merge_config_selectorINS0_5tupleIJyyEEENS0_10empty_typeEEEZNS1_10merge_implIS3_NS0_12zip_iteratorINS5_IJN6thrust23THRUST_200600_302600_NS6detail15normal_iteratorINSC_10device_ptrIKyEEEESI_EEEEESK_NSA_INS5_IJNSE_INSF_IyEEEESM_EEEEEPS7_SP_SP_NSC_11hip_rocprim7__merge17predicate_wrapperIyyNSC_4lessImEEEEEE10hipError_tPvRmT0_T1_T2_T3_T4_T5_mmT6_P12ihipStream_tbEUlT_E0_NS1_11comp_targetILNS1_3genE2ELNS1_11target_archE906ELNS1_3gpuE6ELNS1_3repE0EEENS1_30default_config_static_selectorELNS0_4arch9wavefront6targetE0EEEvS10_.uses_flat_scratch, 0
	.set _ZN7rocprim17ROCPRIM_400000_NS6detail17trampoline_kernelINS0_14default_configENS1_21merge_config_selectorINS0_5tupleIJyyEEENS0_10empty_typeEEEZNS1_10merge_implIS3_NS0_12zip_iteratorINS5_IJN6thrust23THRUST_200600_302600_NS6detail15normal_iteratorINSC_10device_ptrIKyEEEESI_EEEEESK_NSA_INS5_IJNSE_INSF_IyEEEESM_EEEEEPS7_SP_SP_NSC_11hip_rocprim7__merge17predicate_wrapperIyyNSC_4lessImEEEEEE10hipError_tPvRmT0_T1_T2_T3_T4_T5_mmT6_P12ihipStream_tbEUlT_E0_NS1_11comp_targetILNS1_3genE2ELNS1_11target_archE906ELNS1_3gpuE6ELNS1_3repE0EEENS1_30default_config_static_selectorELNS0_4arch9wavefront6targetE0EEEvS10_.has_dyn_sized_stack, 0
	.set _ZN7rocprim17ROCPRIM_400000_NS6detail17trampoline_kernelINS0_14default_configENS1_21merge_config_selectorINS0_5tupleIJyyEEENS0_10empty_typeEEEZNS1_10merge_implIS3_NS0_12zip_iteratorINS5_IJN6thrust23THRUST_200600_302600_NS6detail15normal_iteratorINSC_10device_ptrIKyEEEESI_EEEEESK_NSA_INS5_IJNSE_INSF_IyEEEESM_EEEEEPS7_SP_SP_NSC_11hip_rocprim7__merge17predicate_wrapperIyyNSC_4lessImEEEEEE10hipError_tPvRmT0_T1_T2_T3_T4_T5_mmT6_P12ihipStream_tbEUlT_E0_NS1_11comp_targetILNS1_3genE2ELNS1_11target_archE906ELNS1_3gpuE6ELNS1_3repE0EEENS1_30default_config_static_selectorELNS0_4arch9wavefront6targetE0EEEvS10_.has_recursion, 0
	.set _ZN7rocprim17ROCPRIM_400000_NS6detail17trampoline_kernelINS0_14default_configENS1_21merge_config_selectorINS0_5tupleIJyyEEENS0_10empty_typeEEEZNS1_10merge_implIS3_NS0_12zip_iteratorINS5_IJN6thrust23THRUST_200600_302600_NS6detail15normal_iteratorINSC_10device_ptrIKyEEEESI_EEEEESK_NSA_INS5_IJNSE_INSF_IyEEEESM_EEEEEPS7_SP_SP_NSC_11hip_rocprim7__merge17predicate_wrapperIyyNSC_4lessImEEEEEE10hipError_tPvRmT0_T1_T2_T3_T4_T5_mmT6_P12ihipStream_tbEUlT_E0_NS1_11comp_targetILNS1_3genE2ELNS1_11target_archE906ELNS1_3gpuE6ELNS1_3repE0EEENS1_30default_config_static_selectorELNS0_4arch9wavefront6targetE0EEEvS10_.has_indirect_call, 0
	.section	.AMDGPU.csdata,"",@progbits
; Kernel info:
; codeLenInByte = 0
; TotalNumSgprs: 0
; NumVgprs: 0
; ScratchSize: 0
; MemoryBound: 0
; FloatMode: 240
; IeeeMode: 1
; LDSByteSize: 0 bytes/workgroup (compile time only)
; SGPRBlocks: 0
; VGPRBlocks: 0
; NumSGPRsForWavesPerEU: 1
; NumVGPRsForWavesPerEU: 1
; NamedBarCnt: 0
; Occupancy: 16
; WaveLimiterHint : 0
; COMPUTE_PGM_RSRC2:SCRATCH_EN: 0
; COMPUTE_PGM_RSRC2:USER_SGPR: 2
; COMPUTE_PGM_RSRC2:TRAP_HANDLER: 0
; COMPUTE_PGM_RSRC2:TGID_X_EN: 1
; COMPUTE_PGM_RSRC2:TGID_Y_EN: 0
; COMPUTE_PGM_RSRC2:TGID_Z_EN: 0
; COMPUTE_PGM_RSRC2:TIDIG_COMP_CNT: 0
	.section	.text._ZN7rocprim17ROCPRIM_400000_NS6detail17trampoline_kernelINS0_14default_configENS1_21merge_config_selectorINS0_5tupleIJyyEEENS0_10empty_typeEEEZNS1_10merge_implIS3_NS0_12zip_iteratorINS5_IJN6thrust23THRUST_200600_302600_NS6detail15normal_iteratorINSC_10device_ptrIKyEEEESI_EEEEESK_NSA_INS5_IJNSE_INSF_IyEEEESM_EEEEEPS7_SP_SP_NSC_11hip_rocprim7__merge17predicate_wrapperIyyNSC_4lessImEEEEEE10hipError_tPvRmT0_T1_T2_T3_T4_T5_mmT6_P12ihipStream_tbEUlT_E0_NS1_11comp_targetILNS1_3genE10ELNS1_11target_archE1201ELNS1_3gpuE5ELNS1_3repE0EEENS1_30default_config_static_selectorELNS0_4arch9wavefront6targetE0EEEvS10_,"axG",@progbits,_ZN7rocprim17ROCPRIM_400000_NS6detail17trampoline_kernelINS0_14default_configENS1_21merge_config_selectorINS0_5tupleIJyyEEENS0_10empty_typeEEEZNS1_10merge_implIS3_NS0_12zip_iteratorINS5_IJN6thrust23THRUST_200600_302600_NS6detail15normal_iteratorINSC_10device_ptrIKyEEEESI_EEEEESK_NSA_INS5_IJNSE_INSF_IyEEEESM_EEEEEPS7_SP_SP_NSC_11hip_rocprim7__merge17predicate_wrapperIyyNSC_4lessImEEEEEE10hipError_tPvRmT0_T1_T2_T3_T4_T5_mmT6_P12ihipStream_tbEUlT_E0_NS1_11comp_targetILNS1_3genE10ELNS1_11target_archE1201ELNS1_3gpuE5ELNS1_3repE0EEENS1_30default_config_static_selectorELNS0_4arch9wavefront6targetE0EEEvS10_,comdat
	.protected	_ZN7rocprim17ROCPRIM_400000_NS6detail17trampoline_kernelINS0_14default_configENS1_21merge_config_selectorINS0_5tupleIJyyEEENS0_10empty_typeEEEZNS1_10merge_implIS3_NS0_12zip_iteratorINS5_IJN6thrust23THRUST_200600_302600_NS6detail15normal_iteratorINSC_10device_ptrIKyEEEESI_EEEEESK_NSA_INS5_IJNSE_INSF_IyEEEESM_EEEEEPS7_SP_SP_NSC_11hip_rocprim7__merge17predicate_wrapperIyyNSC_4lessImEEEEEE10hipError_tPvRmT0_T1_T2_T3_T4_T5_mmT6_P12ihipStream_tbEUlT_E0_NS1_11comp_targetILNS1_3genE10ELNS1_11target_archE1201ELNS1_3gpuE5ELNS1_3repE0EEENS1_30default_config_static_selectorELNS0_4arch9wavefront6targetE0EEEvS10_ ; -- Begin function _ZN7rocprim17ROCPRIM_400000_NS6detail17trampoline_kernelINS0_14default_configENS1_21merge_config_selectorINS0_5tupleIJyyEEENS0_10empty_typeEEEZNS1_10merge_implIS3_NS0_12zip_iteratorINS5_IJN6thrust23THRUST_200600_302600_NS6detail15normal_iteratorINSC_10device_ptrIKyEEEESI_EEEEESK_NSA_INS5_IJNSE_INSF_IyEEEESM_EEEEEPS7_SP_SP_NSC_11hip_rocprim7__merge17predicate_wrapperIyyNSC_4lessImEEEEEE10hipError_tPvRmT0_T1_T2_T3_T4_T5_mmT6_P12ihipStream_tbEUlT_E0_NS1_11comp_targetILNS1_3genE10ELNS1_11target_archE1201ELNS1_3gpuE5ELNS1_3repE0EEENS1_30default_config_static_selectorELNS0_4arch9wavefront6targetE0EEEvS10_
	.globl	_ZN7rocprim17ROCPRIM_400000_NS6detail17trampoline_kernelINS0_14default_configENS1_21merge_config_selectorINS0_5tupleIJyyEEENS0_10empty_typeEEEZNS1_10merge_implIS3_NS0_12zip_iteratorINS5_IJN6thrust23THRUST_200600_302600_NS6detail15normal_iteratorINSC_10device_ptrIKyEEEESI_EEEEESK_NSA_INS5_IJNSE_INSF_IyEEEESM_EEEEEPS7_SP_SP_NSC_11hip_rocprim7__merge17predicate_wrapperIyyNSC_4lessImEEEEEE10hipError_tPvRmT0_T1_T2_T3_T4_T5_mmT6_P12ihipStream_tbEUlT_E0_NS1_11comp_targetILNS1_3genE10ELNS1_11target_archE1201ELNS1_3gpuE5ELNS1_3repE0EEENS1_30default_config_static_selectorELNS0_4arch9wavefront6targetE0EEEvS10_
	.p2align	8
	.type	_ZN7rocprim17ROCPRIM_400000_NS6detail17trampoline_kernelINS0_14default_configENS1_21merge_config_selectorINS0_5tupleIJyyEEENS0_10empty_typeEEEZNS1_10merge_implIS3_NS0_12zip_iteratorINS5_IJN6thrust23THRUST_200600_302600_NS6detail15normal_iteratorINSC_10device_ptrIKyEEEESI_EEEEESK_NSA_INS5_IJNSE_INSF_IyEEEESM_EEEEEPS7_SP_SP_NSC_11hip_rocprim7__merge17predicate_wrapperIyyNSC_4lessImEEEEEE10hipError_tPvRmT0_T1_T2_T3_T4_T5_mmT6_P12ihipStream_tbEUlT_E0_NS1_11comp_targetILNS1_3genE10ELNS1_11target_archE1201ELNS1_3gpuE5ELNS1_3repE0EEENS1_30default_config_static_selectorELNS0_4arch9wavefront6targetE0EEEvS10_,@function
_ZN7rocprim17ROCPRIM_400000_NS6detail17trampoline_kernelINS0_14default_configENS1_21merge_config_selectorINS0_5tupleIJyyEEENS0_10empty_typeEEEZNS1_10merge_implIS3_NS0_12zip_iteratorINS5_IJN6thrust23THRUST_200600_302600_NS6detail15normal_iteratorINSC_10device_ptrIKyEEEESI_EEEEESK_NSA_INS5_IJNSE_INSF_IyEEEESM_EEEEEPS7_SP_SP_NSC_11hip_rocprim7__merge17predicate_wrapperIyyNSC_4lessImEEEEEE10hipError_tPvRmT0_T1_T2_T3_T4_T5_mmT6_P12ihipStream_tbEUlT_E0_NS1_11comp_targetILNS1_3genE10ELNS1_11target_archE1201ELNS1_3gpuE5ELNS1_3repE0EEENS1_30default_config_static_selectorELNS0_4arch9wavefront6targetE0EEEvS10_: ; @_ZN7rocprim17ROCPRIM_400000_NS6detail17trampoline_kernelINS0_14default_configENS1_21merge_config_selectorINS0_5tupleIJyyEEENS0_10empty_typeEEEZNS1_10merge_implIS3_NS0_12zip_iteratorINS5_IJN6thrust23THRUST_200600_302600_NS6detail15normal_iteratorINSC_10device_ptrIKyEEEESI_EEEEESK_NSA_INS5_IJNSE_INSF_IyEEEESM_EEEEEPS7_SP_SP_NSC_11hip_rocprim7__merge17predicate_wrapperIyyNSC_4lessImEEEEEE10hipError_tPvRmT0_T1_T2_T3_T4_T5_mmT6_P12ihipStream_tbEUlT_E0_NS1_11comp_targetILNS1_3genE10ELNS1_11target_archE1201ELNS1_3gpuE5ELNS1_3repE0EEENS1_30default_config_static_selectorELNS0_4arch9wavefront6targetE0EEEvS10_
; %bb.0:
	.section	.rodata,"a",@progbits
	.p2align	6, 0x0
	.amdhsa_kernel _ZN7rocprim17ROCPRIM_400000_NS6detail17trampoline_kernelINS0_14default_configENS1_21merge_config_selectorINS0_5tupleIJyyEEENS0_10empty_typeEEEZNS1_10merge_implIS3_NS0_12zip_iteratorINS5_IJN6thrust23THRUST_200600_302600_NS6detail15normal_iteratorINSC_10device_ptrIKyEEEESI_EEEEESK_NSA_INS5_IJNSE_INSF_IyEEEESM_EEEEEPS7_SP_SP_NSC_11hip_rocprim7__merge17predicate_wrapperIyyNSC_4lessImEEEEEE10hipError_tPvRmT0_T1_T2_T3_T4_T5_mmT6_P12ihipStream_tbEUlT_E0_NS1_11comp_targetILNS1_3genE10ELNS1_11target_archE1201ELNS1_3gpuE5ELNS1_3repE0EEENS1_30default_config_static_selectorELNS0_4arch9wavefront6targetE0EEEvS10_
		.amdhsa_group_segment_fixed_size 0
		.amdhsa_private_segment_fixed_size 0
		.amdhsa_kernarg_size 112
		.amdhsa_user_sgpr_count 2
		.amdhsa_user_sgpr_dispatch_ptr 0
		.amdhsa_user_sgpr_queue_ptr 0
		.amdhsa_user_sgpr_kernarg_segment_ptr 1
		.amdhsa_user_sgpr_dispatch_id 0
		.amdhsa_user_sgpr_kernarg_preload_length 0
		.amdhsa_user_sgpr_kernarg_preload_offset 0
		.amdhsa_user_sgpr_private_segment_size 0
		.amdhsa_wavefront_size32 1
		.amdhsa_uses_dynamic_stack 0
		.amdhsa_enable_private_segment 0
		.amdhsa_system_sgpr_workgroup_id_x 1
		.amdhsa_system_sgpr_workgroup_id_y 0
		.amdhsa_system_sgpr_workgroup_id_z 0
		.amdhsa_system_sgpr_workgroup_info 0
		.amdhsa_system_vgpr_workitem_id 0
		.amdhsa_next_free_vgpr 1
		.amdhsa_next_free_sgpr 1
		.amdhsa_named_barrier_count 0
		.amdhsa_reserve_vcc 0
		.amdhsa_float_round_mode_32 0
		.amdhsa_float_round_mode_16_64 0
		.amdhsa_float_denorm_mode_32 3
		.amdhsa_float_denorm_mode_16_64 3
		.amdhsa_fp16_overflow 0
		.amdhsa_memory_ordered 1
		.amdhsa_forward_progress 1
		.amdhsa_inst_pref_size 0
		.amdhsa_round_robin_scheduling 0
		.amdhsa_exception_fp_ieee_invalid_op 0
		.amdhsa_exception_fp_denorm_src 0
		.amdhsa_exception_fp_ieee_div_zero 0
		.amdhsa_exception_fp_ieee_overflow 0
		.amdhsa_exception_fp_ieee_underflow 0
		.amdhsa_exception_fp_ieee_inexact 0
		.amdhsa_exception_int_div_zero 0
	.end_amdhsa_kernel
	.section	.text._ZN7rocprim17ROCPRIM_400000_NS6detail17trampoline_kernelINS0_14default_configENS1_21merge_config_selectorINS0_5tupleIJyyEEENS0_10empty_typeEEEZNS1_10merge_implIS3_NS0_12zip_iteratorINS5_IJN6thrust23THRUST_200600_302600_NS6detail15normal_iteratorINSC_10device_ptrIKyEEEESI_EEEEESK_NSA_INS5_IJNSE_INSF_IyEEEESM_EEEEEPS7_SP_SP_NSC_11hip_rocprim7__merge17predicate_wrapperIyyNSC_4lessImEEEEEE10hipError_tPvRmT0_T1_T2_T3_T4_T5_mmT6_P12ihipStream_tbEUlT_E0_NS1_11comp_targetILNS1_3genE10ELNS1_11target_archE1201ELNS1_3gpuE5ELNS1_3repE0EEENS1_30default_config_static_selectorELNS0_4arch9wavefront6targetE0EEEvS10_,"axG",@progbits,_ZN7rocprim17ROCPRIM_400000_NS6detail17trampoline_kernelINS0_14default_configENS1_21merge_config_selectorINS0_5tupleIJyyEEENS0_10empty_typeEEEZNS1_10merge_implIS3_NS0_12zip_iteratorINS5_IJN6thrust23THRUST_200600_302600_NS6detail15normal_iteratorINSC_10device_ptrIKyEEEESI_EEEEESK_NSA_INS5_IJNSE_INSF_IyEEEESM_EEEEEPS7_SP_SP_NSC_11hip_rocprim7__merge17predicate_wrapperIyyNSC_4lessImEEEEEE10hipError_tPvRmT0_T1_T2_T3_T4_T5_mmT6_P12ihipStream_tbEUlT_E0_NS1_11comp_targetILNS1_3genE10ELNS1_11target_archE1201ELNS1_3gpuE5ELNS1_3repE0EEENS1_30default_config_static_selectorELNS0_4arch9wavefront6targetE0EEEvS10_,comdat
.Lfunc_end475:
	.size	_ZN7rocprim17ROCPRIM_400000_NS6detail17trampoline_kernelINS0_14default_configENS1_21merge_config_selectorINS0_5tupleIJyyEEENS0_10empty_typeEEEZNS1_10merge_implIS3_NS0_12zip_iteratorINS5_IJN6thrust23THRUST_200600_302600_NS6detail15normal_iteratorINSC_10device_ptrIKyEEEESI_EEEEESK_NSA_INS5_IJNSE_INSF_IyEEEESM_EEEEEPS7_SP_SP_NSC_11hip_rocprim7__merge17predicate_wrapperIyyNSC_4lessImEEEEEE10hipError_tPvRmT0_T1_T2_T3_T4_T5_mmT6_P12ihipStream_tbEUlT_E0_NS1_11comp_targetILNS1_3genE10ELNS1_11target_archE1201ELNS1_3gpuE5ELNS1_3repE0EEENS1_30default_config_static_selectorELNS0_4arch9wavefront6targetE0EEEvS10_, .Lfunc_end475-_ZN7rocprim17ROCPRIM_400000_NS6detail17trampoline_kernelINS0_14default_configENS1_21merge_config_selectorINS0_5tupleIJyyEEENS0_10empty_typeEEEZNS1_10merge_implIS3_NS0_12zip_iteratorINS5_IJN6thrust23THRUST_200600_302600_NS6detail15normal_iteratorINSC_10device_ptrIKyEEEESI_EEEEESK_NSA_INS5_IJNSE_INSF_IyEEEESM_EEEEEPS7_SP_SP_NSC_11hip_rocprim7__merge17predicate_wrapperIyyNSC_4lessImEEEEEE10hipError_tPvRmT0_T1_T2_T3_T4_T5_mmT6_P12ihipStream_tbEUlT_E0_NS1_11comp_targetILNS1_3genE10ELNS1_11target_archE1201ELNS1_3gpuE5ELNS1_3repE0EEENS1_30default_config_static_selectorELNS0_4arch9wavefront6targetE0EEEvS10_
                                        ; -- End function
	.set _ZN7rocprim17ROCPRIM_400000_NS6detail17trampoline_kernelINS0_14default_configENS1_21merge_config_selectorINS0_5tupleIJyyEEENS0_10empty_typeEEEZNS1_10merge_implIS3_NS0_12zip_iteratorINS5_IJN6thrust23THRUST_200600_302600_NS6detail15normal_iteratorINSC_10device_ptrIKyEEEESI_EEEEESK_NSA_INS5_IJNSE_INSF_IyEEEESM_EEEEEPS7_SP_SP_NSC_11hip_rocprim7__merge17predicate_wrapperIyyNSC_4lessImEEEEEE10hipError_tPvRmT0_T1_T2_T3_T4_T5_mmT6_P12ihipStream_tbEUlT_E0_NS1_11comp_targetILNS1_3genE10ELNS1_11target_archE1201ELNS1_3gpuE5ELNS1_3repE0EEENS1_30default_config_static_selectorELNS0_4arch9wavefront6targetE0EEEvS10_.num_vgpr, 0
	.set _ZN7rocprim17ROCPRIM_400000_NS6detail17trampoline_kernelINS0_14default_configENS1_21merge_config_selectorINS0_5tupleIJyyEEENS0_10empty_typeEEEZNS1_10merge_implIS3_NS0_12zip_iteratorINS5_IJN6thrust23THRUST_200600_302600_NS6detail15normal_iteratorINSC_10device_ptrIKyEEEESI_EEEEESK_NSA_INS5_IJNSE_INSF_IyEEEESM_EEEEEPS7_SP_SP_NSC_11hip_rocprim7__merge17predicate_wrapperIyyNSC_4lessImEEEEEE10hipError_tPvRmT0_T1_T2_T3_T4_T5_mmT6_P12ihipStream_tbEUlT_E0_NS1_11comp_targetILNS1_3genE10ELNS1_11target_archE1201ELNS1_3gpuE5ELNS1_3repE0EEENS1_30default_config_static_selectorELNS0_4arch9wavefront6targetE0EEEvS10_.num_agpr, 0
	.set _ZN7rocprim17ROCPRIM_400000_NS6detail17trampoline_kernelINS0_14default_configENS1_21merge_config_selectorINS0_5tupleIJyyEEENS0_10empty_typeEEEZNS1_10merge_implIS3_NS0_12zip_iteratorINS5_IJN6thrust23THRUST_200600_302600_NS6detail15normal_iteratorINSC_10device_ptrIKyEEEESI_EEEEESK_NSA_INS5_IJNSE_INSF_IyEEEESM_EEEEEPS7_SP_SP_NSC_11hip_rocprim7__merge17predicate_wrapperIyyNSC_4lessImEEEEEE10hipError_tPvRmT0_T1_T2_T3_T4_T5_mmT6_P12ihipStream_tbEUlT_E0_NS1_11comp_targetILNS1_3genE10ELNS1_11target_archE1201ELNS1_3gpuE5ELNS1_3repE0EEENS1_30default_config_static_selectorELNS0_4arch9wavefront6targetE0EEEvS10_.numbered_sgpr, 0
	.set _ZN7rocprim17ROCPRIM_400000_NS6detail17trampoline_kernelINS0_14default_configENS1_21merge_config_selectorINS0_5tupleIJyyEEENS0_10empty_typeEEEZNS1_10merge_implIS3_NS0_12zip_iteratorINS5_IJN6thrust23THRUST_200600_302600_NS6detail15normal_iteratorINSC_10device_ptrIKyEEEESI_EEEEESK_NSA_INS5_IJNSE_INSF_IyEEEESM_EEEEEPS7_SP_SP_NSC_11hip_rocprim7__merge17predicate_wrapperIyyNSC_4lessImEEEEEE10hipError_tPvRmT0_T1_T2_T3_T4_T5_mmT6_P12ihipStream_tbEUlT_E0_NS1_11comp_targetILNS1_3genE10ELNS1_11target_archE1201ELNS1_3gpuE5ELNS1_3repE0EEENS1_30default_config_static_selectorELNS0_4arch9wavefront6targetE0EEEvS10_.num_named_barrier, 0
	.set _ZN7rocprim17ROCPRIM_400000_NS6detail17trampoline_kernelINS0_14default_configENS1_21merge_config_selectorINS0_5tupleIJyyEEENS0_10empty_typeEEEZNS1_10merge_implIS3_NS0_12zip_iteratorINS5_IJN6thrust23THRUST_200600_302600_NS6detail15normal_iteratorINSC_10device_ptrIKyEEEESI_EEEEESK_NSA_INS5_IJNSE_INSF_IyEEEESM_EEEEEPS7_SP_SP_NSC_11hip_rocprim7__merge17predicate_wrapperIyyNSC_4lessImEEEEEE10hipError_tPvRmT0_T1_T2_T3_T4_T5_mmT6_P12ihipStream_tbEUlT_E0_NS1_11comp_targetILNS1_3genE10ELNS1_11target_archE1201ELNS1_3gpuE5ELNS1_3repE0EEENS1_30default_config_static_selectorELNS0_4arch9wavefront6targetE0EEEvS10_.private_seg_size, 0
	.set _ZN7rocprim17ROCPRIM_400000_NS6detail17trampoline_kernelINS0_14default_configENS1_21merge_config_selectorINS0_5tupleIJyyEEENS0_10empty_typeEEEZNS1_10merge_implIS3_NS0_12zip_iteratorINS5_IJN6thrust23THRUST_200600_302600_NS6detail15normal_iteratorINSC_10device_ptrIKyEEEESI_EEEEESK_NSA_INS5_IJNSE_INSF_IyEEEESM_EEEEEPS7_SP_SP_NSC_11hip_rocprim7__merge17predicate_wrapperIyyNSC_4lessImEEEEEE10hipError_tPvRmT0_T1_T2_T3_T4_T5_mmT6_P12ihipStream_tbEUlT_E0_NS1_11comp_targetILNS1_3genE10ELNS1_11target_archE1201ELNS1_3gpuE5ELNS1_3repE0EEENS1_30default_config_static_selectorELNS0_4arch9wavefront6targetE0EEEvS10_.uses_vcc, 0
	.set _ZN7rocprim17ROCPRIM_400000_NS6detail17trampoline_kernelINS0_14default_configENS1_21merge_config_selectorINS0_5tupleIJyyEEENS0_10empty_typeEEEZNS1_10merge_implIS3_NS0_12zip_iteratorINS5_IJN6thrust23THRUST_200600_302600_NS6detail15normal_iteratorINSC_10device_ptrIKyEEEESI_EEEEESK_NSA_INS5_IJNSE_INSF_IyEEEESM_EEEEEPS7_SP_SP_NSC_11hip_rocprim7__merge17predicate_wrapperIyyNSC_4lessImEEEEEE10hipError_tPvRmT0_T1_T2_T3_T4_T5_mmT6_P12ihipStream_tbEUlT_E0_NS1_11comp_targetILNS1_3genE10ELNS1_11target_archE1201ELNS1_3gpuE5ELNS1_3repE0EEENS1_30default_config_static_selectorELNS0_4arch9wavefront6targetE0EEEvS10_.uses_flat_scratch, 0
	.set _ZN7rocprim17ROCPRIM_400000_NS6detail17trampoline_kernelINS0_14default_configENS1_21merge_config_selectorINS0_5tupleIJyyEEENS0_10empty_typeEEEZNS1_10merge_implIS3_NS0_12zip_iteratorINS5_IJN6thrust23THRUST_200600_302600_NS6detail15normal_iteratorINSC_10device_ptrIKyEEEESI_EEEEESK_NSA_INS5_IJNSE_INSF_IyEEEESM_EEEEEPS7_SP_SP_NSC_11hip_rocprim7__merge17predicate_wrapperIyyNSC_4lessImEEEEEE10hipError_tPvRmT0_T1_T2_T3_T4_T5_mmT6_P12ihipStream_tbEUlT_E0_NS1_11comp_targetILNS1_3genE10ELNS1_11target_archE1201ELNS1_3gpuE5ELNS1_3repE0EEENS1_30default_config_static_selectorELNS0_4arch9wavefront6targetE0EEEvS10_.has_dyn_sized_stack, 0
	.set _ZN7rocprim17ROCPRIM_400000_NS6detail17trampoline_kernelINS0_14default_configENS1_21merge_config_selectorINS0_5tupleIJyyEEENS0_10empty_typeEEEZNS1_10merge_implIS3_NS0_12zip_iteratorINS5_IJN6thrust23THRUST_200600_302600_NS6detail15normal_iteratorINSC_10device_ptrIKyEEEESI_EEEEESK_NSA_INS5_IJNSE_INSF_IyEEEESM_EEEEEPS7_SP_SP_NSC_11hip_rocprim7__merge17predicate_wrapperIyyNSC_4lessImEEEEEE10hipError_tPvRmT0_T1_T2_T3_T4_T5_mmT6_P12ihipStream_tbEUlT_E0_NS1_11comp_targetILNS1_3genE10ELNS1_11target_archE1201ELNS1_3gpuE5ELNS1_3repE0EEENS1_30default_config_static_selectorELNS0_4arch9wavefront6targetE0EEEvS10_.has_recursion, 0
	.set _ZN7rocprim17ROCPRIM_400000_NS6detail17trampoline_kernelINS0_14default_configENS1_21merge_config_selectorINS0_5tupleIJyyEEENS0_10empty_typeEEEZNS1_10merge_implIS3_NS0_12zip_iteratorINS5_IJN6thrust23THRUST_200600_302600_NS6detail15normal_iteratorINSC_10device_ptrIKyEEEESI_EEEEESK_NSA_INS5_IJNSE_INSF_IyEEEESM_EEEEEPS7_SP_SP_NSC_11hip_rocprim7__merge17predicate_wrapperIyyNSC_4lessImEEEEEE10hipError_tPvRmT0_T1_T2_T3_T4_T5_mmT6_P12ihipStream_tbEUlT_E0_NS1_11comp_targetILNS1_3genE10ELNS1_11target_archE1201ELNS1_3gpuE5ELNS1_3repE0EEENS1_30default_config_static_selectorELNS0_4arch9wavefront6targetE0EEEvS10_.has_indirect_call, 0
	.section	.AMDGPU.csdata,"",@progbits
; Kernel info:
; codeLenInByte = 0
; TotalNumSgprs: 0
; NumVgprs: 0
; ScratchSize: 0
; MemoryBound: 0
; FloatMode: 240
; IeeeMode: 1
; LDSByteSize: 0 bytes/workgroup (compile time only)
; SGPRBlocks: 0
; VGPRBlocks: 0
; NumSGPRsForWavesPerEU: 1
; NumVGPRsForWavesPerEU: 1
; NamedBarCnt: 0
; Occupancy: 16
; WaveLimiterHint : 0
; COMPUTE_PGM_RSRC2:SCRATCH_EN: 0
; COMPUTE_PGM_RSRC2:USER_SGPR: 2
; COMPUTE_PGM_RSRC2:TRAP_HANDLER: 0
; COMPUTE_PGM_RSRC2:TGID_X_EN: 1
; COMPUTE_PGM_RSRC2:TGID_Y_EN: 0
; COMPUTE_PGM_RSRC2:TGID_Z_EN: 0
; COMPUTE_PGM_RSRC2:TIDIG_COMP_CNT: 0
	.section	.text._ZN7rocprim17ROCPRIM_400000_NS6detail17trampoline_kernelINS0_14default_configENS1_21merge_config_selectorINS0_5tupleIJyyEEENS0_10empty_typeEEEZNS1_10merge_implIS3_NS0_12zip_iteratorINS5_IJN6thrust23THRUST_200600_302600_NS6detail15normal_iteratorINSC_10device_ptrIKyEEEESI_EEEEESK_NSA_INS5_IJNSE_INSF_IyEEEESM_EEEEEPS7_SP_SP_NSC_11hip_rocprim7__merge17predicate_wrapperIyyNSC_4lessImEEEEEE10hipError_tPvRmT0_T1_T2_T3_T4_T5_mmT6_P12ihipStream_tbEUlT_E0_NS1_11comp_targetILNS1_3genE10ELNS1_11target_archE1200ELNS1_3gpuE4ELNS1_3repE0EEENS1_30default_config_static_selectorELNS0_4arch9wavefront6targetE0EEEvS10_,"axG",@progbits,_ZN7rocprim17ROCPRIM_400000_NS6detail17trampoline_kernelINS0_14default_configENS1_21merge_config_selectorINS0_5tupleIJyyEEENS0_10empty_typeEEEZNS1_10merge_implIS3_NS0_12zip_iteratorINS5_IJN6thrust23THRUST_200600_302600_NS6detail15normal_iteratorINSC_10device_ptrIKyEEEESI_EEEEESK_NSA_INS5_IJNSE_INSF_IyEEEESM_EEEEEPS7_SP_SP_NSC_11hip_rocprim7__merge17predicate_wrapperIyyNSC_4lessImEEEEEE10hipError_tPvRmT0_T1_T2_T3_T4_T5_mmT6_P12ihipStream_tbEUlT_E0_NS1_11comp_targetILNS1_3genE10ELNS1_11target_archE1200ELNS1_3gpuE4ELNS1_3repE0EEENS1_30default_config_static_selectorELNS0_4arch9wavefront6targetE0EEEvS10_,comdat
	.protected	_ZN7rocprim17ROCPRIM_400000_NS6detail17trampoline_kernelINS0_14default_configENS1_21merge_config_selectorINS0_5tupleIJyyEEENS0_10empty_typeEEEZNS1_10merge_implIS3_NS0_12zip_iteratorINS5_IJN6thrust23THRUST_200600_302600_NS6detail15normal_iteratorINSC_10device_ptrIKyEEEESI_EEEEESK_NSA_INS5_IJNSE_INSF_IyEEEESM_EEEEEPS7_SP_SP_NSC_11hip_rocprim7__merge17predicate_wrapperIyyNSC_4lessImEEEEEE10hipError_tPvRmT0_T1_T2_T3_T4_T5_mmT6_P12ihipStream_tbEUlT_E0_NS1_11comp_targetILNS1_3genE10ELNS1_11target_archE1200ELNS1_3gpuE4ELNS1_3repE0EEENS1_30default_config_static_selectorELNS0_4arch9wavefront6targetE0EEEvS10_ ; -- Begin function _ZN7rocprim17ROCPRIM_400000_NS6detail17trampoline_kernelINS0_14default_configENS1_21merge_config_selectorINS0_5tupleIJyyEEENS0_10empty_typeEEEZNS1_10merge_implIS3_NS0_12zip_iteratorINS5_IJN6thrust23THRUST_200600_302600_NS6detail15normal_iteratorINSC_10device_ptrIKyEEEESI_EEEEESK_NSA_INS5_IJNSE_INSF_IyEEEESM_EEEEEPS7_SP_SP_NSC_11hip_rocprim7__merge17predicate_wrapperIyyNSC_4lessImEEEEEE10hipError_tPvRmT0_T1_T2_T3_T4_T5_mmT6_P12ihipStream_tbEUlT_E0_NS1_11comp_targetILNS1_3genE10ELNS1_11target_archE1200ELNS1_3gpuE4ELNS1_3repE0EEENS1_30default_config_static_selectorELNS0_4arch9wavefront6targetE0EEEvS10_
	.globl	_ZN7rocprim17ROCPRIM_400000_NS6detail17trampoline_kernelINS0_14default_configENS1_21merge_config_selectorINS0_5tupleIJyyEEENS0_10empty_typeEEEZNS1_10merge_implIS3_NS0_12zip_iteratorINS5_IJN6thrust23THRUST_200600_302600_NS6detail15normal_iteratorINSC_10device_ptrIKyEEEESI_EEEEESK_NSA_INS5_IJNSE_INSF_IyEEEESM_EEEEEPS7_SP_SP_NSC_11hip_rocprim7__merge17predicate_wrapperIyyNSC_4lessImEEEEEE10hipError_tPvRmT0_T1_T2_T3_T4_T5_mmT6_P12ihipStream_tbEUlT_E0_NS1_11comp_targetILNS1_3genE10ELNS1_11target_archE1200ELNS1_3gpuE4ELNS1_3repE0EEENS1_30default_config_static_selectorELNS0_4arch9wavefront6targetE0EEEvS10_
	.p2align	8
	.type	_ZN7rocprim17ROCPRIM_400000_NS6detail17trampoline_kernelINS0_14default_configENS1_21merge_config_selectorINS0_5tupleIJyyEEENS0_10empty_typeEEEZNS1_10merge_implIS3_NS0_12zip_iteratorINS5_IJN6thrust23THRUST_200600_302600_NS6detail15normal_iteratorINSC_10device_ptrIKyEEEESI_EEEEESK_NSA_INS5_IJNSE_INSF_IyEEEESM_EEEEEPS7_SP_SP_NSC_11hip_rocprim7__merge17predicate_wrapperIyyNSC_4lessImEEEEEE10hipError_tPvRmT0_T1_T2_T3_T4_T5_mmT6_P12ihipStream_tbEUlT_E0_NS1_11comp_targetILNS1_3genE10ELNS1_11target_archE1200ELNS1_3gpuE4ELNS1_3repE0EEENS1_30default_config_static_selectorELNS0_4arch9wavefront6targetE0EEEvS10_,@function
_ZN7rocprim17ROCPRIM_400000_NS6detail17trampoline_kernelINS0_14default_configENS1_21merge_config_selectorINS0_5tupleIJyyEEENS0_10empty_typeEEEZNS1_10merge_implIS3_NS0_12zip_iteratorINS5_IJN6thrust23THRUST_200600_302600_NS6detail15normal_iteratorINSC_10device_ptrIKyEEEESI_EEEEESK_NSA_INS5_IJNSE_INSF_IyEEEESM_EEEEEPS7_SP_SP_NSC_11hip_rocprim7__merge17predicate_wrapperIyyNSC_4lessImEEEEEE10hipError_tPvRmT0_T1_T2_T3_T4_T5_mmT6_P12ihipStream_tbEUlT_E0_NS1_11comp_targetILNS1_3genE10ELNS1_11target_archE1200ELNS1_3gpuE4ELNS1_3repE0EEENS1_30default_config_static_selectorELNS0_4arch9wavefront6targetE0EEEvS10_: ; @_ZN7rocprim17ROCPRIM_400000_NS6detail17trampoline_kernelINS0_14default_configENS1_21merge_config_selectorINS0_5tupleIJyyEEENS0_10empty_typeEEEZNS1_10merge_implIS3_NS0_12zip_iteratorINS5_IJN6thrust23THRUST_200600_302600_NS6detail15normal_iteratorINSC_10device_ptrIKyEEEESI_EEEEESK_NSA_INS5_IJNSE_INSF_IyEEEESM_EEEEEPS7_SP_SP_NSC_11hip_rocprim7__merge17predicate_wrapperIyyNSC_4lessImEEEEEE10hipError_tPvRmT0_T1_T2_T3_T4_T5_mmT6_P12ihipStream_tbEUlT_E0_NS1_11comp_targetILNS1_3genE10ELNS1_11target_archE1200ELNS1_3gpuE4ELNS1_3repE0EEENS1_30default_config_static_selectorELNS0_4arch9wavefront6targetE0EEEvS10_
; %bb.0:
	.section	.rodata,"a",@progbits
	.p2align	6, 0x0
	.amdhsa_kernel _ZN7rocprim17ROCPRIM_400000_NS6detail17trampoline_kernelINS0_14default_configENS1_21merge_config_selectorINS0_5tupleIJyyEEENS0_10empty_typeEEEZNS1_10merge_implIS3_NS0_12zip_iteratorINS5_IJN6thrust23THRUST_200600_302600_NS6detail15normal_iteratorINSC_10device_ptrIKyEEEESI_EEEEESK_NSA_INS5_IJNSE_INSF_IyEEEESM_EEEEEPS7_SP_SP_NSC_11hip_rocprim7__merge17predicate_wrapperIyyNSC_4lessImEEEEEE10hipError_tPvRmT0_T1_T2_T3_T4_T5_mmT6_P12ihipStream_tbEUlT_E0_NS1_11comp_targetILNS1_3genE10ELNS1_11target_archE1200ELNS1_3gpuE4ELNS1_3repE0EEENS1_30default_config_static_selectorELNS0_4arch9wavefront6targetE0EEEvS10_
		.amdhsa_group_segment_fixed_size 0
		.amdhsa_private_segment_fixed_size 0
		.amdhsa_kernarg_size 112
		.amdhsa_user_sgpr_count 2
		.amdhsa_user_sgpr_dispatch_ptr 0
		.amdhsa_user_sgpr_queue_ptr 0
		.amdhsa_user_sgpr_kernarg_segment_ptr 1
		.amdhsa_user_sgpr_dispatch_id 0
		.amdhsa_user_sgpr_kernarg_preload_length 0
		.amdhsa_user_sgpr_kernarg_preload_offset 0
		.amdhsa_user_sgpr_private_segment_size 0
		.amdhsa_wavefront_size32 1
		.amdhsa_uses_dynamic_stack 0
		.amdhsa_enable_private_segment 0
		.amdhsa_system_sgpr_workgroup_id_x 1
		.amdhsa_system_sgpr_workgroup_id_y 0
		.amdhsa_system_sgpr_workgroup_id_z 0
		.amdhsa_system_sgpr_workgroup_info 0
		.amdhsa_system_vgpr_workitem_id 0
		.amdhsa_next_free_vgpr 1
		.amdhsa_next_free_sgpr 1
		.amdhsa_named_barrier_count 0
		.amdhsa_reserve_vcc 0
		.amdhsa_float_round_mode_32 0
		.amdhsa_float_round_mode_16_64 0
		.amdhsa_float_denorm_mode_32 3
		.amdhsa_float_denorm_mode_16_64 3
		.amdhsa_fp16_overflow 0
		.amdhsa_memory_ordered 1
		.amdhsa_forward_progress 1
		.amdhsa_inst_pref_size 0
		.amdhsa_round_robin_scheduling 0
		.amdhsa_exception_fp_ieee_invalid_op 0
		.amdhsa_exception_fp_denorm_src 0
		.amdhsa_exception_fp_ieee_div_zero 0
		.amdhsa_exception_fp_ieee_overflow 0
		.amdhsa_exception_fp_ieee_underflow 0
		.amdhsa_exception_fp_ieee_inexact 0
		.amdhsa_exception_int_div_zero 0
	.end_amdhsa_kernel
	.section	.text._ZN7rocprim17ROCPRIM_400000_NS6detail17trampoline_kernelINS0_14default_configENS1_21merge_config_selectorINS0_5tupleIJyyEEENS0_10empty_typeEEEZNS1_10merge_implIS3_NS0_12zip_iteratorINS5_IJN6thrust23THRUST_200600_302600_NS6detail15normal_iteratorINSC_10device_ptrIKyEEEESI_EEEEESK_NSA_INS5_IJNSE_INSF_IyEEEESM_EEEEEPS7_SP_SP_NSC_11hip_rocprim7__merge17predicate_wrapperIyyNSC_4lessImEEEEEE10hipError_tPvRmT0_T1_T2_T3_T4_T5_mmT6_P12ihipStream_tbEUlT_E0_NS1_11comp_targetILNS1_3genE10ELNS1_11target_archE1200ELNS1_3gpuE4ELNS1_3repE0EEENS1_30default_config_static_selectorELNS0_4arch9wavefront6targetE0EEEvS10_,"axG",@progbits,_ZN7rocprim17ROCPRIM_400000_NS6detail17trampoline_kernelINS0_14default_configENS1_21merge_config_selectorINS0_5tupleIJyyEEENS0_10empty_typeEEEZNS1_10merge_implIS3_NS0_12zip_iteratorINS5_IJN6thrust23THRUST_200600_302600_NS6detail15normal_iteratorINSC_10device_ptrIKyEEEESI_EEEEESK_NSA_INS5_IJNSE_INSF_IyEEEESM_EEEEEPS7_SP_SP_NSC_11hip_rocprim7__merge17predicate_wrapperIyyNSC_4lessImEEEEEE10hipError_tPvRmT0_T1_T2_T3_T4_T5_mmT6_P12ihipStream_tbEUlT_E0_NS1_11comp_targetILNS1_3genE10ELNS1_11target_archE1200ELNS1_3gpuE4ELNS1_3repE0EEENS1_30default_config_static_selectorELNS0_4arch9wavefront6targetE0EEEvS10_,comdat
.Lfunc_end476:
	.size	_ZN7rocprim17ROCPRIM_400000_NS6detail17trampoline_kernelINS0_14default_configENS1_21merge_config_selectorINS0_5tupleIJyyEEENS0_10empty_typeEEEZNS1_10merge_implIS3_NS0_12zip_iteratorINS5_IJN6thrust23THRUST_200600_302600_NS6detail15normal_iteratorINSC_10device_ptrIKyEEEESI_EEEEESK_NSA_INS5_IJNSE_INSF_IyEEEESM_EEEEEPS7_SP_SP_NSC_11hip_rocprim7__merge17predicate_wrapperIyyNSC_4lessImEEEEEE10hipError_tPvRmT0_T1_T2_T3_T4_T5_mmT6_P12ihipStream_tbEUlT_E0_NS1_11comp_targetILNS1_3genE10ELNS1_11target_archE1200ELNS1_3gpuE4ELNS1_3repE0EEENS1_30default_config_static_selectorELNS0_4arch9wavefront6targetE0EEEvS10_, .Lfunc_end476-_ZN7rocprim17ROCPRIM_400000_NS6detail17trampoline_kernelINS0_14default_configENS1_21merge_config_selectorINS0_5tupleIJyyEEENS0_10empty_typeEEEZNS1_10merge_implIS3_NS0_12zip_iteratorINS5_IJN6thrust23THRUST_200600_302600_NS6detail15normal_iteratorINSC_10device_ptrIKyEEEESI_EEEEESK_NSA_INS5_IJNSE_INSF_IyEEEESM_EEEEEPS7_SP_SP_NSC_11hip_rocprim7__merge17predicate_wrapperIyyNSC_4lessImEEEEEE10hipError_tPvRmT0_T1_T2_T3_T4_T5_mmT6_P12ihipStream_tbEUlT_E0_NS1_11comp_targetILNS1_3genE10ELNS1_11target_archE1200ELNS1_3gpuE4ELNS1_3repE0EEENS1_30default_config_static_selectorELNS0_4arch9wavefront6targetE0EEEvS10_
                                        ; -- End function
	.set _ZN7rocprim17ROCPRIM_400000_NS6detail17trampoline_kernelINS0_14default_configENS1_21merge_config_selectorINS0_5tupleIJyyEEENS0_10empty_typeEEEZNS1_10merge_implIS3_NS0_12zip_iteratorINS5_IJN6thrust23THRUST_200600_302600_NS6detail15normal_iteratorINSC_10device_ptrIKyEEEESI_EEEEESK_NSA_INS5_IJNSE_INSF_IyEEEESM_EEEEEPS7_SP_SP_NSC_11hip_rocprim7__merge17predicate_wrapperIyyNSC_4lessImEEEEEE10hipError_tPvRmT0_T1_T2_T3_T4_T5_mmT6_P12ihipStream_tbEUlT_E0_NS1_11comp_targetILNS1_3genE10ELNS1_11target_archE1200ELNS1_3gpuE4ELNS1_3repE0EEENS1_30default_config_static_selectorELNS0_4arch9wavefront6targetE0EEEvS10_.num_vgpr, 0
	.set _ZN7rocprim17ROCPRIM_400000_NS6detail17trampoline_kernelINS0_14default_configENS1_21merge_config_selectorINS0_5tupleIJyyEEENS0_10empty_typeEEEZNS1_10merge_implIS3_NS0_12zip_iteratorINS5_IJN6thrust23THRUST_200600_302600_NS6detail15normal_iteratorINSC_10device_ptrIKyEEEESI_EEEEESK_NSA_INS5_IJNSE_INSF_IyEEEESM_EEEEEPS7_SP_SP_NSC_11hip_rocprim7__merge17predicate_wrapperIyyNSC_4lessImEEEEEE10hipError_tPvRmT0_T1_T2_T3_T4_T5_mmT6_P12ihipStream_tbEUlT_E0_NS1_11comp_targetILNS1_3genE10ELNS1_11target_archE1200ELNS1_3gpuE4ELNS1_3repE0EEENS1_30default_config_static_selectorELNS0_4arch9wavefront6targetE0EEEvS10_.num_agpr, 0
	.set _ZN7rocprim17ROCPRIM_400000_NS6detail17trampoline_kernelINS0_14default_configENS1_21merge_config_selectorINS0_5tupleIJyyEEENS0_10empty_typeEEEZNS1_10merge_implIS3_NS0_12zip_iteratorINS5_IJN6thrust23THRUST_200600_302600_NS6detail15normal_iteratorINSC_10device_ptrIKyEEEESI_EEEEESK_NSA_INS5_IJNSE_INSF_IyEEEESM_EEEEEPS7_SP_SP_NSC_11hip_rocprim7__merge17predicate_wrapperIyyNSC_4lessImEEEEEE10hipError_tPvRmT0_T1_T2_T3_T4_T5_mmT6_P12ihipStream_tbEUlT_E0_NS1_11comp_targetILNS1_3genE10ELNS1_11target_archE1200ELNS1_3gpuE4ELNS1_3repE0EEENS1_30default_config_static_selectorELNS0_4arch9wavefront6targetE0EEEvS10_.numbered_sgpr, 0
	.set _ZN7rocprim17ROCPRIM_400000_NS6detail17trampoline_kernelINS0_14default_configENS1_21merge_config_selectorINS0_5tupleIJyyEEENS0_10empty_typeEEEZNS1_10merge_implIS3_NS0_12zip_iteratorINS5_IJN6thrust23THRUST_200600_302600_NS6detail15normal_iteratorINSC_10device_ptrIKyEEEESI_EEEEESK_NSA_INS5_IJNSE_INSF_IyEEEESM_EEEEEPS7_SP_SP_NSC_11hip_rocprim7__merge17predicate_wrapperIyyNSC_4lessImEEEEEE10hipError_tPvRmT0_T1_T2_T3_T4_T5_mmT6_P12ihipStream_tbEUlT_E0_NS1_11comp_targetILNS1_3genE10ELNS1_11target_archE1200ELNS1_3gpuE4ELNS1_3repE0EEENS1_30default_config_static_selectorELNS0_4arch9wavefront6targetE0EEEvS10_.num_named_barrier, 0
	.set _ZN7rocprim17ROCPRIM_400000_NS6detail17trampoline_kernelINS0_14default_configENS1_21merge_config_selectorINS0_5tupleIJyyEEENS0_10empty_typeEEEZNS1_10merge_implIS3_NS0_12zip_iteratorINS5_IJN6thrust23THRUST_200600_302600_NS6detail15normal_iteratorINSC_10device_ptrIKyEEEESI_EEEEESK_NSA_INS5_IJNSE_INSF_IyEEEESM_EEEEEPS7_SP_SP_NSC_11hip_rocprim7__merge17predicate_wrapperIyyNSC_4lessImEEEEEE10hipError_tPvRmT0_T1_T2_T3_T4_T5_mmT6_P12ihipStream_tbEUlT_E0_NS1_11comp_targetILNS1_3genE10ELNS1_11target_archE1200ELNS1_3gpuE4ELNS1_3repE0EEENS1_30default_config_static_selectorELNS0_4arch9wavefront6targetE0EEEvS10_.private_seg_size, 0
	.set _ZN7rocprim17ROCPRIM_400000_NS6detail17trampoline_kernelINS0_14default_configENS1_21merge_config_selectorINS0_5tupleIJyyEEENS0_10empty_typeEEEZNS1_10merge_implIS3_NS0_12zip_iteratorINS5_IJN6thrust23THRUST_200600_302600_NS6detail15normal_iteratorINSC_10device_ptrIKyEEEESI_EEEEESK_NSA_INS5_IJNSE_INSF_IyEEEESM_EEEEEPS7_SP_SP_NSC_11hip_rocprim7__merge17predicate_wrapperIyyNSC_4lessImEEEEEE10hipError_tPvRmT0_T1_T2_T3_T4_T5_mmT6_P12ihipStream_tbEUlT_E0_NS1_11comp_targetILNS1_3genE10ELNS1_11target_archE1200ELNS1_3gpuE4ELNS1_3repE0EEENS1_30default_config_static_selectorELNS0_4arch9wavefront6targetE0EEEvS10_.uses_vcc, 0
	.set _ZN7rocprim17ROCPRIM_400000_NS6detail17trampoline_kernelINS0_14default_configENS1_21merge_config_selectorINS0_5tupleIJyyEEENS0_10empty_typeEEEZNS1_10merge_implIS3_NS0_12zip_iteratorINS5_IJN6thrust23THRUST_200600_302600_NS6detail15normal_iteratorINSC_10device_ptrIKyEEEESI_EEEEESK_NSA_INS5_IJNSE_INSF_IyEEEESM_EEEEEPS7_SP_SP_NSC_11hip_rocprim7__merge17predicate_wrapperIyyNSC_4lessImEEEEEE10hipError_tPvRmT0_T1_T2_T3_T4_T5_mmT6_P12ihipStream_tbEUlT_E0_NS1_11comp_targetILNS1_3genE10ELNS1_11target_archE1200ELNS1_3gpuE4ELNS1_3repE0EEENS1_30default_config_static_selectorELNS0_4arch9wavefront6targetE0EEEvS10_.uses_flat_scratch, 0
	.set _ZN7rocprim17ROCPRIM_400000_NS6detail17trampoline_kernelINS0_14default_configENS1_21merge_config_selectorINS0_5tupleIJyyEEENS0_10empty_typeEEEZNS1_10merge_implIS3_NS0_12zip_iteratorINS5_IJN6thrust23THRUST_200600_302600_NS6detail15normal_iteratorINSC_10device_ptrIKyEEEESI_EEEEESK_NSA_INS5_IJNSE_INSF_IyEEEESM_EEEEEPS7_SP_SP_NSC_11hip_rocprim7__merge17predicate_wrapperIyyNSC_4lessImEEEEEE10hipError_tPvRmT0_T1_T2_T3_T4_T5_mmT6_P12ihipStream_tbEUlT_E0_NS1_11comp_targetILNS1_3genE10ELNS1_11target_archE1200ELNS1_3gpuE4ELNS1_3repE0EEENS1_30default_config_static_selectorELNS0_4arch9wavefront6targetE0EEEvS10_.has_dyn_sized_stack, 0
	.set _ZN7rocprim17ROCPRIM_400000_NS6detail17trampoline_kernelINS0_14default_configENS1_21merge_config_selectorINS0_5tupleIJyyEEENS0_10empty_typeEEEZNS1_10merge_implIS3_NS0_12zip_iteratorINS5_IJN6thrust23THRUST_200600_302600_NS6detail15normal_iteratorINSC_10device_ptrIKyEEEESI_EEEEESK_NSA_INS5_IJNSE_INSF_IyEEEESM_EEEEEPS7_SP_SP_NSC_11hip_rocprim7__merge17predicate_wrapperIyyNSC_4lessImEEEEEE10hipError_tPvRmT0_T1_T2_T3_T4_T5_mmT6_P12ihipStream_tbEUlT_E0_NS1_11comp_targetILNS1_3genE10ELNS1_11target_archE1200ELNS1_3gpuE4ELNS1_3repE0EEENS1_30default_config_static_selectorELNS0_4arch9wavefront6targetE0EEEvS10_.has_recursion, 0
	.set _ZN7rocprim17ROCPRIM_400000_NS6detail17trampoline_kernelINS0_14default_configENS1_21merge_config_selectorINS0_5tupleIJyyEEENS0_10empty_typeEEEZNS1_10merge_implIS3_NS0_12zip_iteratorINS5_IJN6thrust23THRUST_200600_302600_NS6detail15normal_iteratorINSC_10device_ptrIKyEEEESI_EEEEESK_NSA_INS5_IJNSE_INSF_IyEEEESM_EEEEEPS7_SP_SP_NSC_11hip_rocprim7__merge17predicate_wrapperIyyNSC_4lessImEEEEEE10hipError_tPvRmT0_T1_T2_T3_T4_T5_mmT6_P12ihipStream_tbEUlT_E0_NS1_11comp_targetILNS1_3genE10ELNS1_11target_archE1200ELNS1_3gpuE4ELNS1_3repE0EEENS1_30default_config_static_selectorELNS0_4arch9wavefront6targetE0EEEvS10_.has_indirect_call, 0
	.section	.AMDGPU.csdata,"",@progbits
; Kernel info:
; codeLenInByte = 0
; TotalNumSgprs: 0
; NumVgprs: 0
; ScratchSize: 0
; MemoryBound: 0
; FloatMode: 240
; IeeeMode: 1
; LDSByteSize: 0 bytes/workgroup (compile time only)
; SGPRBlocks: 0
; VGPRBlocks: 0
; NumSGPRsForWavesPerEU: 1
; NumVGPRsForWavesPerEU: 1
; NamedBarCnt: 0
; Occupancy: 16
; WaveLimiterHint : 0
; COMPUTE_PGM_RSRC2:SCRATCH_EN: 0
; COMPUTE_PGM_RSRC2:USER_SGPR: 2
; COMPUTE_PGM_RSRC2:TRAP_HANDLER: 0
; COMPUTE_PGM_RSRC2:TGID_X_EN: 1
; COMPUTE_PGM_RSRC2:TGID_Y_EN: 0
; COMPUTE_PGM_RSRC2:TGID_Z_EN: 0
; COMPUTE_PGM_RSRC2:TIDIG_COMP_CNT: 0
	.section	.text._ZN7rocprim17ROCPRIM_400000_NS6detail17trampoline_kernelINS0_14default_configENS1_21merge_config_selectorINS0_5tupleIJyyEEENS0_10empty_typeEEEZNS1_10merge_implIS3_NS0_12zip_iteratorINS5_IJN6thrust23THRUST_200600_302600_NS6detail15normal_iteratorINSC_10device_ptrIKyEEEESI_EEEEESK_NSA_INS5_IJNSE_INSF_IyEEEESM_EEEEEPS7_SP_SP_NSC_11hip_rocprim7__merge17predicate_wrapperIyyNSC_4lessImEEEEEE10hipError_tPvRmT0_T1_T2_T3_T4_T5_mmT6_P12ihipStream_tbEUlT_E0_NS1_11comp_targetILNS1_3genE9ELNS1_11target_archE1100ELNS1_3gpuE3ELNS1_3repE0EEENS1_30default_config_static_selectorELNS0_4arch9wavefront6targetE0EEEvS10_,"axG",@progbits,_ZN7rocprim17ROCPRIM_400000_NS6detail17trampoline_kernelINS0_14default_configENS1_21merge_config_selectorINS0_5tupleIJyyEEENS0_10empty_typeEEEZNS1_10merge_implIS3_NS0_12zip_iteratorINS5_IJN6thrust23THRUST_200600_302600_NS6detail15normal_iteratorINSC_10device_ptrIKyEEEESI_EEEEESK_NSA_INS5_IJNSE_INSF_IyEEEESM_EEEEEPS7_SP_SP_NSC_11hip_rocprim7__merge17predicate_wrapperIyyNSC_4lessImEEEEEE10hipError_tPvRmT0_T1_T2_T3_T4_T5_mmT6_P12ihipStream_tbEUlT_E0_NS1_11comp_targetILNS1_3genE9ELNS1_11target_archE1100ELNS1_3gpuE3ELNS1_3repE0EEENS1_30default_config_static_selectorELNS0_4arch9wavefront6targetE0EEEvS10_,comdat
	.protected	_ZN7rocprim17ROCPRIM_400000_NS6detail17trampoline_kernelINS0_14default_configENS1_21merge_config_selectorINS0_5tupleIJyyEEENS0_10empty_typeEEEZNS1_10merge_implIS3_NS0_12zip_iteratorINS5_IJN6thrust23THRUST_200600_302600_NS6detail15normal_iteratorINSC_10device_ptrIKyEEEESI_EEEEESK_NSA_INS5_IJNSE_INSF_IyEEEESM_EEEEEPS7_SP_SP_NSC_11hip_rocprim7__merge17predicate_wrapperIyyNSC_4lessImEEEEEE10hipError_tPvRmT0_T1_T2_T3_T4_T5_mmT6_P12ihipStream_tbEUlT_E0_NS1_11comp_targetILNS1_3genE9ELNS1_11target_archE1100ELNS1_3gpuE3ELNS1_3repE0EEENS1_30default_config_static_selectorELNS0_4arch9wavefront6targetE0EEEvS10_ ; -- Begin function _ZN7rocprim17ROCPRIM_400000_NS6detail17trampoline_kernelINS0_14default_configENS1_21merge_config_selectorINS0_5tupleIJyyEEENS0_10empty_typeEEEZNS1_10merge_implIS3_NS0_12zip_iteratorINS5_IJN6thrust23THRUST_200600_302600_NS6detail15normal_iteratorINSC_10device_ptrIKyEEEESI_EEEEESK_NSA_INS5_IJNSE_INSF_IyEEEESM_EEEEEPS7_SP_SP_NSC_11hip_rocprim7__merge17predicate_wrapperIyyNSC_4lessImEEEEEE10hipError_tPvRmT0_T1_T2_T3_T4_T5_mmT6_P12ihipStream_tbEUlT_E0_NS1_11comp_targetILNS1_3genE9ELNS1_11target_archE1100ELNS1_3gpuE3ELNS1_3repE0EEENS1_30default_config_static_selectorELNS0_4arch9wavefront6targetE0EEEvS10_
	.globl	_ZN7rocprim17ROCPRIM_400000_NS6detail17trampoline_kernelINS0_14default_configENS1_21merge_config_selectorINS0_5tupleIJyyEEENS0_10empty_typeEEEZNS1_10merge_implIS3_NS0_12zip_iteratorINS5_IJN6thrust23THRUST_200600_302600_NS6detail15normal_iteratorINSC_10device_ptrIKyEEEESI_EEEEESK_NSA_INS5_IJNSE_INSF_IyEEEESM_EEEEEPS7_SP_SP_NSC_11hip_rocprim7__merge17predicate_wrapperIyyNSC_4lessImEEEEEE10hipError_tPvRmT0_T1_T2_T3_T4_T5_mmT6_P12ihipStream_tbEUlT_E0_NS1_11comp_targetILNS1_3genE9ELNS1_11target_archE1100ELNS1_3gpuE3ELNS1_3repE0EEENS1_30default_config_static_selectorELNS0_4arch9wavefront6targetE0EEEvS10_
	.p2align	8
	.type	_ZN7rocprim17ROCPRIM_400000_NS6detail17trampoline_kernelINS0_14default_configENS1_21merge_config_selectorINS0_5tupleIJyyEEENS0_10empty_typeEEEZNS1_10merge_implIS3_NS0_12zip_iteratorINS5_IJN6thrust23THRUST_200600_302600_NS6detail15normal_iteratorINSC_10device_ptrIKyEEEESI_EEEEESK_NSA_INS5_IJNSE_INSF_IyEEEESM_EEEEEPS7_SP_SP_NSC_11hip_rocprim7__merge17predicate_wrapperIyyNSC_4lessImEEEEEE10hipError_tPvRmT0_T1_T2_T3_T4_T5_mmT6_P12ihipStream_tbEUlT_E0_NS1_11comp_targetILNS1_3genE9ELNS1_11target_archE1100ELNS1_3gpuE3ELNS1_3repE0EEENS1_30default_config_static_selectorELNS0_4arch9wavefront6targetE0EEEvS10_,@function
_ZN7rocprim17ROCPRIM_400000_NS6detail17trampoline_kernelINS0_14default_configENS1_21merge_config_selectorINS0_5tupleIJyyEEENS0_10empty_typeEEEZNS1_10merge_implIS3_NS0_12zip_iteratorINS5_IJN6thrust23THRUST_200600_302600_NS6detail15normal_iteratorINSC_10device_ptrIKyEEEESI_EEEEESK_NSA_INS5_IJNSE_INSF_IyEEEESM_EEEEEPS7_SP_SP_NSC_11hip_rocprim7__merge17predicate_wrapperIyyNSC_4lessImEEEEEE10hipError_tPvRmT0_T1_T2_T3_T4_T5_mmT6_P12ihipStream_tbEUlT_E0_NS1_11comp_targetILNS1_3genE9ELNS1_11target_archE1100ELNS1_3gpuE3ELNS1_3repE0EEENS1_30default_config_static_selectorELNS0_4arch9wavefront6targetE0EEEvS10_: ; @_ZN7rocprim17ROCPRIM_400000_NS6detail17trampoline_kernelINS0_14default_configENS1_21merge_config_selectorINS0_5tupleIJyyEEENS0_10empty_typeEEEZNS1_10merge_implIS3_NS0_12zip_iteratorINS5_IJN6thrust23THRUST_200600_302600_NS6detail15normal_iteratorINSC_10device_ptrIKyEEEESI_EEEEESK_NSA_INS5_IJNSE_INSF_IyEEEESM_EEEEEPS7_SP_SP_NSC_11hip_rocprim7__merge17predicate_wrapperIyyNSC_4lessImEEEEEE10hipError_tPvRmT0_T1_T2_T3_T4_T5_mmT6_P12ihipStream_tbEUlT_E0_NS1_11comp_targetILNS1_3genE9ELNS1_11target_archE1100ELNS1_3gpuE3ELNS1_3repE0EEENS1_30default_config_static_selectorELNS0_4arch9wavefront6targetE0EEEvS10_
; %bb.0:
	.section	.rodata,"a",@progbits
	.p2align	6, 0x0
	.amdhsa_kernel _ZN7rocprim17ROCPRIM_400000_NS6detail17trampoline_kernelINS0_14default_configENS1_21merge_config_selectorINS0_5tupleIJyyEEENS0_10empty_typeEEEZNS1_10merge_implIS3_NS0_12zip_iteratorINS5_IJN6thrust23THRUST_200600_302600_NS6detail15normal_iteratorINSC_10device_ptrIKyEEEESI_EEEEESK_NSA_INS5_IJNSE_INSF_IyEEEESM_EEEEEPS7_SP_SP_NSC_11hip_rocprim7__merge17predicate_wrapperIyyNSC_4lessImEEEEEE10hipError_tPvRmT0_T1_T2_T3_T4_T5_mmT6_P12ihipStream_tbEUlT_E0_NS1_11comp_targetILNS1_3genE9ELNS1_11target_archE1100ELNS1_3gpuE3ELNS1_3repE0EEENS1_30default_config_static_selectorELNS0_4arch9wavefront6targetE0EEEvS10_
		.amdhsa_group_segment_fixed_size 0
		.amdhsa_private_segment_fixed_size 0
		.amdhsa_kernarg_size 112
		.amdhsa_user_sgpr_count 2
		.amdhsa_user_sgpr_dispatch_ptr 0
		.amdhsa_user_sgpr_queue_ptr 0
		.amdhsa_user_sgpr_kernarg_segment_ptr 1
		.amdhsa_user_sgpr_dispatch_id 0
		.amdhsa_user_sgpr_kernarg_preload_length 0
		.amdhsa_user_sgpr_kernarg_preload_offset 0
		.amdhsa_user_sgpr_private_segment_size 0
		.amdhsa_wavefront_size32 1
		.amdhsa_uses_dynamic_stack 0
		.amdhsa_enable_private_segment 0
		.amdhsa_system_sgpr_workgroup_id_x 1
		.amdhsa_system_sgpr_workgroup_id_y 0
		.amdhsa_system_sgpr_workgroup_id_z 0
		.amdhsa_system_sgpr_workgroup_info 0
		.amdhsa_system_vgpr_workitem_id 0
		.amdhsa_next_free_vgpr 1
		.amdhsa_next_free_sgpr 1
		.amdhsa_named_barrier_count 0
		.amdhsa_reserve_vcc 0
		.amdhsa_float_round_mode_32 0
		.amdhsa_float_round_mode_16_64 0
		.amdhsa_float_denorm_mode_32 3
		.amdhsa_float_denorm_mode_16_64 3
		.amdhsa_fp16_overflow 0
		.amdhsa_memory_ordered 1
		.amdhsa_forward_progress 1
		.amdhsa_inst_pref_size 0
		.amdhsa_round_robin_scheduling 0
		.amdhsa_exception_fp_ieee_invalid_op 0
		.amdhsa_exception_fp_denorm_src 0
		.amdhsa_exception_fp_ieee_div_zero 0
		.amdhsa_exception_fp_ieee_overflow 0
		.amdhsa_exception_fp_ieee_underflow 0
		.amdhsa_exception_fp_ieee_inexact 0
		.amdhsa_exception_int_div_zero 0
	.end_amdhsa_kernel
	.section	.text._ZN7rocprim17ROCPRIM_400000_NS6detail17trampoline_kernelINS0_14default_configENS1_21merge_config_selectorINS0_5tupleIJyyEEENS0_10empty_typeEEEZNS1_10merge_implIS3_NS0_12zip_iteratorINS5_IJN6thrust23THRUST_200600_302600_NS6detail15normal_iteratorINSC_10device_ptrIKyEEEESI_EEEEESK_NSA_INS5_IJNSE_INSF_IyEEEESM_EEEEEPS7_SP_SP_NSC_11hip_rocprim7__merge17predicate_wrapperIyyNSC_4lessImEEEEEE10hipError_tPvRmT0_T1_T2_T3_T4_T5_mmT6_P12ihipStream_tbEUlT_E0_NS1_11comp_targetILNS1_3genE9ELNS1_11target_archE1100ELNS1_3gpuE3ELNS1_3repE0EEENS1_30default_config_static_selectorELNS0_4arch9wavefront6targetE0EEEvS10_,"axG",@progbits,_ZN7rocprim17ROCPRIM_400000_NS6detail17trampoline_kernelINS0_14default_configENS1_21merge_config_selectorINS0_5tupleIJyyEEENS0_10empty_typeEEEZNS1_10merge_implIS3_NS0_12zip_iteratorINS5_IJN6thrust23THRUST_200600_302600_NS6detail15normal_iteratorINSC_10device_ptrIKyEEEESI_EEEEESK_NSA_INS5_IJNSE_INSF_IyEEEESM_EEEEEPS7_SP_SP_NSC_11hip_rocprim7__merge17predicate_wrapperIyyNSC_4lessImEEEEEE10hipError_tPvRmT0_T1_T2_T3_T4_T5_mmT6_P12ihipStream_tbEUlT_E0_NS1_11comp_targetILNS1_3genE9ELNS1_11target_archE1100ELNS1_3gpuE3ELNS1_3repE0EEENS1_30default_config_static_selectorELNS0_4arch9wavefront6targetE0EEEvS10_,comdat
.Lfunc_end477:
	.size	_ZN7rocprim17ROCPRIM_400000_NS6detail17trampoline_kernelINS0_14default_configENS1_21merge_config_selectorINS0_5tupleIJyyEEENS0_10empty_typeEEEZNS1_10merge_implIS3_NS0_12zip_iteratorINS5_IJN6thrust23THRUST_200600_302600_NS6detail15normal_iteratorINSC_10device_ptrIKyEEEESI_EEEEESK_NSA_INS5_IJNSE_INSF_IyEEEESM_EEEEEPS7_SP_SP_NSC_11hip_rocprim7__merge17predicate_wrapperIyyNSC_4lessImEEEEEE10hipError_tPvRmT0_T1_T2_T3_T4_T5_mmT6_P12ihipStream_tbEUlT_E0_NS1_11comp_targetILNS1_3genE9ELNS1_11target_archE1100ELNS1_3gpuE3ELNS1_3repE0EEENS1_30default_config_static_selectorELNS0_4arch9wavefront6targetE0EEEvS10_, .Lfunc_end477-_ZN7rocprim17ROCPRIM_400000_NS6detail17trampoline_kernelINS0_14default_configENS1_21merge_config_selectorINS0_5tupleIJyyEEENS0_10empty_typeEEEZNS1_10merge_implIS3_NS0_12zip_iteratorINS5_IJN6thrust23THRUST_200600_302600_NS6detail15normal_iteratorINSC_10device_ptrIKyEEEESI_EEEEESK_NSA_INS5_IJNSE_INSF_IyEEEESM_EEEEEPS7_SP_SP_NSC_11hip_rocprim7__merge17predicate_wrapperIyyNSC_4lessImEEEEEE10hipError_tPvRmT0_T1_T2_T3_T4_T5_mmT6_P12ihipStream_tbEUlT_E0_NS1_11comp_targetILNS1_3genE9ELNS1_11target_archE1100ELNS1_3gpuE3ELNS1_3repE0EEENS1_30default_config_static_selectorELNS0_4arch9wavefront6targetE0EEEvS10_
                                        ; -- End function
	.set _ZN7rocprim17ROCPRIM_400000_NS6detail17trampoline_kernelINS0_14default_configENS1_21merge_config_selectorINS0_5tupleIJyyEEENS0_10empty_typeEEEZNS1_10merge_implIS3_NS0_12zip_iteratorINS5_IJN6thrust23THRUST_200600_302600_NS6detail15normal_iteratorINSC_10device_ptrIKyEEEESI_EEEEESK_NSA_INS5_IJNSE_INSF_IyEEEESM_EEEEEPS7_SP_SP_NSC_11hip_rocprim7__merge17predicate_wrapperIyyNSC_4lessImEEEEEE10hipError_tPvRmT0_T1_T2_T3_T4_T5_mmT6_P12ihipStream_tbEUlT_E0_NS1_11comp_targetILNS1_3genE9ELNS1_11target_archE1100ELNS1_3gpuE3ELNS1_3repE0EEENS1_30default_config_static_selectorELNS0_4arch9wavefront6targetE0EEEvS10_.num_vgpr, 0
	.set _ZN7rocprim17ROCPRIM_400000_NS6detail17trampoline_kernelINS0_14default_configENS1_21merge_config_selectorINS0_5tupleIJyyEEENS0_10empty_typeEEEZNS1_10merge_implIS3_NS0_12zip_iteratorINS5_IJN6thrust23THRUST_200600_302600_NS6detail15normal_iteratorINSC_10device_ptrIKyEEEESI_EEEEESK_NSA_INS5_IJNSE_INSF_IyEEEESM_EEEEEPS7_SP_SP_NSC_11hip_rocprim7__merge17predicate_wrapperIyyNSC_4lessImEEEEEE10hipError_tPvRmT0_T1_T2_T3_T4_T5_mmT6_P12ihipStream_tbEUlT_E0_NS1_11comp_targetILNS1_3genE9ELNS1_11target_archE1100ELNS1_3gpuE3ELNS1_3repE0EEENS1_30default_config_static_selectorELNS0_4arch9wavefront6targetE0EEEvS10_.num_agpr, 0
	.set _ZN7rocprim17ROCPRIM_400000_NS6detail17trampoline_kernelINS0_14default_configENS1_21merge_config_selectorINS0_5tupleIJyyEEENS0_10empty_typeEEEZNS1_10merge_implIS3_NS0_12zip_iteratorINS5_IJN6thrust23THRUST_200600_302600_NS6detail15normal_iteratorINSC_10device_ptrIKyEEEESI_EEEEESK_NSA_INS5_IJNSE_INSF_IyEEEESM_EEEEEPS7_SP_SP_NSC_11hip_rocprim7__merge17predicate_wrapperIyyNSC_4lessImEEEEEE10hipError_tPvRmT0_T1_T2_T3_T4_T5_mmT6_P12ihipStream_tbEUlT_E0_NS1_11comp_targetILNS1_3genE9ELNS1_11target_archE1100ELNS1_3gpuE3ELNS1_3repE0EEENS1_30default_config_static_selectorELNS0_4arch9wavefront6targetE0EEEvS10_.numbered_sgpr, 0
	.set _ZN7rocprim17ROCPRIM_400000_NS6detail17trampoline_kernelINS0_14default_configENS1_21merge_config_selectorINS0_5tupleIJyyEEENS0_10empty_typeEEEZNS1_10merge_implIS3_NS0_12zip_iteratorINS5_IJN6thrust23THRUST_200600_302600_NS6detail15normal_iteratorINSC_10device_ptrIKyEEEESI_EEEEESK_NSA_INS5_IJNSE_INSF_IyEEEESM_EEEEEPS7_SP_SP_NSC_11hip_rocprim7__merge17predicate_wrapperIyyNSC_4lessImEEEEEE10hipError_tPvRmT0_T1_T2_T3_T4_T5_mmT6_P12ihipStream_tbEUlT_E0_NS1_11comp_targetILNS1_3genE9ELNS1_11target_archE1100ELNS1_3gpuE3ELNS1_3repE0EEENS1_30default_config_static_selectorELNS0_4arch9wavefront6targetE0EEEvS10_.num_named_barrier, 0
	.set _ZN7rocprim17ROCPRIM_400000_NS6detail17trampoline_kernelINS0_14default_configENS1_21merge_config_selectorINS0_5tupleIJyyEEENS0_10empty_typeEEEZNS1_10merge_implIS3_NS0_12zip_iteratorINS5_IJN6thrust23THRUST_200600_302600_NS6detail15normal_iteratorINSC_10device_ptrIKyEEEESI_EEEEESK_NSA_INS5_IJNSE_INSF_IyEEEESM_EEEEEPS7_SP_SP_NSC_11hip_rocprim7__merge17predicate_wrapperIyyNSC_4lessImEEEEEE10hipError_tPvRmT0_T1_T2_T3_T4_T5_mmT6_P12ihipStream_tbEUlT_E0_NS1_11comp_targetILNS1_3genE9ELNS1_11target_archE1100ELNS1_3gpuE3ELNS1_3repE0EEENS1_30default_config_static_selectorELNS0_4arch9wavefront6targetE0EEEvS10_.private_seg_size, 0
	.set _ZN7rocprim17ROCPRIM_400000_NS6detail17trampoline_kernelINS0_14default_configENS1_21merge_config_selectorINS0_5tupleIJyyEEENS0_10empty_typeEEEZNS1_10merge_implIS3_NS0_12zip_iteratorINS5_IJN6thrust23THRUST_200600_302600_NS6detail15normal_iteratorINSC_10device_ptrIKyEEEESI_EEEEESK_NSA_INS5_IJNSE_INSF_IyEEEESM_EEEEEPS7_SP_SP_NSC_11hip_rocprim7__merge17predicate_wrapperIyyNSC_4lessImEEEEEE10hipError_tPvRmT0_T1_T2_T3_T4_T5_mmT6_P12ihipStream_tbEUlT_E0_NS1_11comp_targetILNS1_3genE9ELNS1_11target_archE1100ELNS1_3gpuE3ELNS1_3repE0EEENS1_30default_config_static_selectorELNS0_4arch9wavefront6targetE0EEEvS10_.uses_vcc, 0
	.set _ZN7rocprim17ROCPRIM_400000_NS6detail17trampoline_kernelINS0_14default_configENS1_21merge_config_selectorINS0_5tupleIJyyEEENS0_10empty_typeEEEZNS1_10merge_implIS3_NS0_12zip_iteratorINS5_IJN6thrust23THRUST_200600_302600_NS6detail15normal_iteratorINSC_10device_ptrIKyEEEESI_EEEEESK_NSA_INS5_IJNSE_INSF_IyEEEESM_EEEEEPS7_SP_SP_NSC_11hip_rocprim7__merge17predicate_wrapperIyyNSC_4lessImEEEEEE10hipError_tPvRmT0_T1_T2_T3_T4_T5_mmT6_P12ihipStream_tbEUlT_E0_NS1_11comp_targetILNS1_3genE9ELNS1_11target_archE1100ELNS1_3gpuE3ELNS1_3repE0EEENS1_30default_config_static_selectorELNS0_4arch9wavefront6targetE0EEEvS10_.uses_flat_scratch, 0
	.set _ZN7rocprim17ROCPRIM_400000_NS6detail17trampoline_kernelINS0_14default_configENS1_21merge_config_selectorINS0_5tupleIJyyEEENS0_10empty_typeEEEZNS1_10merge_implIS3_NS0_12zip_iteratorINS5_IJN6thrust23THRUST_200600_302600_NS6detail15normal_iteratorINSC_10device_ptrIKyEEEESI_EEEEESK_NSA_INS5_IJNSE_INSF_IyEEEESM_EEEEEPS7_SP_SP_NSC_11hip_rocprim7__merge17predicate_wrapperIyyNSC_4lessImEEEEEE10hipError_tPvRmT0_T1_T2_T3_T4_T5_mmT6_P12ihipStream_tbEUlT_E0_NS1_11comp_targetILNS1_3genE9ELNS1_11target_archE1100ELNS1_3gpuE3ELNS1_3repE0EEENS1_30default_config_static_selectorELNS0_4arch9wavefront6targetE0EEEvS10_.has_dyn_sized_stack, 0
	.set _ZN7rocprim17ROCPRIM_400000_NS6detail17trampoline_kernelINS0_14default_configENS1_21merge_config_selectorINS0_5tupleIJyyEEENS0_10empty_typeEEEZNS1_10merge_implIS3_NS0_12zip_iteratorINS5_IJN6thrust23THRUST_200600_302600_NS6detail15normal_iteratorINSC_10device_ptrIKyEEEESI_EEEEESK_NSA_INS5_IJNSE_INSF_IyEEEESM_EEEEEPS7_SP_SP_NSC_11hip_rocprim7__merge17predicate_wrapperIyyNSC_4lessImEEEEEE10hipError_tPvRmT0_T1_T2_T3_T4_T5_mmT6_P12ihipStream_tbEUlT_E0_NS1_11comp_targetILNS1_3genE9ELNS1_11target_archE1100ELNS1_3gpuE3ELNS1_3repE0EEENS1_30default_config_static_selectorELNS0_4arch9wavefront6targetE0EEEvS10_.has_recursion, 0
	.set _ZN7rocprim17ROCPRIM_400000_NS6detail17trampoline_kernelINS0_14default_configENS1_21merge_config_selectorINS0_5tupleIJyyEEENS0_10empty_typeEEEZNS1_10merge_implIS3_NS0_12zip_iteratorINS5_IJN6thrust23THRUST_200600_302600_NS6detail15normal_iteratorINSC_10device_ptrIKyEEEESI_EEEEESK_NSA_INS5_IJNSE_INSF_IyEEEESM_EEEEEPS7_SP_SP_NSC_11hip_rocprim7__merge17predicate_wrapperIyyNSC_4lessImEEEEEE10hipError_tPvRmT0_T1_T2_T3_T4_T5_mmT6_P12ihipStream_tbEUlT_E0_NS1_11comp_targetILNS1_3genE9ELNS1_11target_archE1100ELNS1_3gpuE3ELNS1_3repE0EEENS1_30default_config_static_selectorELNS0_4arch9wavefront6targetE0EEEvS10_.has_indirect_call, 0
	.section	.AMDGPU.csdata,"",@progbits
; Kernel info:
; codeLenInByte = 0
; TotalNumSgprs: 0
; NumVgprs: 0
; ScratchSize: 0
; MemoryBound: 0
; FloatMode: 240
; IeeeMode: 1
; LDSByteSize: 0 bytes/workgroup (compile time only)
; SGPRBlocks: 0
; VGPRBlocks: 0
; NumSGPRsForWavesPerEU: 1
; NumVGPRsForWavesPerEU: 1
; NamedBarCnt: 0
; Occupancy: 16
; WaveLimiterHint : 0
; COMPUTE_PGM_RSRC2:SCRATCH_EN: 0
; COMPUTE_PGM_RSRC2:USER_SGPR: 2
; COMPUTE_PGM_RSRC2:TRAP_HANDLER: 0
; COMPUTE_PGM_RSRC2:TGID_X_EN: 1
; COMPUTE_PGM_RSRC2:TGID_Y_EN: 0
; COMPUTE_PGM_RSRC2:TGID_Z_EN: 0
; COMPUTE_PGM_RSRC2:TIDIG_COMP_CNT: 0
	.section	.text._ZN7rocprim17ROCPRIM_400000_NS6detail17trampoline_kernelINS0_14default_configENS1_21merge_config_selectorINS0_5tupleIJyyEEENS0_10empty_typeEEEZNS1_10merge_implIS3_NS0_12zip_iteratorINS5_IJN6thrust23THRUST_200600_302600_NS6detail15normal_iteratorINSC_10device_ptrIKyEEEESI_EEEEESK_NSA_INS5_IJNSE_INSF_IyEEEESM_EEEEEPS7_SP_SP_NSC_11hip_rocprim7__merge17predicate_wrapperIyyNSC_4lessImEEEEEE10hipError_tPvRmT0_T1_T2_T3_T4_T5_mmT6_P12ihipStream_tbEUlT_E0_NS1_11comp_targetILNS1_3genE8ELNS1_11target_archE1030ELNS1_3gpuE2ELNS1_3repE0EEENS1_30default_config_static_selectorELNS0_4arch9wavefront6targetE0EEEvS10_,"axG",@progbits,_ZN7rocprim17ROCPRIM_400000_NS6detail17trampoline_kernelINS0_14default_configENS1_21merge_config_selectorINS0_5tupleIJyyEEENS0_10empty_typeEEEZNS1_10merge_implIS3_NS0_12zip_iteratorINS5_IJN6thrust23THRUST_200600_302600_NS6detail15normal_iteratorINSC_10device_ptrIKyEEEESI_EEEEESK_NSA_INS5_IJNSE_INSF_IyEEEESM_EEEEEPS7_SP_SP_NSC_11hip_rocprim7__merge17predicate_wrapperIyyNSC_4lessImEEEEEE10hipError_tPvRmT0_T1_T2_T3_T4_T5_mmT6_P12ihipStream_tbEUlT_E0_NS1_11comp_targetILNS1_3genE8ELNS1_11target_archE1030ELNS1_3gpuE2ELNS1_3repE0EEENS1_30default_config_static_selectorELNS0_4arch9wavefront6targetE0EEEvS10_,comdat
	.protected	_ZN7rocprim17ROCPRIM_400000_NS6detail17trampoline_kernelINS0_14default_configENS1_21merge_config_selectorINS0_5tupleIJyyEEENS0_10empty_typeEEEZNS1_10merge_implIS3_NS0_12zip_iteratorINS5_IJN6thrust23THRUST_200600_302600_NS6detail15normal_iteratorINSC_10device_ptrIKyEEEESI_EEEEESK_NSA_INS5_IJNSE_INSF_IyEEEESM_EEEEEPS7_SP_SP_NSC_11hip_rocprim7__merge17predicate_wrapperIyyNSC_4lessImEEEEEE10hipError_tPvRmT0_T1_T2_T3_T4_T5_mmT6_P12ihipStream_tbEUlT_E0_NS1_11comp_targetILNS1_3genE8ELNS1_11target_archE1030ELNS1_3gpuE2ELNS1_3repE0EEENS1_30default_config_static_selectorELNS0_4arch9wavefront6targetE0EEEvS10_ ; -- Begin function _ZN7rocprim17ROCPRIM_400000_NS6detail17trampoline_kernelINS0_14default_configENS1_21merge_config_selectorINS0_5tupleIJyyEEENS0_10empty_typeEEEZNS1_10merge_implIS3_NS0_12zip_iteratorINS5_IJN6thrust23THRUST_200600_302600_NS6detail15normal_iteratorINSC_10device_ptrIKyEEEESI_EEEEESK_NSA_INS5_IJNSE_INSF_IyEEEESM_EEEEEPS7_SP_SP_NSC_11hip_rocprim7__merge17predicate_wrapperIyyNSC_4lessImEEEEEE10hipError_tPvRmT0_T1_T2_T3_T4_T5_mmT6_P12ihipStream_tbEUlT_E0_NS1_11comp_targetILNS1_3genE8ELNS1_11target_archE1030ELNS1_3gpuE2ELNS1_3repE0EEENS1_30default_config_static_selectorELNS0_4arch9wavefront6targetE0EEEvS10_
	.globl	_ZN7rocprim17ROCPRIM_400000_NS6detail17trampoline_kernelINS0_14default_configENS1_21merge_config_selectorINS0_5tupleIJyyEEENS0_10empty_typeEEEZNS1_10merge_implIS3_NS0_12zip_iteratorINS5_IJN6thrust23THRUST_200600_302600_NS6detail15normal_iteratorINSC_10device_ptrIKyEEEESI_EEEEESK_NSA_INS5_IJNSE_INSF_IyEEEESM_EEEEEPS7_SP_SP_NSC_11hip_rocprim7__merge17predicate_wrapperIyyNSC_4lessImEEEEEE10hipError_tPvRmT0_T1_T2_T3_T4_T5_mmT6_P12ihipStream_tbEUlT_E0_NS1_11comp_targetILNS1_3genE8ELNS1_11target_archE1030ELNS1_3gpuE2ELNS1_3repE0EEENS1_30default_config_static_selectorELNS0_4arch9wavefront6targetE0EEEvS10_
	.p2align	8
	.type	_ZN7rocprim17ROCPRIM_400000_NS6detail17trampoline_kernelINS0_14default_configENS1_21merge_config_selectorINS0_5tupleIJyyEEENS0_10empty_typeEEEZNS1_10merge_implIS3_NS0_12zip_iteratorINS5_IJN6thrust23THRUST_200600_302600_NS6detail15normal_iteratorINSC_10device_ptrIKyEEEESI_EEEEESK_NSA_INS5_IJNSE_INSF_IyEEEESM_EEEEEPS7_SP_SP_NSC_11hip_rocprim7__merge17predicate_wrapperIyyNSC_4lessImEEEEEE10hipError_tPvRmT0_T1_T2_T3_T4_T5_mmT6_P12ihipStream_tbEUlT_E0_NS1_11comp_targetILNS1_3genE8ELNS1_11target_archE1030ELNS1_3gpuE2ELNS1_3repE0EEENS1_30default_config_static_selectorELNS0_4arch9wavefront6targetE0EEEvS10_,@function
_ZN7rocprim17ROCPRIM_400000_NS6detail17trampoline_kernelINS0_14default_configENS1_21merge_config_selectorINS0_5tupleIJyyEEENS0_10empty_typeEEEZNS1_10merge_implIS3_NS0_12zip_iteratorINS5_IJN6thrust23THRUST_200600_302600_NS6detail15normal_iteratorINSC_10device_ptrIKyEEEESI_EEEEESK_NSA_INS5_IJNSE_INSF_IyEEEESM_EEEEEPS7_SP_SP_NSC_11hip_rocprim7__merge17predicate_wrapperIyyNSC_4lessImEEEEEE10hipError_tPvRmT0_T1_T2_T3_T4_T5_mmT6_P12ihipStream_tbEUlT_E0_NS1_11comp_targetILNS1_3genE8ELNS1_11target_archE1030ELNS1_3gpuE2ELNS1_3repE0EEENS1_30default_config_static_selectorELNS0_4arch9wavefront6targetE0EEEvS10_: ; @_ZN7rocprim17ROCPRIM_400000_NS6detail17trampoline_kernelINS0_14default_configENS1_21merge_config_selectorINS0_5tupleIJyyEEENS0_10empty_typeEEEZNS1_10merge_implIS3_NS0_12zip_iteratorINS5_IJN6thrust23THRUST_200600_302600_NS6detail15normal_iteratorINSC_10device_ptrIKyEEEESI_EEEEESK_NSA_INS5_IJNSE_INSF_IyEEEESM_EEEEEPS7_SP_SP_NSC_11hip_rocprim7__merge17predicate_wrapperIyyNSC_4lessImEEEEEE10hipError_tPvRmT0_T1_T2_T3_T4_T5_mmT6_P12ihipStream_tbEUlT_E0_NS1_11comp_targetILNS1_3genE8ELNS1_11target_archE1030ELNS1_3gpuE2ELNS1_3repE0EEENS1_30default_config_static_selectorELNS0_4arch9wavefront6targetE0EEEvS10_
; %bb.0:
	.section	.rodata,"a",@progbits
	.p2align	6, 0x0
	.amdhsa_kernel _ZN7rocprim17ROCPRIM_400000_NS6detail17trampoline_kernelINS0_14default_configENS1_21merge_config_selectorINS0_5tupleIJyyEEENS0_10empty_typeEEEZNS1_10merge_implIS3_NS0_12zip_iteratorINS5_IJN6thrust23THRUST_200600_302600_NS6detail15normal_iteratorINSC_10device_ptrIKyEEEESI_EEEEESK_NSA_INS5_IJNSE_INSF_IyEEEESM_EEEEEPS7_SP_SP_NSC_11hip_rocprim7__merge17predicate_wrapperIyyNSC_4lessImEEEEEE10hipError_tPvRmT0_T1_T2_T3_T4_T5_mmT6_P12ihipStream_tbEUlT_E0_NS1_11comp_targetILNS1_3genE8ELNS1_11target_archE1030ELNS1_3gpuE2ELNS1_3repE0EEENS1_30default_config_static_selectorELNS0_4arch9wavefront6targetE0EEEvS10_
		.amdhsa_group_segment_fixed_size 0
		.amdhsa_private_segment_fixed_size 0
		.amdhsa_kernarg_size 112
		.amdhsa_user_sgpr_count 2
		.amdhsa_user_sgpr_dispatch_ptr 0
		.amdhsa_user_sgpr_queue_ptr 0
		.amdhsa_user_sgpr_kernarg_segment_ptr 1
		.amdhsa_user_sgpr_dispatch_id 0
		.amdhsa_user_sgpr_kernarg_preload_length 0
		.amdhsa_user_sgpr_kernarg_preload_offset 0
		.amdhsa_user_sgpr_private_segment_size 0
		.amdhsa_wavefront_size32 1
		.amdhsa_uses_dynamic_stack 0
		.amdhsa_enable_private_segment 0
		.amdhsa_system_sgpr_workgroup_id_x 1
		.amdhsa_system_sgpr_workgroup_id_y 0
		.amdhsa_system_sgpr_workgroup_id_z 0
		.amdhsa_system_sgpr_workgroup_info 0
		.amdhsa_system_vgpr_workitem_id 0
		.amdhsa_next_free_vgpr 1
		.amdhsa_next_free_sgpr 1
		.amdhsa_named_barrier_count 0
		.amdhsa_reserve_vcc 0
		.amdhsa_float_round_mode_32 0
		.amdhsa_float_round_mode_16_64 0
		.amdhsa_float_denorm_mode_32 3
		.amdhsa_float_denorm_mode_16_64 3
		.amdhsa_fp16_overflow 0
		.amdhsa_memory_ordered 1
		.amdhsa_forward_progress 1
		.amdhsa_inst_pref_size 0
		.amdhsa_round_robin_scheduling 0
		.amdhsa_exception_fp_ieee_invalid_op 0
		.amdhsa_exception_fp_denorm_src 0
		.amdhsa_exception_fp_ieee_div_zero 0
		.amdhsa_exception_fp_ieee_overflow 0
		.amdhsa_exception_fp_ieee_underflow 0
		.amdhsa_exception_fp_ieee_inexact 0
		.amdhsa_exception_int_div_zero 0
	.end_amdhsa_kernel
	.section	.text._ZN7rocprim17ROCPRIM_400000_NS6detail17trampoline_kernelINS0_14default_configENS1_21merge_config_selectorINS0_5tupleIJyyEEENS0_10empty_typeEEEZNS1_10merge_implIS3_NS0_12zip_iteratorINS5_IJN6thrust23THRUST_200600_302600_NS6detail15normal_iteratorINSC_10device_ptrIKyEEEESI_EEEEESK_NSA_INS5_IJNSE_INSF_IyEEEESM_EEEEEPS7_SP_SP_NSC_11hip_rocprim7__merge17predicate_wrapperIyyNSC_4lessImEEEEEE10hipError_tPvRmT0_T1_T2_T3_T4_T5_mmT6_P12ihipStream_tbEUlT_E0_NS1_11comp_targetILNS1_3genE8ELNS1_11target_archE1030ELNS1_3gpuE2ELNS1_3repE0EEENS1_30default_config_static_selectorELNS0_4arch9wavefront6targetE0EEEvS10_,"axG",@progbits,_ZN7rocprim17ROCPRIM_400000_NS6detail17trampoline_kernelINS0_14default_configENS1_21merge_config_selectorINS0_5tupleIJyyEEENS0_10empty_typeEEEZNS1_10merge_implIS3_NS0_12zip_iteratorINS5_IJN6thrust23THRUST_200600_302600_NS6detail15normal_iteratorINSC_10device_ptrIKyEEEESI_EEEEESK_NSA_INS5_IJNSE_INSF_IyEEEESM_EEEEEPS7_SP_SP_NSC_11hip_rocprim7__merge17predicate_wrapperIyyNSC_4lessImEEEEEE10hipError_tPvRmT0_T1_T2_T3_T4_T5_mmT6_P12ihipStream_tbEUlT_E0_NS1_11comp_targetILNS1_3genE8ELNS1_11target_archE1030ELNS1_3gpuE2ELNS1_3repE0EEENS1_30default_config_static_selectorELNS0_4arch9wavefront6targetE0EEEvS10_,comdat
.Lfunc_end478:
	.size	_ZN7rocprim17ROCPRIM_400000_NS6detail17trampoline_kernelINS0_14default_configENS1_21merge_config_selectorINS0_5tupleIJyyEEENS0_10empty_typeEEEZNS1_10merge_implIS3_NS0_12zip_iteratorINS5_IJN6thrust23THRUST_200600_302600_NS6detail15normal_iteratorINSC_10device_ptrIKyEEEESI_EEEEESK_NSA_INS5_IJNSE_INSF_IyEEEESM_EEEEEPS7_SP_SP_NSC_11hip_rocprim7__merge17predicate_wrapperIyyNSC_4lessImEEEEEE10hipError_tPvRmT0_T1_T2_T3_T4_T5_mmT6_P12ihipStream_tbEUlT_E0_NS1_11comp_targetILNS1_3genE8ELNS1_11target_archE1030ELNS1_3gpuE2ELNS1_3repE0EEENS1_30default_config_static_selectorELNS0_4arch9wavefront6targetE0EEEvS10_, .Lfunc_end478-_ZN7rocprim17ROCPRIM_400000_NS6detail17trampoline_kernelINS0_14default_configENS1_21merge_config_selectorINS0_5tupleIJyyEEENS0_10empty_typeEEEZNS1_10merge_implIS3_NS0_12zip_iteratorINS5_IJN6thrust23THRUST_200600_302600_NS6detail15normal_iteratorINSC_10device_ptrIKyEEEESI_EEEEESK_NSA_INS5_IJNSE_INSF_IyEEEESM_EEEEEPS7_SP_SP_NSC_11hip_rocprim7__merge17predicate_wrapperIyyNSC_4lessImEEEEEE10hipError_tPvRmT0_T1_T2_T3_T4_T5_mmT6_P12ihipStream_tbEUlT_E0_NS1_11comp_targetILNS1_3genE8ELNS1_11target_archE1030ELNS1_3gpuE2ELNS1_3repE0EEENS1_30default_config_static_selectorELNS0_4arch9wavefront6targetE0EEEvS10_
                                        ; -- End function
	.set _ZN7rocprim17ROCPRIM_400000_NS6detail17trampoline_kernelINS0_14default_configENS1_21merge_config_selectorINS0_5tupleIJyyEEENS0_10empty_typeEEEZNS1_10merge_implIS3_NS0_12zip_iteratorINS5_IJN6thrust23THRUST_200600_302600_NS6detail15normal_iteratorINSC_10device_ptrIKyEEEESI_EEEEESK_NSA_INS5_IJNSE_INSF_IyEEEESM_EEEEEPS7_SP_SP_NSC_11hip_rocprim7__merge17predicate_wrapperIyyNSC_4lessImEEEEEE10hipError_tPvRmT0_T1_T2_T3_T4_T5_mmT6_P12ihipStream_tbEUlT_E0_NS1_11comp_targetILNS1_3genE8ELNS1_11target_archE1030ELNS1_3gpuE2ELNS1_3repE0EEENS1_30default_config_static_selectorELNS0_4arch9wavefront6targetE0EEEvS10_.num_vgpr, 0
	.set _ZN7rocprim17ROCPRIM_400000_NS6detail17trampoline_kernelINS0_14default_configENS1_21merge_config_selectorINS0_5tupleIJyyEEENS0_10empty_typeEEEZNS1_10merge_implIS3_NS0_12zip_iteratorINS5_IJN6thrust23THRUST_200600_302600_NS6detail15normal_iteratorINSC_10device_ptrIKyEEEESI_EEEEESK_NSA_INS5_IJNSE_INSF_IyEEEESM_EEEEEPS7_SP_SP_NSC_11hip_rocprim7__merge17predicate_wrapperIyyNSC_4lessImEEEEEE10hipError_tPvRmT0_T1_T2_T3_T4_T5_mmT6_P12ihipStream_tbEUlT_E0_NS1_11comp_targetILNS1_3genE8ELNS1_11target_archE1030ELNS1_3gpuE2ELNS1_3repE0EEENS1_30default_config_static_selectorELNS0_4arch9wavefront6targetE0EEEvS10_.num_agpr, 0
	.set _ZN7rocprim17ROCPRIM_400000_NS6detail17trampoline_kernelINS0_14default_configENS1_21merge_config_selectorINS0_5tupleIJyyEEENS0_10empty_typeEEEZNS1_10merge_implIS3_NS0_12zip_iteratorINS5_IJN6thrust23THRUST_200600_302600_NS6detail15normal_iteratorINSC_10device_ptrIKyEEEESI_EEEEESK_NSA_INS5_IJNSE_INSF_IyEEEESM_EEEEEPS7_SP_SP_NSC_11hip_rocprim7__merge17predicate_wrapperIyyNSC_4lessImEEEEEE10hipError_tPvRmT0_T1_T2_T3_T4_T5_mmT6_P12ihipStream_tbEUlT_E0_NS1_11comp_targetILNS1_3genE8ELNS1_11target_archE1030ELNS1_3gpuE2ELNS1_3repE0EEENS1_30default_config_static_selectorELNS0_4arch9wavefront6targetE0EEEvS10_.numbered_sgpr, 0
	.set _ZN7rocprim17ROCPRIM_400000_NS6detail17trampoline_kernelINS0_14default_configENS1_21merge_config_selectorINS0_5tupleIJyyEEENS0_10empty_typeEEEZNS1_10merge_implIS3_NS0_12zip_iteratorINS5_IJN6thrust23THRUST_200600_302600_NS6detail15normal_iteratorINSC_10device_ptrIKyEEEESI_EEEEESK_NSA_INS5_IJNSE_INSF_IyEEEESM_EEEEEPS7_SP_SP_NSC_11hip_rocprim7__merge17predicate_wrapperIyyNSC_4lessImEEEEEE10hipError_tPvRmT0_T1_T2_T3_T4_T5_mmT6_P12ihipStream_tbEUlT_E0_NS1_11comp_targetILNS1_3genE8ELNS1_11target_archE1030ELNS1_3gpuE2ELNS1_3repE0EEENS1_30default_config_static_selectorELNS0_4arch9wavefront6targetE0EEEvS10_.num_named_barrier, 0
	.set _ZN7rocprim17ROCPRIM_400000_NS6detail17trampoline_kernelINS0_14default_configENS1_21merge_config_selectorINS0_5tupleIJyyEEENS0_10empty_typeEEEZNS1_10merge_implIS3_NS0_12zip_iteratorINS5_IJN6thrust23THRUST_200600_302600_NS6detail15normal_iteratorINSC_10device_ptrIKyEEEESI_EEEEESK_NSA_INS5_IJNSE_INSF_IyEEEESM_EEEEEPS7_SP_SP_NSC_11hip_rocprim7__merge17predicate_wrapperIyyNSC_4lessImEEEEEE10hipError_tPvRmT0_T1_T2_T3_T4_T5_mmT6_P12ihipStream_tbEUlT_E0_NS1_11comp_targetILNS1_3genE8ELNS1_11target_archE1030ELNS1_3gpuE2ELNS1_3repE0EEENS1_30default_config_static_selectorELNS0_4arch9wavefront6targetE0EEEvS10_.private_seg_size, 0
	.set _ZN7rocprim17ROCPRIM_400000_NS6detail17trampoline_kernelINS0_14default_configENS1_21merge_config_selectorINS0_5tupleIJyyEEENS0_10empty_typeEEEZNS1_10merge_implIS3_NS0_12zip_iteratorINS5_IJN6thrust23THRUST_200600_302600_NS6detail15normal_iteratorINSC_10device_ptrIKyEEEESI_EEEEESK_NSA_INS5_IJNSE_INSF_IyEEEESM_EEEEEPS7_SP_SP_NSC_11hip_rocprim7__merge17predicate_wrapperIyyNSC_4lessImEEEEEE10hipError_tPvRmT0_T1_T2_T3_T4_T5_mmT6_P12ihipStream_tbEUlT_E0_NS1_11comp_targetILNS1_3genE8ELNS1_11target_archE1030ELNS1_3gpuE2ELNS1_3repE0EEENS1_30default_config_static_selectorELNS0_4arch9wavefront6targetE0EEEvS10_.uses_vcc, 0
	.set _ZN7rocprim17ROCPRIM_400000_NS6detail17trampoline_kernelINS0_14default_configENS1_21merge_config_selectorINS0_5tupleIJyyEEENS0_10empty_typeEEEZNS1_10merge_implIS3_NS0_12zip_iteratorINS5_IJN6thrust23THRUST_200600_302600_NS6detail15normal_iteratorINSC_10device_ptrIKyEEEESI_EEEEESK_NSA_INS5_IJNSE_INSF_IyEEEESM_EEEEEPS7_SP_SP_NSC_11hip_rocprim7__merge17predicate_wrapperIyyNSC_4lessImEEEEEE10hipError_tPvRmT0_T1_T2_T3_T4_T5_mmT6_P12ihipStream_tbEUlT_E0_NS1_11comp_targetILNS1_3genE8ELNS1_11target_archE1030ELNS1_3gpuE2ELNS1_3repE0EEENS1_30default_config_static_selectorELNS0_4arch9wavefront6targetE0EEEvS10_.uses_flat_scratch, 0
	.set _ZN7rocprim17ROCPRIM_400000_NS6detail17trampoline_kernelINS0_14default_configENS1_21merge_config_selectorINS0_5tupleIJyyEEENS0_10empty_typeEEEZNS1_10merge_implIS3_NS0_12zip_iteratorINS5_IJN6thrust23THRUST_200600_302600_NS6detail15normal_iteratorINSC_10device_ptrIKyEEEESI_EEEEESK_NSA_INS5_IJNSE_INSF_IyEEEESM_EEEEEPS7_SP_SP_NSC_11hip_rocprim7__merge17predicate_wrapperIyyNSC_4lessImEEEEEE10hipError_tPvRmT0_T1_T2_T3_T4_T5_mmT6_P12ihipStream_tbEUlT_E0_NS1_11comp_targetILNS1_3genE8ELNS1_11target_archE1030ELNS1_3gpuE2ELNS1_3repE0EEENS1_30default_config_static_selectorELNS0_4arch9wavefront6targetE0EEEvS10_.has_dyn_sized_stack, 0
	.set _ZN7rocprim17ROCPRIM_400000_NS6detail17trampoline_kernelINS0_14default_configENS1_21merge_config_selectorINS0_5tupleIJyyEEENS0_10empty_typeEEEZNS1_10merge_implIS3_NS0_12zip_iteratorINS5_IJN6thrust23THRUST_200600_302600_NS6detail15normal_iteratorINSC_10device_ptrIKyEEEESI_EEEEESK_NSA_INS5_IJNSE_INSF_IyEEEESM_EEEEEPS7_SP_SP_NSC_11hip_rocprim7__merge17predicate_wrapperIyyNSC_4lessImEEEEEE10hipError_tPvRmT0_T1_T2_T3_T4_T5_mmT6_P12ihipStream_tbEUlT_E0_NS1_11comp_targetILNS1_3genE8ELNS1_11target_archE1030ELNS1_3gpuE2ELNS1_3repE0EEENS1_30default_config_static_selectorELNS0_4arch9wavefront6targetE0EEEvS10_.has_recursion, 0
	.set _ZN7rocprim17ROCPRIM_400000_NS6detail17trampoline_kernelINS0_14default_configENS1_21merge_config_selectorINS0_5tupleIJyyEEENS0_10empty_typeEEEZNS1_10merge_implIS3_NS0_12zip_iteratorINS5_IJN6thrust23THRUST_200600_302600_NS6detail15normal_iteratorINSC_10device_ptrIKyEEEESI_EEEEESK_NSA_INS5_IJNSE_INSF_IyEEEESM_EEEEEPS7_SP_SP_NSC_11hip_rocprim7__merge17predicate_wrapperIyyNSC_4lessImEEEEEE10hipError_tPvRmT0_T1_T2_T3_T4_T5_mmT6_P12ihipStream_tbEUlT_E0_NS1_11comp_targetILNS1_3genE8ELNS1_11target_archE1030ELNS1_3gpuE2ELNS1_3repE0EEENS1_30default_config_static_selectorELNS0_4arch9wavefront6targetE0EEEvS10_.has_indirect_call, 0
	.section	.AMDGPU.csdata,"",@progbits
; Kernel info:
; codeLenInByte = 0
; TotalNumSgprs: 0
; NumVgprs: 0
; ScratchSize: 0
; MemoryBound: 0
; FloatMode: 240
; IeeeMode: 1
; LDSByteSize: 0 bytes/workgroup (compile time only)
; SGPRBlocks: 0
; VGPRBlocks: 0
; NumSGPRsForWavesPerEU: 1
; NumVGPRsForWavesPerEU: 1
; NamedBarCnt: 0
; Occupancy: 16
; WaveLimiterHint : 0
; COMPUTE_PGM_RSRC2:SCRATCH_EN: 0
; COMPUTE_PGM_RSRC2:USER_SGPR: 2
; COMPUTE_PGM_RSRC2:TRAP_HANDLER: 0
; COMPUTE_PGM_RSRC2:TGID_X_EN: 1
; COMPUTE_PGM_RSRC2:TGID_Y_EN: 0
; COMPUTE_PGM_RSRC2:TGID_Z_EN: 0
; COMPUTE_PGM_RSRC2:TIDIG_COMP_CNT: 0
	.section	.text._ZN7rocprim17ROCPRIM_400000_NS6detail17trampoline_kernelINS0_14default_configENS1_21merge_config_selectorINS0_5tupleIJddEEENS0_10empty_typeEEEZNS1_10merge_implIS3_NS0_12zip_iteratorINS5_IJN6thrust23THRUST_200600_302600_NS6detail15normal_iteratorINSC_10device_ptrIKdEEEESI_EEEEESK_NSA_INS5_IJNSC_16discard_iteratorINSC_11use_defaultEEESN_EEEEEPS7_SQ_SQ_NSC_11hip_rocprim7__merge17predicate_wrapperIddNSC_4lessIdEEEEEE10hipError_tPvRmT0_T1_T2_T3_T4_T5_mmT6_P12ihipStream_tbEUlT_E_NS1_11comp_targetILNS1_3genE0ELNS1_11target_archE4294967295ELNS1_3gpuE0ELNS1_3repE0EEENS1_30default_config_static_selectorELNS0_4arch9wavefront6targetE0EEEvS11_,"axG",@progbits,_ZN7rocprim17ROCPRIM_400000_NS6detail17trampoline_kernelINS0_14default_configENS1_21merge_config_selectorINS0_5tupleIJddEEENS0_10empty_typeEEEZNS1_10merge_implIS3_NS0_12zip_iteratorINS5_IJN6thrust23THRUST_200600_302600_NS6detail15normal_iteratorINSC_10device_ptrIKdEEEESI_EEEEESK_NSA_INS5_IJNSC_16discard_iteratorINSC_11use_defaultEEESN_EEEEEPS7_SQ_SQ_NSC_11hip_rocprim7__merge17predicate_wrapperIddNSC_4lessIdEEEEEE10hipError_tPvRmT0_T1_T2_T3_T4_T5_mmT6_P12ihipStream_tbEUlT_E_NS1_11comp_targetILNS1_3genE0ELNS1_11target_archE4294967295ELNS1_3gpuE0ELNS1_3repE0EEENS1_30default_config_static_selectorELNS0_4arch9wavefront6targetE0EEEvS11_,comdat
	.protected	_ZN7rocprim17ROCPRIM_400000_NS6detail17trampoline_kernelINS0_14default_configENS1_21merge_config_selectorINS0_5tupleIJddEEENS0_10empty_typeEEEZNS1_10merge_implIS3_NS0_12zip_iteratorINS5_IJN6thrust23THRUST_200600_302600_NS6detail15normal_iteratorINSC_10device_ptrIKdEEEESI_EEEEESK_NSA_INS5_IJNSC_16discard_iteratorINSC_11use_defaultEEESN_EEEEEPS7_SQ_SQ_NSC_11hip_rocprim7__merge17predicate_wrapperIddNSC_4lessIdEEEEEE10hipError_tPvRmT0_T1_T2_T3_T4_T5_mmT6_P12ihipStream_tbEUlT_E_NS1_11comp_targetILNS1_3genE0ELNS1_11target_archE4294967295ELNS1_3gpuE0ELNS1_3repE0EEENS1_30default_config_static_selectorELNS0_4arch9wavefront6targetE0EEEvS11_ ; -- Begin function _ZN7rocprim17ROCPRIM_400000_NS6detail17trampoline_kernelINS0_14default_configENS1_21merge_config_selectorINS0_5tupleIJddEEENS0_10empty_typeEEEZNS1_10merge_implIS3_NS0_12zip_iteratorINS5_IJN6thrust23THRUST_200600_302600_NS6detail15normal_iteratorINSC_10device_ptrIKdEEEESI_EEEEESK_NSA_INS5_IJNSC_16discard_iteratorINSC_11use_defaultEEESN_EEEEEPS7_SQ_SQ_NSC_11hip_rocprim7__merge17predicate_wrapperIddNSC_4lessIdEEEEEE10hipError_tPvRmT0_T1_T2_T3_T4_T5_mmT6_P12ihipStream_tbEUlT_E_NS1_11comp_targetILNS1_3genE0ELNS1_11target_archE4294967295ELNS1_3gpuE0ELNS1_3repE0EEENS1_30default_config_static_selectorELNS0_4arch9wavefront6targetE0EEEvS11_
	.globl	_ZN7rocprim17ROCPRIM_400000_NS6detail17trampoline_kernelINS0_14default_configENS1_21merge_config_selectorINS0_5tupleIJddEEENS0_10empty_typeEEEZNS1_10merge_implIS3_NS0_12zip_iteratorINS5_IJN6thrust23THRUST_200600_302600_NS6detail15normal_iteratorINSC_10device_ptrIKdEEEESI_EEEEESK_NSA_INS5_IJNSC_16discard_iteratorINSC_11use_defaultEEESN_EEEEEPS7_SQ_SQ_NSC_11hip_rocprim7__merge17predicate_wrapperIddNSC_4lessIdEEEEEE10hipError_tPvRmT0_T1_T2_T3_T4_T5_mmT6_P12ihipStream_tbEUlT_E_NS1_11comp_targetILNS1_3genE0ELNS1_11target_archE4294967295ELNS1_3gpuE0ELNS1_3repE0EEENS1_30default_config_static_selectorELNS0_4arch9wavefront6targetE0EEEvS11_
	.p2align	8
	.type	_ZN7rocprim17ROCPRIM_400000_NS6detail17trampoline_kernelINS0_14default_configENS1_21merge_config_selectorINS0_5tupleIJddEEENS0_10empty_typeEEEZNS1_10merge_implIS3_NS0_12zip_iteratorINS5_IJN6thrust23THRUST_200600_302600_NS6detail15normal_iteratorINSC_10device_ptrIKdEEEESI_EEEEESK_NSA_INS5_IJNSC_16discard_iteratorINSC_11use_defaultEEESN_EEEEEPS7_SQ_SQ_NSC_11hip_rocprim7__merge17predicate_wrapperIddNSC_4lessIdEEEEEE10hipError_tPvRmT0_T1_T2_T3_T4_T5_mmT6_P12ihipStream_tbEUlT_E_NS1_11comp_targetILNS1_3genE0ELNS1_11target_archE4294967295ELNS1_3gpuE0ELNS1_3repE0EEENS1_30default_config_static_selectorELNS0_4arch9wavefront6targetE0EEEvS11_,@function
_ZN7rocprim17ROCPRIM_400000_NS6detail17trampoline_kernelINS0_14default_configENS1_21merge_config_selectorINS0_5tupleIJddEEENS0_10empty_typeEEEZNS1_10merge_implIS3_NS0_12zip_iteratorINS5_IJN6thrust23THRUST_200600_302600_NS6detail15normal_iteratorINSC_10device_ptrIKdEEEESI_EEEEESK_NSA_INS5_IJNSC_16discard_iteratorINSC_11use_defaultEEESN_EEEEEPS7_SQ_SQ_NSC_11hip_rocprim7__merge17predicate_wrapperIddNSC_4lessIdEEEEEE10hipError_tPvRmT0_T1_T2_T3_T4_T5_mmT6_P12ihipStream_tbEUlT_E_NS1_11comp_targetILNS1_3genE0ELNS1_11target_archE4294967295ELNS1_3gpuE0ELNS1_3repE0EEENS1_30default_config_static_selectorELNS0_4arch9wavefront6targetE0EEEvS11_: ; @_ZN7rocprim17ROCPRIM_400000_NS6detail17trampoline_kernelINS0_14default_configENS1_21merge_config_selectorINS0_5tupleIJddEEENS0_10empty_typeEEEZNS1_10merge_implIS3_NS0_12zip_iteratorINS5_IJN6thrust23THRUST_200600_302600_NS6detail15normal_iteratorINSC_10device_ptrIKdEEEESI_EEEEESK_NSA_INS5_IJNSC_16discard_iteratorINSC_11use_defaultEEESN_EEEEEPS7_SQ_SQ_NSC_11hip_rocprim7__merge17predicate_wrapperIddNSC_4lessIdEEEEEE10hipError_tPvRmT0_T1_T2_T3_T4_T5_mmT6_P12ihipStream_tbEUlT_E_NS1_11comp_targetILNS1_3genE0ELNS1_11target_archE4294967295ELNS1_3gpuE0ELNS1_3repE0EEENS1_30default_config_static_selectorELNS0_4arch9wavefront6targetE0EEEvS11_
; %bb.0:
	s_clause 0x2
	s_load_b32 s4, s[0:1], 0x38
	s_load_b32 s2, s[0:1], 0x4c
	s_load_b128 s[8:11], s[0:1], 0x28
	s_getreg_b32 s7, hwreg(HW_REG_IB_STS2, 6, 4)
	s_wait_kmcnt 0x0
	s_cvt_f32_u32 s3, s4
	s_and_b32 s6, s2, 0xffff
	s_and_b32 s2, ttmp6, 15
	s_delay_alu instid0(SALU_CYCLE_1) | instskip(SKIP_1) | instid1(SALU_CYCLE_1)
	v_rcp_iflag_f32_e32 v1, s3
	s_bfe_u32 s3, ttmp6, 0x4000c
	s_add_co_i32 s3, s3, 1
	s_delay_alu instid0(SALU_CYCLE_1) | instskip(NEXT) | instid1(SALU_CYCLE_1)
	s_mul_i32 s3, ttmp9, s3
	s_add_co_i32 s2, s2, s3
	v_nop
	s_delay_alu instid0(TRANS32_DEP_1)
	v_readfirstlane_b32 s5, v1
	s_cmp_eq_u32 s7, 0
	s_cselect_b32 s7, ttmp9, s2
	s_sub_co_i32 s12, 0, s4
	s_mul_f32 s5, s5, 0x4f7ffffe
	s_add_nc_u64 s[2:3], s[10:11], s[8:9]
	v_mad_u32 v6, s7, s6, v0
	s_add_co_i32 s13, s4, s2
	s_cvt_u32_f32 s5, s5
	s_add_co_i32 s13, s13, -1
	s_delay_alu instid0(SALU_CYCLE_2) | instskip(NEXT) | instid1(SALU_CYCLE_1)
	s_mul_i32 s12, s12, s5
	s_mul_hi_u32 s12, s5, s12
	s_delay_alu instid0(SALU_CYCLE_1) | instskip(NEXT) | instid1(SALU_CYCLE_1)
	s_add_co_i32 s5, s5, s12
	s_mul_hi_u32 s5, s13, s5
	s_delay_alu instid0(SALU_CYCLE_1) | instskip(SKIP_2) | instid1(SALU_CYCLE_1)
	s_mul_i32 s12, s5, s4
	s_add_co_i32 s7, s5, 1
	s_sub_co_i32 s6, s13, s12
	s_sub_co_i32 s12, s6, s4
	s_cmp_ge_u32 s6, s4
	s_cselect_b32 s5, s7, s5
	s_cselect_b32 s6, s12, s6
	s_add_co_i32 s7, s5, 1
	s_cmp_ge_u32 s6, s4
	s_cselect_b32 s5, s7, s5
	s_delay_alu instid0(SALU_CYCLE_1)
	v_cmp_ge_u32_e32 vcc_lo, s5, v6
	s_and_saveexec_b32 s5, vcc_lo
	s_cbranch_execz .LBB479_6
; %bb.1:
	v_mul_lo_u32 v0, v6, s4
	v_mov_b32_e32 v1, 0
	s_load_b128 s[4:7], s[0:1], 0x0
	s_delay_alu instid0(VALU_DEP_1) | instskip(SKIP_1) | instid1(VALU_DEP_1)
	v_min_u64 v[4:5], v[0:1], s[2:3]
	s_mov_b32 s2, exec_lo
	v_max_u64 v[0:1], v[4:5], s[10:11]
	v_min_u64 v[2:3], v[4:5], s[8:9]
	s_delay_alu instid0(VALU_DEP_2) | instskip(NEXT) | instid1(VALU_DEP_1)
	v_sub_nc_u64_e64 v[0:1], v[0:1], s[10:11]
	v_cmpx_lt_u64_e64 v[0:1], v[2:3]
	s_cbranch_execz .LBB479_5
; %bb.2:
	s_wait_xcnt 0x0
	s_load_b64 s[0:1], s[0:1], 0x18
	s_wait_kmcnt 0x0
	v_lshl_add_u64 v[4:5], v[4:5], 3, s[0:1]
	s_mov_b32 s0, 0
.LBB479_3:                              ; =>This Inner Loop Header: Depth=1
	v_add_nc_u64_e32 v[8:9], v[2:3], v[0:1]
	s_delay_alu instid0(VALU_DEP_1) | instskip(NEXT) | instid1(VALU_DEP_1)
	v_lshrrev_b64 v[8:9], 1, v[8:9]
	v_lshlrev_b64_e32 v[10:11], 3, v[8:9]
	s_delay_alu instid0(VALU_DEP_1) | instskip(NEXT) | instid1(VALU_DEP_2)
	v_xor_b32_e32 v13, -1, v11
	v_xor_b32_e32 v12, -8, v10
	v_add_nc_u64_e32 v[10:11], s[6:7], v[10:11]
	s_delay_alu instid0(VALU_DEP_2)
	v_add_nc_u64_e32 v[12:13], v[4:5], v[12:13]
	global_load_b64 v[14:15], v[10:11], off
	global_load_b64 v[16:17], v[12:13], off
	s_wait_xcnt 0x1
	v_add_nc_u64_e32 v[10:11], 1, v[8:9]
	s_wait_loadcnt 0x0
	v_cmp_lt_f64_e32 vcc_lo, v[16:17], v[14:15]
	v_dual_cndmask_b32 v3, v3, v9 :: v_dual_cndmask_b32 v2, v2, v8
	s_delay_alu instid0(VALU_DEP_3) | instskip(NEXT) | instid1(VALU_DEP_1)
	v_dual_cndmask_b32 v1, v11, v1 :: v_dual_cndmask_b32 v0, v10, v0
	v_cmp_ge_u64_e32 vcc_lo, v[0:1], v[2:3]
	s_or_b32 s0, vcc_lo, s0
	s_delay_alu instid0(SALU_CYCLE_1)
	s_and_not1_b32 exec_lo, exec_lo, s0
	s_cbranch_execnz .LBB479_3
; %bb.4:
	s_or_b32 exec_lo, exec_lo, s0
.LBB479_5:
	s_delay_alu instid0(SALU_CYCLE_1)
	s_or_b32 exec_lo, exec_lo, s2
	s_wait_kmcnt 0x0
	global_store_b32 v6, v0, s[4:5] scale_offset
.LBB479_6:
	s_endpgm
	.section	.rodata,"a",@progbits
	.p2align	6, 0x0
	.amdhsa_kernel _ZN7rocprim17ROCPRIM_400000_NS6detail17trampoline_kernelINS0_14default_configENS1_21merge_config_selectorINS0_5tupleIJddEEENS0_10empty_typeEEEZNS1_10merge_implIS3_NS0_12zip_iteratorINS5_IJN6thrust23THRUST_200600_302600_NS6detail15normal_iteratorINSC_10device_ptrIKdEEEESI_EEEEESK_NSA_INS5_IJNSC_16discard_iteratorINSC_11use_defaultEEESN_EEEEEPS7_SQ_SQ_NSC_11hip_rocprim7__merge17predicate_wrapperIddNSC_4lessIdEEEEEE10hipError_tPvRmT0_T1_T2_T3_T4_T5_mmT6_P12ihipStream_tbEUlT_E_NS1_11comp_targetILNS1_3genE0ELNS1_11target_archE4294967295ELNS1_3gpuE0ELNS1_3repE0EEENS1_30default_config_static_selectorELNS0_4arch9wavefront6targetE0EEEvS11_
		.amdhsa_group_segment_fixed_size 0
		.amdhsa_private_segment_fixed_size 0
		.amdhsa_kernarg_size 320
		.amdhsa_user_sgpr_count 2
		.amdhsa_user_sgpr_dispatch_ptr 0
		.amdhsa_user_sgpr_queue_ptr 0
		.amdhsa_user_sgpr_kernarg_segment_ptr 1
		.amdhsa_user_sgpr_dispatch_id 0
		.amdhsa_user_sgpr_kernarg_preload_length 0
		.amdhsa_user_sgpr_kernarg_preload_offset 0
		.amdhsa_user_sgpr_private_segment_size 0
		.amdhsa_wavefront_size32 1
		.amdhsa_uses_dynamic_stack 0
		.amdhsa_enable_private_segment 0
		.amdhsa_system_sgpr_workgroup_id_x 1
		.amdhsa_system_sgpr_workgroup_id_y 0
		.amdhsa_system_sgpr_workgroup_id_z 0
		.amdhsa_system_sgpr_workgroup_info 0
		.amdhsa_system_vgpr_workitem_id 0
		.amdhsa_next_free_vgpr 18
		.amdhsa_next_free_sgpr 14
		.amdhsa_named_barrier_count 0
		.amdhsa_reserve_vcc 1
		.amdhsa_float_round_mode_32 0
		.amdhsa_float_round_mode_16_64 0
		.amdhsa_float_denorm_mode_32 3
		.amdhsa_float_denorm_mode_16_64 3
		.amdhsa_fp16_overflow 0
		.amdhsa_memory_ordered 1
		.amdhsa_forward_progress 1
		.amdhsa_inst_pref_size 4
		.amdhsa_round_robin_scheduling 0
		.amdhsa_exception_fp_ieee_invalid_op 0
		.amdhsa_exception_fp_denorm_src 0
		.amdhsa_exception_fp_ieee_div_zero 0
		.amdhsa_exception_fp_ieee_overflow 0
		.amdhsa_exception_fp_ieee_underflow 0
		.amdhsa_exception_fp_ieee_inexact 0
		.amdhsa_exception_int_div_zero 0
	.end_amdhsa_kernel
	.section	.text._ZN7rocprim17ROCPRIM_400000_NS6detail17trampoline_kernelINS0_14default_configENS1_21merge_config_selectorINS0_5tupleIJddEEENS0_10empty_typeEEEZNS1_10merge_implIS3_NS0_12zip_iteratorINS5_IJN6thrust23THRUST_200600_302600_NS6detail15normal_iteratorINSC_10device_ptrIKdEEEESI_EEEEESK_NSA_INS5_IJNSC_16discard_iteratorINSC_11use_defaultEEESN_EEEEEPS7_SQ_SQ_NSC_11hip_rocprim7__merge17predicate_wrapperIddNSC_4lessIdEEEEEE10hipError_tPvRmT0_T1_T2_T3_T4_T5_mmT6_P12ihipStream_tbEUlT_E_NS1_11comp_targetILNS1_3genE0ELNS1_11target_archE4294967295ELNS1_3gpuE0ELNS1_3repE0EEENS1_30default_config_static_selectorELNS0_4arch9wavefront6targetE0EEEvS11_,"axG",@progbits,_ZN7rocprim17ROCPRIM_400000_NS6detail17trampoline_kernelINS0_14default_configENS1_21merge_config_selectorINS0_5tupleIJddEEENS0_10empty_typeEEEZNS1_10merge_implIS3_NS0_12zip_iteratorINS5_IJN6thrust23THRUST_200600_302600_NS6detail15normal_iteratorINSC_10device_ptrIKdEEEESI_EEEEESK_NSA_INS5_IJNSC_16discard_iteratorINSC_11use_defaultEEESN_EEEEEPS7_SQ_SQ_NSC_11hip_rocprim7__merge17predicate_wrapperIddNSC_4lessIdEEEEEE10hipError_tPvRmT0_T1_T2_T3_T4_T5_mmT6_P12ihipStream_tbEUlT_E_NS1_11comp_targetILNS1_3genE0ELNS1_11target_archE4294967295ELNS1_3gpuE0ELNS1_3repE0EEENS1_30default_config_static_selectorELNS0_4arch9wavefront6targetE0EEEvS11_,comdat
.Lfunc_end479:
	.size	_ZN7rocprim17ROCPRIM_400000_NS6detail17trampoline_kernelINS0_14default_configENS1_21merge_config_selectorINS0_5tupleIJddEEENS0_10empty_typeEEEZNS1_10merge_implIS3_NS0_12zip_iteratorINS5_IJN6thrust23THRUST_200600_302600_NS6detail15normal_iteratorINSC_10device_ptrIKdEEEESI_EEEEESK_NSA_INS5_IJNSC_16discard_iteratorINSC_11use_defaultEEESN_EEEEEPS7_SQ_SQ_NSC_11hip_rocprim7__merge17predicate_wrapperIddNSC_4lessIdEEEEEE10hipError_tPvRmT0_T1_T2_T3_T4_T5_mmT6_P12ihipStream_tbEUlT_E_NS1_11comp_targetILNS1_3genE0ELNS1_11target_archE4294967295ELNS1_3gpuE0ELNS1_3repE0EEENS1_30default_config_static_selectorELNS0_4arch9wavefront6targetE0EEEvS11_, .Lfunc_end479-_ZN7rocprim17ROCPRIM_400000_NS6detail17trampoline_kernelINS0_14default_configENS1_21merge_config_selectorINS0_5tupleIJddEEENS0_10empty_typeEEEZNS1_10merge_implIS3_NS0_12zip_iteratorINS5_IJN6thrust23THRUST_200600_302600_NS6detail15normal_iteratorINSC_10device_ptrIKdEEEESI_EEEEESK_NSA_INS5_IJNSC_16discard_iteratorINSC_11use_defaultEEESN_EEEEEPS7_SQ_SQ_NSC_11hip_rocprim7__merge17predicate_wrapperIddNSC_4lessIdEEEEEE10hipError_tPvRmT0_T1_T2_T3_T4_T5_mmT6_P12ihipStream_tbEUlT_E_NS1_11comp_targetILNS1_3genE0ELNS1_11target_archE4294967295ELNS1_3gpuE0ELNS1_3repE0EEENS1_30default_config_static_selectorELNS0_4arch9wavefront6targetE0EEEvS11_
                                        ; -- End function
	.set _ZN7rocprim17ROCPRIM_400000_NS6detail17trampoline_kernelINS0_14default_configENS1_21merge_config_selectorINS0_5tupleIJddEEENS0_10empty_typeEEEZNS1_10merge_implIS3_NS0_12zip_iteratorINS5_IJN6thrust23THRUST_200600_302600_NS6detail15normal_iteratorINSC_10device_ptrIKdEEEESI_EEEEESK_NSA_INS5_IJNSC_16discard_iteratorINSC_11use_defaultEEESN_EEEEEPS7_SQ_SQ_NSC_11hip_rocprim7__merge17predicate_wrapperIddNSC_4lessIdEEEEEE10hipError_tPvRmT0_T1_T2_T3_T4_T5_mmT6_P12ihipStream_tbEUlT_E_NS1_11comp_targetILNS1_3genE0ELNS1_11target_archE4294967295ELNS1_3gpuE0ELNS1_3repE0EEENS1_30default_config_static_selectorELNS0_4arch9wavefront6targetE0EEEvS11_.num_vgpr, 18
	.set _ZN7rocprim17ROCPRIM_400000_NS6detail17trampoline_kernelINS0_14default_configENS1_21merge_config_selectorINS0_5tupleIJddEEENS0_10empty_typeEEEZNS1_10merge_implIS3_NS0_12zip_iteratorINS5_IJN6thrust23THRUST_200600_302600_NS6detail15normal_iteratorINSC_10device_ptrIKdEEEESI_EEEEESK_NSA_INS5_IJNSC_16discard_iteratorINSC_11use_defaultEEESN_EEEEEPS7_SQ_SQ_NSC_11hip_rocprim7__merge17predicate_wrapperIddNSC_4lessIdEEEEEE10hipError_tPvRmT0_T1_T2_T3_T4_T5_mmT6_P12ihipStream_tbEUlT_E_NS1_11comp_targetILNS1_3genE0ELNS1_11target_archE4294967295ELNS1_3gpuE0ELNS1_3repE0EEENS1_30default_config_static_selectorELNS0_4arch9wavefront6targetE0EEEvS11_.num_agpr, 0
	.set _ZN7rocprim17ROCPRIM_400000_NS6detail17trampoline_kernelINS0_14default_configENS1_21merge_config_selectorINS0_5tupleIJddEEENS0_10empty_typeEEEZNS1_10merge_implIS3_NS0_12zip_iteratorINS5_IJN6thrust23THRUST_200600_302600_NS6detail15normal_iteratorINSC_10device_ptrIKdEEEESI_EEEEESK_NSA_INS5_IJNSC_16discard_iteratorINSC_11use_defaultEEESN_EEEEEPS7_SQ_SQ_NSC_11hip_rocprim7__merge17predicate_wrapperIddNSC_4lessIdEEEEEE10hipError_tPvRmT0_T1_T2_T3_T4_T5_mmT6_P12ihipStream_tbEUlT_E_NS1_11comp_targetILNS1_3genE0ELNS1_11target_archE4294967295ELNS1_3gpuE0ELNS1_3repE0EEENS1_30default_config_static_selectorELNS0_4arch9wavefront6targetE0EEEvS11_.numbered_sgpr, 14
	.set _ZN7rocprim17ROCPRIM_400000_NS6detail17trampoline_kernelINS0_14default_configENS1_21merge_config_selectorINS0_5tupleIJddEEENS0_10empty_typeEEEZNS1_10merge_implIS3_NS0_12zip_iteratorINS5_IJN6thrust23THRUST_200600_302600_NS6detail15normal_iteratorINSC_10device_ptrIKdEEEESI_EEEEESK_NSA_INS5_IJNSC_16discard_iteratorINSC_11use_defaultEEESN_EEEEEPS7_SQ_SQ_NSC_11hip_rocprim7__merge17predicate_wrapperIddNSC_4lessIdEEEEEE10hipError_tPvRmT0_T1_T2_T3_T4_T5_mmT6_P12ihipStream_tbEUlT_E_NS1_11comp_targetILNS1_3genE0ELNS1_11target_archE4294967295ELNS1_3gpuE0ELNS1_3repE0EEENS1_30default_config_static_selectorELNS0_4arch9wavefront6targetE0EEEvS11_.num_named_barrier, 0
	.set _ZN7rocprim17ROCPRIM_400000_NS6detail17trampoline_kernelINS0_14default_configENS1_21merge_config_selectorINS0_5tupleIJddEEENS0_10empty_typeEEEZNS1_10merge_implIS3_NS0_12zip_iteratorINS5_IJN6thrust23THRUST_200600_302600_NS6detail15normal_iteratorINSC_10device_ptrIKdEEEESI_EEEEESK_NSA_INS5_IJNSC_16discard_iteratorINSC_11use_defaultEEESN_EEEEEPS7_SQ_SQ_NSC_11hip_rocprim7__merge17predicate_wrapperIddNSC_4lessIdEEEEEE10hipError_tPvRmT0_T1_T2_T3_T4_T5_mmT6_P12ihipStream_tbEUlT_E_NS1_11comp_targetILNS1_3genE0ELNS1_11target_archE4294967295ELNS1_3gpuE0ELNS1_3repE0EEENS1_30default_config_static_selectorELNS0_4arch9wavefront6targetE0EEEvS11_.private_seg_size, 0
	.set _ZN7rocprim17ROCPRIM_400000_NS6detail17trampoline_kernelINS0_14default_configENS1_21merge_config_selectorINS0_5tupleIJddEEENS0_10empty_typeEEEZNS1_10merge_implIS3_NS0_12zip_iteratorINS5_IJN6thrust23THRUST_200600_302600_NS6detail15normal_iteratorINSC_10device_ptrIKdEEEESI_EEEEESK_NSA_INS5_IJNSC_16discard_iteratorINSC_11use_defaultEEESN_EEEEEPS7_SQ_SQ_NSC_11hip_rocprim7__merge17predicate_wrapperIddNSC_4lessIdEEEEEE10hipError_tPvRmT0_T1_T2_T3_T4_T5_mmT6_P12ihipStream_tbEUlT_E_NS1_11comp_targetILNS1_3genE0ELNS1_11target_archE4294967295ELNS1_3gpuE0ELNS1_3repE0EEENS1_30default_config_static_selectorELNS0_4arch9wavefront6targetE0EEEvS11_.uses_vcc, 1
	.set _ZN7rocprim17ROCPRIM_400000_NS6detail17trampoline_kernelINS0_14default_configENS1_21merge_config_selectorINS0_5tupleIJddEEENS0_10empty_typeEEEZNS1_10merge_implIS3_NS0_12zip_iteratorINS5_IJN6thrust23THRUST_200600_302600_NS6detail15normal_iteratorINSC_10device_ptrIKdEEEESI_EEEEESK_NSA_INS5_IJNSC_16discard_iteratorINSC_11use_defaultEEESN_EEEEEPS7_SQ_SQ_NSC_11hip_rocprim7__merge17predicate_wrapperIddNSC_4lessIdEEEEEE10hipError_tPvRmT0_T1_T2_T3_T4_T5_mmT6_P12ihipStream_tbEUlT_E_NS1_11comp_targetILNS1_3genE0ELNS1_11target_archE4294967295ELNS1_3gpuE0ELNS1_3repE0EEENS1_30default_config_static_selectorELNS0_4arch9wavefront6targetE0EEEvS11_.uses_flat_scratch, 0
	.set _ZN7rocprim17ROCPRIM_400000_NS6detail17trampoline_kernelINS0_14default_configENS1_21merge_config_selectorINS0_5tupleIJddEEENS0_10empty_typeEEEZNS1_10merge_implIS3_NS0_12zip_iteratorINS5_IJN6thrust23THRUST_200600_302600_NS6detail15normal_iteratorINSC_10device_ptrIKdEEEESI_EEEEESK_NSA_INS5_IJNSC_16discard_iteratorINSC_11use_defaultEEESN_EEEEEPS7_SQ_SQ_NSC_11hip_rocprim7__merge17predicate_wrapperIddNSC_4lessIdEEEEEE10hipError_tPvRmT0_T1_T2_T3_T4_T5_mmT6_P12ihipStream_tbEUlT_E_NS1_11comp_targetILNS1_3genE0ELNS1_11target_archE4294967295ELNS1_3gpuE0ELNS1_3repE0EEENS1_30default_config_static_selectorELNS0_4arch9wavefront6targetE0EEEvS11_.has_dyn_sized_stack, 0
	.set _ZN7rocprim17ROCPRIM_400000_NS6detail17trampoline_kernelINS0_14default_configENS1_21merge_config_selectorINS0_5tupleIJddEEENS0_10empty_typeEEEZNS1_10merge_implIS3_NS0_12zip_iteratorINS5_IJN6thrust23THRUST_200600_302600_NS6detail15normal_iteratorINSC_10device_ptrIKdEEEESI_EEEEESK_NSA_INS5_IJNSC_16discard_iteratorINSC_11use_defaultEEESN_EEEEEPS7_SQ_SQ_NSC_11hip_rocprim7__merge17predicate_wrapperIddNSC_4lessIdEEEEEE10hipError_tPvRmT0_T1_T2_T3_T4_T5_mmT6_P12ihipStream_tbEUlT_E_NS1_11comp_targetILNS1_3genE0ELNS1_11target_archE4294967295ELNS1_3gpuE0ELNS1_3repE0EEENS1_30default_config_static_selectorELNS0_4arch9wavefront6targetE0EEEvS11_.has_recursion, 0
	.set _ZN7rocprim17ROCPRIM_400000_NS6detail17trampoline_kernelINS0_14default_configENS1_21merge_config_selectorINS0_5tupleIJddEEENS0_10empty_typeEEEZNS1_10merge_implIS3_NS0_12zip_iteratorINS5_IJN6thrust23THRUST_200600_302600_NS6detail15normal_iteratorINSC_10device_ptrIKdEEEESI_EEEEESK_NSA_INS5_IJNSC_16discard_iteratorINSC_11use_defaultEEESN_EEEEEPS7_SQ_SQ_NSC_11hip_rocprim7__merge17predicate_wrapperIddNSC_4lessIdEEEEEE10hipError_tPvRmT0_T1_T2_T3_T4_T5_mmT6_P12ihipStream_tbEUlT_E_NS1_11comp_targetILNS1_3genE0ELNS1_11target_archE4294967295ELNS1_3gpuE0ELNS1_3repE0EEENS1_30default_config_static_selectorELNS0_4arch9wavefront6targetE0EEEvS11_.has_indirect_call, 0
	.section	.AMDGPU.csdata,"",@progbits
; Kernel info:
; codeLenInByte = 484
; TotalNumSgprs: 16
; NumVgprs: 18
; ScratchSize: 0
; MemoryBound: 0
; FloatMode: 240
; IeeeMode: 1
; LDSByteSize: 0 bytes/workgroup (compile time only)
; SGPRBlocks: 0
; VGPRBlocks: 1
; NumSGPRsForWavesPerEU: 16
; NumVGPRsForWavesPerEU: 18
; NamedBarCnt: 0
; Occupancy: 16
; WaveLimiterHint : 0
; COMPUTE_PGM_RSRC2:SCRATCH_EN: 0
; COMPUTE_PGM_RSRC2:USER_SGPR: 2
; COMPUTE_PGM_RSRC2:TRAP_HANDLER: 0
; COMPUTE_PGM_RSRC2:TGID_X_EN: 1
; COMPUTE_PGM_RSRC2:TGID_Y_EN: 0
; COMPUTE_PGM_RSRC2:TGID_Z_EN: 0
; COMPUTE_PGM_RSRC2:TIDIG_COMP_CNT: 0
	.section	.text._ZN7rocprim17ROCPRIM_400000_NS6detail17trampoline_kernelINS0_14default_configENS1_21merge_config_selectorINS0_5tupleIJddEEENS0_10empty_typeEEEZNS1_10merge_implIS3_NS0_12zip_iteratorINS5_IJN6thrust23THRUST_200600_302600_NS6detail15normal_iteratorINSC_10device_ptrIKdEEEESI_EEEEESK_NSA_INS5_IJNSC_16discard_iteratorINSC_11use_defaultEEESN_EEEEEPS7_SQ_SQ_NSC_11hip_rocprim7__merge17predicate_wrapperIddNSC_4lessIdEEEEEE10hipError_tPvRmT0_T1_T2_T3_T4_T5_mmT6_P12ihipStream_tbEUlT_E_NS1_11comp_targetILNS1_3genE5ELNS1_11target_archE942ELNS1_3gpuE9ELNS1_3repE0EEENS1_30default_config_static_selectorELNS0_4arch9wavefront6targetE0EEEvS11_,"axG",@progbits,_ZN7rocprim17ROCPRIM_400000_NS6detail17trampoline_kernelINS0_14default_configENS1_21merge_config_selectorINS0_5tupleIJddEEENS0_10empty_typeEEEZNS1_10merge_implIS3_NS0_12zip_iteratorINS5_IJN6thrust23THRUST_200600_302600_NS6detail15normal_iteratorINSC_10device_ptrIKdEEEESI_EEEEESK_NSA_INS5_IJNSC_16discard_iteratorINSC_11use_defaultEEESN_EEEEEPS7_SQ_SQ_NSC_11hip_rocprim7__merge17predicate_wrapperIddNSC_4lessIdEEEEEE10hipError_tPvRmT0_T1_T2_T3_T4_T5_mmT6_P12ihipStream_tbEUlT_E_NS1_11comp_targetILNS1_3genE5ELNS1_11target_archE942ELNS1_3gpuE9ELNS1_3repE0EEENS1_30default_config_static_selectorELNS0_4arch9wavefront6targetE0EEEvS11_,comdat
	.protected	_ZN7rocprim17ROCPRIM_400000_NS6detail17trampoline_kernelINS0_14default_configENS1_21merge_config_selectorINS0_5tupleIJddEEENS0_10empty_typeEEEZNS1_10merge_implIS3_NS0_12zip_iteratorINS5_IJN6thrust23THRUST_200600_302600_NS6detail15normal_iteratorINSC_10device_ptrIKdEEEESI_EEEEESK_NSA_INS5_IJNSC_16discard_iteratorINSC_11use_defaultEEESN_EEEEEPS7_SQ_SQ_NSC_11hip_rocprim7__merge17predicate_wrapperIddNSC_4lessIdEEEEEE10hipError_tPvRmT0_T1_T2_T3_T4_T5_mmT6_P12ihipStream_tbEUlT_E_NS1_11comp_targetILNS1_3genE5ELNS1_11target_archE942ELNS1_3gpuE9ELNS1_3repE0EEENS1_30default_config_static_selectorELNS0_4arch9wavefront6targetE0EEEvS11_ ; -- Begin function _ZN7rocprim17ROCPRIM_400000_NS6detail17trampoline_kernelINS0_14default_configENS1_21merge_config_selectorINS0_5tupleIJddEEENS0_10empty_typeEEEZNS1_10merge_implIS3_NS0_12zip_iteratorINS5_IJN6thrust23THRUST_200600_302600_NS6detail15normal_iteratorINSC_10device_ptrIKdEEEESI_EEEEESK_NSA_INS5_IJNSC_16discard_iteratorINSC_11use_defaultEEESN_EEEEEPS7_SQ_SQ_NSC_11hip_rocprim7__merge17predicate_wrapperIddNSC_4lessIdEEEEEE10hipError_tPvRmT0_T1_T2_T3_T4_T5_mmT6_P12ihipStream_tbEUlT_E_NS1_11comp_targetILNS1_3genE5ELNS1_11target_archE942ELNS1_3gpuE9ELNS1_3repE0EEENS1_30default_config_static_selectorELNS0_4arch9wavefront6targetE0EEEvS11_
	.globl	_ZN7rocprim17ROCPRIM_400000_NS6detail17trampoline_kernelINS0_14default_configENS1_21merge_config_selectorINS0_5tupleIJddEEENS0_10empty_typeEEEZNS1_10merge_implIS3_NS0_12zip_iteratorINS5_IJN6thrust23THRUST_200600_302600_NS6detail15normal_iteratorINSC_10device_ptrIKdEEEESI_EEEEESK_NSA_INS5_IJNSC_16discard_iteratorINSC_11use_defaultEEESN_EEEEEPS7_SQ_SQ_NSC_11hip_rocprim7__merge17predicate_wrapperIddNSC_4lessIdEEEEEE10hipError_tPvRmT0_T1_T2_T3_T4_T5_mmT6_P12ihipStream_tbEUlT_E_NS1_11comp_targetILNS1_3genE5ELNS1_11target_archE942ELNS1_3gpuE9ELNS1_3repE0EEENS1_30default_config_static_selectorELNS0_4arch9wavefront6targetE0EEEvS11_
	.p2align	8
	.type	_ZN7rocprim17ROCPRIM_400000_NS6detail17trampoline_kernelINS0_14default_configENS1_21merge_config_selectorINS0_5tupleIJddEEENS0_10empty_typeEEEZNS1_10merge_implIS3_NS0_12zip_iteratorINS5_IJN6thrust23THRUST_200600_302600_NS6detail15normal_iteratorINSC_10device_ptrIKdEEEESI_EEEEESK_NSA_INS5_IJNSC_16discard_iteratorINSC_11use_defaultEEESN_EEEEEPS7_SQ_SQ_NSC_11hip_rocprim7__merge17predicate_wrapperIddNSC_4lessIdEEEEEE10hipError_tPvRmT0_T1_T2_T3_T4_T5_mmT6_P12ihipStream_tbEUlT_E_NS1_11comp_targetILNS1_3genE5ELNS1_11target_archE942ELNS1_3gpuE9ELNS1_3repE0EEENS1_30default_config_static_selectorELNS0_4arch9wavefront6targetE0EEEvS11_,@function
_ZN7rocprim17ROCPRIM_400000_NS6detail17trampoline_kernelINS0_14default_configENS1_21merge_config_selectorINS0_5tupleIJddEEENS0_10empty_typeEEEZNS1_10merge_implIS3_NS0_12zip_iteratorINS5_IJN6thrust23THRUST_200600_302600_NS6detail15normal_iteratorINSC_10device_ptrIKdEEEESI_EEEEESK_NSA_INS5_IJNSC_16discard_iteratorINSC_11use_defaultEEESN_EEEEEPS7_SQ_SQ_NSC_11hip_rocprim7__merge17predicate_wrapperIddNSC_4lessIdEEEEEE10hipError_tPvRmT0_T1_T2_T3_T4_T5_mmT6_P12ihipStream_tbEUlT_E_NS1_11comp_targetILNS1_3genE5ELNS1_11target_archE942ELNS1_3gpuE9ELNS1_3repE0EEENS1_30default_config_static_selectorELNS0_4arch9wavefront6targetE0EEEvS11_: ; @_ZN7rocprim17ROCPRIM_400000_NS6detail17trampoline_kernelINS0_14default_configENS1_21merge_config_selectorINS0_5tupleIJddEEENS0_10empty_typeEEEZNS1_10merge_implIS3_NS0_12zip_iteratorINS5_IJN6thrust23THRUST_200600_302600_NS6detail15normal_iteratorINSC_10device_ptrIKdEEEESI_EEEEESK_NSA_INS5_IJNSC_16discard_iteratorINSC_11use_defaultEEESN_EEEEEPS7_SQ_SQ_NSC_11hip_rocprim7__merge17predicate_wrapperIddNSC_4lessIdEEEEEE10hipError_tPvRmT0_T1_T2_T3_T4_T5_mmT6_P12ihipStream_tbEUlT_E_NS1_11comp_targetILNS1_3genE5ELNS1_11target_archE942ELNS1_3gpuE9ELNS1_3repE0EEENS1_30default_config_static_selectorELNS0_4arch9wavefront6targetE0EEEvS11_
; %bb.0:
	.section	.rodata,"a",@progbits
	.p2align	6, 0x0
	.amdhsa_kernel _ZN7rocprim17ROCPRIM_400000_NS6detail17trampoline_kernelINS0_14default_configENS1_21merge_config_selectorINS0_5tupleIJddEEENS0_10empty_typeEEEZNS1_10merge_implIS3_NS0_12zip_iteratorINS5_IJN6thrust23THRUST_200600_302600_NS6detail15normal_iteratorINSC_10device_ptrIKdEEEESI_EEEEESK_NSA_INS5_IJNSC_16discard_iteratorINSC_11use_defaultEEESN_EEEEEPS7_SQ_SQ_NSC_11hip_rocprim7__merge17predicate_wrapperIddNSC_4lessIdEEEEEE10hipError_tPvRmT0_T1_T2_T3_T4_T5_mmT6_P12ihipStream_tbEUlT_E_NS1_11comp_targetILNS1_3genE5ELNS1_11target_archE942ELNS1_3gpuE9ELNS1_3repE0EEENS1_30default_config_static_selectorELNS0_4arch9wavefront6targetE0EEEvS11_
		.amdhsa_group_segment_fixed_size 0
		.amdhsa_private_segment_fixed_size 0
		.amdhsa_kernarg_size 64
		.amdhsa_user_sgpr_count 2
		.amdhsa_user_sgpr_dispatch_ptr 0
		.amdhsa_user_sgpr_queue_ptr 0
		.amdhsa_user_sgpr_kernarg_segment_ptr 1
		.amdhsa_user_sgpr_dispatch_id 0
		.amdhsa_user_sgpr_kernarg_preload_length 0
		.amdhsa_user_sgpr_kernarg_preload_offset 0
		.amdhsa_user_sgpr_private_segment_size 0
		.amdhsa_wavefront_size32 1
		.amdhsa_uses_dynamic_stack 0
		.amdhsa_enable_private_segment 0
		.amdhsa_system_sgpr_workgroup_id_x 1
		.amdhsa_system_sgpr_workgroup_id_y 0
		.amdhsa_system_sgpr_workgroup_id_z 0
		.amdhsa_system_sgpr_workgroup_info 0
		.amdhsa_system_vgpr_workitem_id 0
		.amdhsa_next_free_vgpr 1
		.amdhsa_next_free_sgpr 1
		.amdhsa_named_barrier_count 0
		.amdhsa_reserve_vcc 0
		.amdhsa_float_round_mode_32 0
		.amdhsa_float_round_mode_16_64 0
		.amdhsa_float_denorm_mode_32 3
		.amdhsa_float_denorm_mode_16_64 3
		.amdhsa_fp16_overflow 0
		.amdhsa_memory_ordered 1
		.amdhsa_forward_progress 1
		.amdhsa_inst_pref_size 0
		.amdhsa_round_robin_scheduling 0
		.amdhsa_exception_fp_ieee_invalid_op 0
		.amdhsa_exception_fp_denorm_src 0
		.amdhsa_exception_fp_ieee_div_zero 0
		.amdhsa_exception_fp_ieee_overflow 0
		.amdhsa_exception_fp_ieee_underflow 0
		.amdhsa_exception_fp_ieee_inexact 0
		.amdhsa_exception_int_div_zero 0
	.end_amdhsa_kernel
	.section	.text._ZN7rocprim17ROCPRIM_400000_NS6detail17trampoline_kernelINS0_14default_configENS1_21merge_config_selectorINS0_5tupleIJddEEENS0_10empty_typeEEEZNS1_10merge_implIS3_NS0_12zip_iteratorINS5_IJN6thrust23THRUST_200600_302600_NS6detail15normal_iteratorINSC_10device_ptrIKdEEEESI_EEEEESK_NSA_INS5_IJNSC_16discard_iteratorINSC_11use_defaultEEESN_EEEEEPS7_SQ_SQ_NSC_11hip_rocprim7__merge17predicate_wrapperIddNSC_4lessIdEEEEEE10hipError_tPvRmT0_T1_T2_T3_T4_T5_mmT6_P12ihipStream_tbEUlT_E_NS1_11comp_targetILNS1_3genE5ELNS1_11target_archE942ELNS1_3gpuE9ELNS1_3repE0EEENS1_30default_config_static_selectorELNS0_4arch9wavefront6targetE0EEEvS11_,"axG",@progbits,_ZN7rocprim17ROCPRIM_400000_NS6detail17trampoline_kernelINS0_14default_configENS1_21merge_config_selectorINS0_5tupleIJddEEENS0_10empty_typeEEEZNS1_10merge_implIS3_NS0_12zip_iteratorINS5_IJN6thrust23THRUST_200600_302600_NS6detail15normal_iteratorINSC_10device_ptrIKdEEEESI_EEEEESK_NSA_INS5_IJNSC_16discard_iteratorINSC_11use_defaultEEESN_EEEEEPS7_SQ_SQ_NSC_11hip_rocprim7__merge17predicate_wrapperIddNSC_4lessIdEEEEEE10hipError_tPvRmT0_T1_T2_T3_T4_T5_mmT6_P12ihipStream_tbEUlT_E_NS1_11comp_targetILNS1_3genE5ELNS1_11target_archE942ELNS1_3gpuE9ELNS1_3repE0EEENS1_30default_config_static_selectorELNS0_4arch9wavefront6targetE0EEEvS11_,comdat
.Lfunc_end480:
	.size	_ZN7rocprim17ROCPRIM_400000_NS6detail17trampoline_kernelINS0_14default_configENS1_21merge_config_selectorINS0_5tupleIJddEEENS0_10empty_typeEEEZNS1_10merge_implIS3_NS0_12zip_iteratorINS5_IJN6thrust23THRUST_200600_302600_NS6detail15normal_iteratorINSC_10device_ptrIKdEEEESI_EEEEESK_NSA_INS5_IJNSC_16discard_iteratorINSC_11use_defaultEEESN_EEEEEPS7_SQ_SQ_NSC_11hip_rocprim7__merge17predicate_wrapperIddNSC_4lessIdEEEEEE10hipError_tPvRmT0_T1_T2_T3_T4_T5_mmT6_P12ihipStream_tbEUlT_E_NS1_11comp_targetILNS1_3genE5ELNS1_11target_archE942ELNS1_3gpuE9ELNS1_3repE0EEENS1_30default_config_static_selectorELNS0_4arch9wavefront6targetE0EEEvS11_, .Lfunc_end480-_ZN7rocprim17ROCPRIM_400000_NS6detail17trampoline_kernelINS0_14default_configENS1_21merge_config_selectorINS0_5tupleIJddEEENS0_10empty_typeEEEZNS1_10merge_implIS3_NS0_12zip_iteratorINS5_IJN6thrust23THRUST_200600_302600_NS6detail15normal_iteratorINSC_10device_ptrIKdEEEESI_EEEEESK_NSA_INS5_IJNSC_16discard_iteratorINSC_11use_defaultEEESN_EEEEEPS7_SQ_SQ_NSC_11hip_rocprim7__merge17predicate_wrapperIddNSC_4lessIdEEEEEE10hipError_tPvRmT0_T1_T2_T3_T4_T5_mmT6_P12ihipStream_tbEUlT_E_NS1_11comp_targetILNS1_3genE5ELNS1_11target_archE942ELNS1_3gpuE9ELNS1_3repE0EEENS1_30default_config_static_selectorELNS0_4arch9wavefront6targetE0EEEvS11_
                                        ; -- End function
	.set _ZN7rocprim17ROCPRIM_400000_NS6detail17trampoline_kernelINS0_14default_configENS1_21merge_config_selectorINS0_5tupleIJddEEENS0_10empty_typeEEEZNS1_10merge_implIS3_NS0_12zip_iteratorINS5_IJN6thrust23THRUST_200600_302600_NS6detail15normal_iteratorINSC_10device_ptrIKdEEEESI_EEEEESK_NSA_INS5_IJNSC_16discard_iteratorINSC_11use_defaultEEESN_EEEEEPS7_SQ_SQ_NSC_11hip_rocprim7__merge17predicate_wrapperIddNSC_4lessIdEEEEEE10hipError_tPvRmT0_T1_T2_T3_T4_T5_mmT6_P12ihipStream_tbEUlT_E_NS1_11comp_targetILNS1_3genE5ELNS1_11target_archE942ELNS1_3gpuE9ELNS1_3repE0EEENS1_30default_config_static_selectorELNS0_4arch9wavefront6targetE0EEEvS11_.num_vgpr, 0
	.set _ZN7rocprim17ROCPRIM_400000_NS6detail17trampoline_kernelINS0_14default_configENS1_21merge_config_selectorINS0_5tupleIJddEEENS0_10empty_typeEEEZNS1_10merge_implIS3_NS0_12zip_iteratorINS5_IJN6thrust23THRUST_200600_302600_NS6detail15normal_iteratorINSC_10device_ptrIKdEEEESI_EEEEESK_NSA_INS5_IJNSC_16discard_iteratorINSC_11use_defaultEEESN_EEEEEPS7_SQ_SQ_NSC_11hip_rocprim7__merge17predicate_wrapperIddNSC_4lessIdEEEEEE10hipError_tPvRmT0_T1_T2_T3_T4_T5_mmT6_P12ihipStream_tbEUlT_E_NS1_11comp_targetILNS1_3genE5ELNS1_11target_archE942ELNS1_3gpuE9ELNS1_3repE0EEENS1_30default_config_static_selectorELNS0_4arch9wavefront6targetE0EEEvS11_.num_agpr, 0
	.set _ZN7rocprim17ROCPRIM_400000_NS6detail17trampoline_kernelINS0_14default_configENS1_21merge_config_selectorINS0_5tupleIJddEEENS0_10empty_typeEEEZNS1_10merge_implIS3_NS0_12zip_iteratorINS5_IJN6thrust23THRUST_200600_302600_NS6detail15normal_iteratorINSC_10device_ptrIKdEEEESI_EEEEESK_NSA_INS5_IJNSC_16discard_iteratorINSC_11use_defaultEEESN_EEEEEPS7_SQ_SQ_NSC_11hip_rocprim7__merge17predicate_wrapperIddNSC_4lessIdEEEEEE10hipError_tPvRmT0_T1_T2_T3_T4_T5_mmT6_P12ihipStream_tbEUlT_E_NS1_11comp_targetILNS1_3genE5ELNS1_11target_archE942ELNS1_3gpuE9ELNS1_3repE0EEENS1_30default_config_static_selectorELNS0_4arch9wavefront6targetE0EEEvS11_.numbered_sgpr, 0
	.set _ZN7rocprim17ROCPRIM_400000_NS6detail17trampoline_kernelINS0_14default_configENS1_21merge_config_selectorINS0_5tupleIJddEEENS0_10empty_typeEEEZNS1_10merge_implIS3_NS0_12zip_iteratorINS5_IJN6thrust23THRUST_200600_302600_NS6detail15normal_iteratorINSC_10device_ptrIKdEEEESI_EEEEESK_NSA_INS5_IJNSC_16discard_iteratorINSC_11use_defaultEEESN_EEEEEPS7_SQ_SQ_NSC_11hip_rocprim7__merge17predicate_wrapperIddNSC_4lessIdEEEEEE10hipError_tPvRmT0_T1_T2_T3_T4_T5_mmT6_P12ihipStream_tbEUlT_E_NS1_11comp_targetILNS1_3genE5ELNS1_11target_archE942ELNS1_3gpuE9ELNS1_3repE0EEENS1_30default_config_static_selectorELNS0_4arch9wavefront6targetE0EEEvS11_.num_named_barrier, 0
	.set _ZN7rocprim17ROCPRIM_400000_NS6detail17trampoline_kernelINS0_14default_configENS1_21merge_config_selectorINS0_5tupleIJddEEENS0_10empty_typeEEEZNS1_10merge_implIS3_NS0_12zip_iteratorINS5_IJN6thrust23THRUST_200600_302600_NS6detail15normal_iteratorINSC_10device_ptrIKdEEEESI_EEEEESK_NSA_INS5_IJNSC_16discard_iteratorINSC_11use_defaultEEESN_EEEEEPS7_SQ_SQ_NSC_11hip_rocprim7__merge17predicate_wrapperIddNSC_4lessIdEEEEEE10hipError_tPvRmT0_T1_T2_T3_T4_T5_mmT6_P12ihipStream_tbEUlT_E_NS1_11comp_targetILNS1_3genE5ELNS1_11target_archE942ELNS1_3gpuE9ELNS1_3repE0EEENS1_30default_config_static_selectorELNS0_4arch9wavefront6targetE0EEEvS11_.private_seg_size, 0
	.set _ZN7rocprim17ROCPRIM_400000_NS6detail17trampoline_kernelINS0_14default_configENS1_21merge_config_selectorINS0_5tupleIJddEEENS0_10empty_typeEEEZNS1_10merge_implIS3_NS0_12zip_iteratorINS5_IJN6thrust23THRUST_200600_302600_NS6detail15normal_iteratorINSC_10device_ptrIKdEEEESI_EEEEESK_NSA_INS5_IJNSC_16discard_iteratorINSC_11use_defaultEEESN_EEEEEPS7_SQ_SQ_NSC_11hip_rocprim7__merge17predicate_wrapperIddNSC_4lessIdEEEEEE10hipError_tPvRmT0_T1_T2_T3_T4_T5_mmT6_P12ihipStream_tbEUlT_E_NS1_11comp_targetILNS1_3genE5ELNS1_11target_archE942ELNS1_3gpuE9ELNS1_3repE0EEENS1_30default_config_static_selectorELNS0_4arch9wavefront6targetE0EEEvS11_.uses_vcc, 0
	.set _ZN7rocprim17ROCPRIM_400000_NS6detail17trampoline_kernelINS0_14default_configENS1_21merge_config_selectorINS0_5tupleIJddEEENS0_10empty_typeEEEZNS1_10merge_implIS3_NS0_12zip_iteratorINS5_IJN6thrust23THRUST_200600_302600_NS6detail15normal_iteratorINSC_10device_ptrIKdEEEESI_EEEEESK_NSA_INS5_IJNSC_16discard_iteratorINSC_11use_defaultEEESN_EEEEEPS7_SQ_SQ_NSC_11hip_rocprim7__merge17predicate_wrapperIddNSC_4lessIdEEEEEE10hipError_tPvRmT0_T1_T2_T3_T4_T5_mmT6_P12ihipStream_tbEUlT_E_NS1_11comp_targetILNS1_3genE5ELNS1_11target_archE942ELNS1_3gpuE9ELNS1_3repE0EEENS1_30default_config_static_selectorELNS0_4arch9wavefront6targetE0EEEvS11_.uses_flat_scratch, 0
	.set _ZN7rocprim17ROCPRIM_400000_NS6detail17trampoline_kernelINS0_14default_configENS1_21merge_config_selectorINS0_5tupleIJddEEENS0_10empty_typeEEEZNS1_10merge_implIS3_NS0_12zip_iteratorINS5_IJN6thrust23THRUST_200600_302600_NS6detail15normal_iteratorINSC_10device_ptrIKdEEEESI_EEEEESK_NSA_INS5_IJNSC_16discard_iteratorINSC_11use_defaultEEESN_EEEEEPS7_SQ_SQ_NSC_11hip_rocprim7__merge17predicate_wrapperIddNSC_4lessIdEEEEEE10hipError_tPvRmT0_T1_T2_T3_T4_T5_mmT6_P12ihipStream_tbEUlT_E_NS1_11comp_targetILNS1_3genE5ELNS1_11target_archE942ELNS1_3gpuE9ELNS1_3repE0EEENS1_30default_config_static_selectorELNS0_4arch9wavefront6targetE0EEEvS11_.has_dyn_sized_stack, 0
	.set _ZN7rocprim17ROCPRIM_400000_NS6detail17trampoline_kernelINS0_14default_configENS1_21merge_config_selectorINS0_5tupleIJddEEENS0_10empty_typeEEEZNS1_10merge_implIS3_NS0_12zip_iteratorINS5_IJN6thrust23THRUST_200600_302600_NS6detail15normal_iteratorINSC_10device_ptrIKdEEEESI_EEEEESK_NSA_INS5_IJNSC_16discard_iteratorINSC_11use_defaultEEESN_EEEEEPS7_SQ_SQ_NSC_11hip_rocprim7__merge17predicate_wrapperIddNSC_4lessIdEEEEEE10hipError_tPvRmT0_T1_T2_T3_T4_T5_mmT6_P12ihipStream_tbEUlT_E_NS1_11comp_targetILNS1_3genE5ELNS1_11target_archE942ELNS1_3gpuE9ELNS1_3repE0EEENS1_30default_config_static_selectorELNS0_4arch9wavefront6targetE0EEEvS11_.has_recursion, 0
	.set _ZN7rocprim17ROCPRIM_400000_NS6detail17trampoline_kernelINS0_14default_configENS1_21merge_config_selectorINS0_5tupleIJddEEENS0_10empty_typeEEEZNS1_10merge_implIS3_NS0_12zip_iteratorINS5_IJN6thrust23THRUST_200600_302600_NS6detail15normal_iteratorINSC_10device_ptrIKdEEEESI_EEEEESK_NSA_INS5_IJNSC_16discard_iteratorINSC_11use_defaultEEESN_EEEEEPS7_SQ_SQ_NSC_11hip_rocprim7__merge17predicate_wrapperIddNSC_4lessIdEEEEEE10hipError_tPvRmT0_T1_T2_T3_T4_T5_mmT6_P12ihipStream_tbEUlT_E_NS1_11comp_targetILNS1_3genE5ELNS1_11target_archE942ELNS1_3gpuE9ELNS1_3repE0EEENS1_30default_config_static_selectorELNS0_4arch9wavefront6targetE0EEEvS11_.has_indirect_call, 0
	.section	.AMDGPU.csdata,"",@progbits
; Kernel info:
; codeLenInByte = 0
; TotalNumSgprs: 0
; NumVgprs: 0
; ScratchSize: 0
; MemoryBound: 0
; FloatMode: 240
; IeeeMode: 1
; LDSByteSize: 0 bytes/workgroup (compile time only)
; SGPRBlocks: 0
; VGPRBlocks: 0
; NumSGPRsForWavesPerEU: 1
; NumVGPRsForWavesPerEU: 1
; NamedBarCnt: 0
; Occupancy: 16
; WaveLimiterHint : 0
; COMPUTE_PGM_RSRC2:SCRATCH_EN: 0
; COMPUTE_PGM_RSRC2:USER_SGPR: 2
; COMPUTE_PGM_RSRC2:TRAP_HANDLER: 0
; COMPUTE_PGM_RSRC2:TGID_X_EN: 1
; COMPUTE_PGM_RSRC2:TGID_Y_EN: 0
; COMPUTE_PGM_RSRC2:TGID_Z_EN: 0
; COMPUTE_PGM_RSRC2:TIDIG_COMP_CNT: 0
	.section	.text._ZN7rocprim17ROCPRIM_400000_NS6detail17trampoline_kernelINS0_14default_configENS1_21merge_config_selectorINS0_5tupleIJddEEENS0_10empty_typeEEEZNS1_10merge_implIS3_NS0_12zip_iteratorINS5_IJN6thrust23THRUST_200600_302600_NS6detail15normal_iteratorINSC_10device_ptrIKdEEEESI_EEEEESK_NSA_INS5_IJNSC_16discard_iteratorINSC_11use_defaultEEESN_EEEEEPS7_SQ_SQ_NSC_11hip_rocprim7__merge17predicate_wrapperIddNSC_4lessIdEEEEEE10hipError_tPvRmT0_T1_T2_T3_T4_T5_mmT6_P12ihipStream_tbEUlT_E_NS1_11comp_targetILNS1_3genE4ELNS1_11target_archE910ELNS1_3gpuE8ELNS1_3repE0EEENS1_30default_config_static_selectorELNS0_4arch9wavefront6targetE0EEEvS11_,"axG",@progbits,_ZN7rocprim17ROCPRIM_400000_NS6detail17trampoline_kernelINS0_14default_configENS1_21merge_config_selectorINS0_5tupleIJddEEENS0_10empty_typeEEEZNS1_10merge_implIS3_NS0_12zip_iteratorINS5_IJN6thrust23THRUST_200600_302600_NS6detail15normal_iteratorINSC_10device_ptrIKdEEEESI_EEEEESK_NSA_INS5_IJNSC_16discard_iteratorINSC_11use_defaultEEESN_EEEEEPS7_SQ_SQ_NSC_11hip_rocprim7__merge17predicate_wrapperIddNSC_4lessIdEEEEEE10hipError_tPvRmT0_T1_T2_T3_T4_T5_mmT6_P12ihipStream_tbEUlT_E_NS1_11comp_targetILNS1_3genE4ELNS1_11target_archE910ELNS1_3gpuE8ELNS1_3repE0EEENS1_30default_config_static_selectorELNS0_4arch9wavefront6targetE0EEEvS11_,comdat
	.protected	_ZN7rocprim17ROCPRIM_400000_NS6detail17trampoline_kernelINS0_14default_configENS1_21merge_config_selectorINS0_5tupleIJddEEENS0_10empty_typeEEEZNS1_10merge_implIS3_NS0_12zip_iteratorINS5_IJN6thrust23THRUST_200600_302600_NS6detail15normal_iteratorINSC_10device_ptrIKdEEEESI_EEEEESK_NSA_INS5_IJNSC_16discard_iteratorINSC_11use_defaultEEESN_EEEEEPS7_SQ_SQ_NSC_11hip_rocprim7__merge17predicate_wrapperIddNSC_4lessIdEEEEEE10hipError_tPvRmT0_T1_T2_T3_T4_T5_mmT6_P12ihipStream_tbEUlT_E_NS1_11comp_targetILNS1_3genE4ELNS1_11target_archE910ELNS1_3gpuE8ELNS1_3repE0EEENS1_30default_config_static_selectorELNS0_4arch9wavefront6targetE0EEEvS11_ ; -- Begin function _ZN7rocprim17ROCPRIM_400000_NS6detail17trampoline_kernelINS0_14default_configENS1_21merge_config_selectorINS0_5tupleIJddEEENS0_10empty_typeEEEZNS1_10merge_implIS3_NS0_12zip_iteratorINS5_IJN6thrust23THRUST_200600_302600_NS6detail15normal_iteratorINSC_10device_ptrIKdEEEESI_EEEEESK_NSA_INS5_IJNSC_16discard_iteratorINSC_11use_defaultEEESN_EEEEEPS7_SQ_SQ_NSC_11hip_rocprim7__merge17predicate_wrapperIddNSC_4lessIdEEEEEE10hipError_tPvRmT0_T1_T2_T3_T4_T5_mmT6_P12ihipStream_tbEUlT_E_NS1_11comp_targetILNS1_3genE4ELNS1_11target_archE910ELNS1_3gpuE8ELNS1_3repE0EEENS1_30default_config_static_selectorELNS0_4arch9wavefront6targetE0EEEvS11_
	.globl	_ZN7rocprim17ROCPRIM_400000_NS6detail17trampoline_kernelINS0_14default_configENS1_21merge_config_selectorINS0_5tupleIJddEEENS0_10empty_typeEEEZNS1_10merge_implIS3_NS0_12zip_iteratorINS5_IJN6thrust23THRUST_200600_302600_NS6detail15normal_iteratorINSC_10device_ptrIKdEEEESI_EEEEESK_NSA_INS5_IJNSC_16discard_iteratorINSC_11use_defaultEEESN_EEEEEPS7_SQ_SQ_NSC_11hip_rocprim7__merge17predicate_wrapperIddNSC_4lessIdEEEEEE10hipError_tPvRmT0_T1_T2_T3_T4_T5_mmT6_P12ihipStream_tbEUlT_E_NS1_11comp_targetILNS1_3genE4ELNS1_11target_archE910ELNS1_3gpuE8ELNS1_3repE0EEENS1_30default_config_static_selectorELNS0_4arch9wavefront6targetE0EEEvS11_
	.p2align	8
	.type	_ZN7rocprim17ROCPRIM_400000_NS6detail17trampoline_kernelINS0_14default_configENS1_21merge_config_selectorINS0_5tupleIJddEEENS0_10empty_typeEEEZNS1_10merge_implIS3_NS0_12zip_iteratorINS5_IJN6thrust23THRUST_200600_302600_NS6detail15normal_iteratorINSC_10device_ptrIKdEEEESI_EEEEESK_NSA_INS5_IJNSC_16discard_iteratorINSC_11use_defaultEEESN_EEEEEPS7_SQ_SQ_NSC_11hip_rocprim7__merge17predicate_wrapperIddNSC_4lessIdEEEEEE10hipError_tPvRmT0_T1_T2_T3_T4_T5_mmT6_P12ihipStream_tbEUlT_E_NS1_11comp_targetILNS1_3genE4ELNS1_11target_archE910ELNS1_3gpuE8ELNS1_3repE0EEENS1_30default_config_static_selectorELNS0_4arch9wavefront6targetE0EEEvS11_,@function
_ZN7rocprim17ROCPRIM_400000_NS6detail17trampoline_kernelINS0_14default_configENS1_21merge_config_selectorINS0_5tupleIJddEEENS0_10empty_typeEEEZNS1_10merge_implIS3_NS0_12zip_iteratorINS5_IJN6thrust23THRUST_200600_302600_NS6detail15normal_iteratorINSC_10device_ptrIKdEEEESI_EEEEESK_NSA_INS5_IJNSC_16discard_iteratorINSC_11use_defaultEEESN_EEEEEPS7_SQ_SQ_NSC_11hip_rocprim7__merge17predicate_wrapperIddNSC_4lessIdEEEEEE10hipError_tPvRmT0_T1_T2_T3_T4_T5_mmT6_P12ihipStream_tbEUlT_E_NS1_11comp_targetILNS1_3genE4ELNS1_11target_archE910ELNS1_3gpuE8ELNS1_3repE0EEENS1_30default_config_static_selectorELNS0_4arch9wavefront6targetE0EEEvS11_: ; @_ZN7rocprim17ROCPRIM_400000_NS6detail17trampoline_kernelINS0_14default_configENS1_21merge_config_selectorINS0_5tupleIJddEEENS0_10empty_typeEEEZNS1_10merge_implIS3_NS0_12zip_iteratorINS5_IJN6thrust23THRUST_200600_302600_NS6detail15normal_iteratorINSC_10device_ptrIKdEEEESI_EEEEESK_NSA_INS5_IJNSC_16discard_iteratorINSC_11use_defaultEEESN_EEEEEPS7_SQ_SQ_NSC_11hip_rocprim7__merge17predicate_wrapperIddNSC_4lessIdEEEEEE10hipError_tPvRmT0_T1_T2_T3_T4_T5_mmT6_P12ihipStream_tbEUlT_E_NS1_11comp_targetILNS1_3genE4ELNS1_11target_archE910ELNS1_3gpuE8ELNS1_3repE0EEENS1_30default_config_static_selectorELNS0_4arch9wavefront6targetE0EEEvS11_
; %bb.0:
	.section	.rodata,"a",@progbits
	.p2align	6, 0x0
	.amdhsa_kernel _ZN7rocprim17ROCPRIM_400000_NS6detail17trampoline_kernelINS0_14default_configENS1_21merge_config_selectorINS0_5tupleIJddEEENS0_10empty_typeEEEZNS1_10merge_implIS3_NS0_12zip_iteratorINS5_IJN6thrust23THRUST_200600_302600_NS6detail15normal_iteratorINSC_10device_ptrIKdEEEESI_EEEEESK_NSA_INS5_IJNSC_16discard_iteratorINSC_11use_defaultEEESN_EEEEEPS7_SQ_SQ_NSC_11hip_rocprim7__merge17predicate_wrapperIddNSC_4lessIdEEEEEE10hipError_tPvRmT0_T1_T2_T3_T4_T5_mmT6_P12ihipStream_tbEUlT_E_NS1_11comp_targetILNS1_3genE4ELNS1_11target_archE910ELNS1_3gpuE8ELNS1_3repE0EEENS1_30default_config_static_selectorELNS0_4arch9wavefront6targetE0EEEvS11_
		.amdhsa_group_segment_fixed_size 0
		.amdhsa_private_segment_fixed_size 0
		.amdhsa_kernarg_size 64
		.amdhsa_user_sgpr_count 2
		.amdhsa_user_sgpr_dispatch_ptr 0
		.amdhsa_user_sgpr_queue_ptr 0
		.amdhsa_user_sgpr_kernarg_segment_ptr 1
		.amdhsa_user_sgpr_dispatch_id 0
		.amdhsa_user_sgpr_kernarg_preload_length 0
		.amdhsa_user_sgpr_kernarg_preload_offset 0
		.amdhsa_user_sgpr_private_segment_size 0
		.amdhsa_wavefront_size32 1
		.amdhsa_uses_dynamic_stack 0
		.amdhsa_enable_private_segment 0
		.amdhsa_system_sgpr_workgroup_id_x 1
		.amdhsa_system_sgpr_workgroup_id_y 0
		.amdhsa_system_sgpr_workgroup_id_z 0
		.amdhsa_system_sgpr_workgroup_info 0
		.amdhsa_system_vgpr_workitem_id 0
		.amdhsa_next_free_vgpr 1
		.amdhsa_next_free_sgpr 1
		.amdhsa_named_barrier_count 0
		.amdhsa_reserve_vcc 0
		.amdhsa_float_round_mode_32 0
		.amdhsa_float_round_mode_16_64 0
		.amdhsa_float_denorm_mode_32 3
		.amdhsa_float_denorm_mode_16_64 3
		.amdhsa_fp16_overflow 0
		.amdhsa_memory_ordered 1
		.amdhsa_forward_progress 1
		.amdhsa_inst_pref_size 0
		.amdhsa_round_robin_scheduling 0
		.amdhsa_exception_fp_ieee_invalid_op 0
		.amdhsa_exception_fp_denorm_src 0
		.amdhsa_exception_fp_ieee_div_zero 0
		.amdhsa_exception_fp_ieee_overflow 0
		.amdhsa_exception_fp_ieee_underflow 0
		.amdhsa_exception_fp_ieee_inexact 0
		.amdhsa_exception_int_div_zero 0
	.end_amdhsa_kernel
	.section	.text._ZN7rocprim17ROCPRIM_400000_NS6detail17trampoline_kernelINS0_14default_configENS1_21merge_config_selectorINS0_5tupleIJddEEENS0_10empty_typeEEEZNS1_10merge_implIS3_NS0_12zip_iteratorINS5_IJN6thrust23THRUST_200600_302600_NS6detail15normal_iteratorINSC_10device_ptrIKdEEEESI_EEEEESK_NSA_INS5_IJNSC_16discard_iteratorINSC_11use_defaultEEESN_EEEEEPS7_SQ_SQ_NSC_11hip_rocprim7__merge17predicate_wrapperIddNSC_4lessIdEEEEEE10hipError_tPvRmT0_T1_T2_T3_T4_T5_mmT6_P12ihipStream_tbEUlT_E_NS1_11comp_targetILNS1_3genE4ELNS1_11target_archE910ELNS1_3gpuE8ELNS1_3repE0EEENS1_30default_config_static_selectorELNS0_4arch9wavefront6targetE0EEEvS11_,"axG",@progbits,_ZN7rocprim17ROCPRIM_400000_NS6detail17trampoline_kernelINS0_14default_configENS1_21merge_config_selectorINS0_5tupleIJddEEENS0_10empty_typeEEEZNS1_10merge_implIS3_NS0_12zip_iteratorINS5_IJN6thrust23THRUST_200600_302600_NS6detail15normal_iteratorINSC_10device_ptrIKdEEEESI_EEEEESK_NSA_INS5_IJNSC_16discard_iteratorINSC_11use_defaultEEESN_EEEEEPS7_SQ_SQ_NSC_11hip_rocprim7__merge17predicate_wrapperIddNSC_4lessIdEEEEEE10hipError_tPvRmT0_T1_T2_T3_T4_T5_mmT6_P12ihipStream_tbEUlT_E_NS1_11comp_targetILNS1_3genE4ELNS1_11target_archE910ELNS1_3gpuE8ELNS1_3repE0EEENS1_30default_config_static_selectorELNS0_4arch9wavefront6targetE0EEEvS11_,comdat
.Lfunc_end481:
	.size	_ZN7rocprim17ROCPRIM_400000_NS6detail17trampoline_kernelINS0_14default_configENS1_21merge_config_selectorINS0_5tupleIJddEEENS0_10empty_typeEEEZNS1_10merge_implIS3_NS0_12zip_iteratorINS5_IJN6thrust23THRUST_200600_302600_NS6detail15normal_iteratorINSC_10device_ptrIKdEEEESI_EEEEESK_NSA_INS5_IJNSC_16discard_iteratorINSC_11use_defaultEEESN_EEEEEPS7_SQ_SQ_NSC_11hip_rocprim7__merge17predicate_wrapperIddNSC_4lessIdEEEEEE10hipError_tPvRmT0_T1_T2_T3_T4_T5_mmT6_P12ihipStream_tbEUlT_E_NS1_11comp_targetILNS1_3genE4ELNS1_11target_archE910ELNS1_3gpuE8ELNS1_3repE0EEENS1_30default_config_static_selectorELNS0_4arch9wavefront6targetE0EEEvS11_, .Lfunc_end481-_ZN7rocprim17ROCPRIM_400000_NS6detail17trampoline_kernelINS0_14default_configENS1_21merge_config_selectorINS0_5tupleIJddEEENS0_10empty_typeEEEZNS1_10merge_implIS3_NS0_12zip_iteratorINS5_IJN6thrust23THRUST_200600_302600_NS6detail15normal_iteratorINSC_10device_ptrIKdEEEESI_EEEEESK_NSA_INS5_IJNSC_16discard_iteratorINSC_11use_defaultEEESN_EEEEEPS7_SQ_SQ_NSC_11hip_rocprim7__merge17predicate_wrapperIddNSC_4lessIdEEEEEE10hipError_tPvRmT0_T1_T2_T3_T4_T5_mmT6_P12ihipStream_tbEUlT_E_NS1_11comp_targetILNS1_3genE4ELNS1_11target_archE910ELNS1_3gpuE8ELNS1_3repE0EEENS1_30default_config_static_selectorELNS0_4arch9wavefront6targetE0EEEvS11_
                                        ; -- End function
	.set _ZN7rocprim17ROCPRIM_400000_NS6detail17trampoline_kernelINS0_14default_configENS1_21merge_config_selectorINS0_5tupleIJddEEENS0_10empty_typeEEEZNS1_10merge_implIS3_NS0_12zip_iteratorINS5_IJN6thrust23THRUST_200600_302600_NS6detail15normal_iteratorINSC_10device_ptrIKdEEEESI_EEEEESK_NSA_INS5_IJNSC_16discard_iteratorINSC_11use_defaultEEESN_EEEEEPS7_SQ_SQ_NSC_11hip_rocprim7__merge17predicate_wrapperIddNSC_4lessIdEEEEEE10hipError_tPvRmT0_T1_T2_T3_T4_T5_mmT6_P12ihipStream_tbEUlT_E_NS1_11comp_targetILNS1_3genE4ELNS1_11target_archE910ELNS1_3gpuE8ELNS1_3repE0EEENS1_30default_config_static_selectorELNS0_4arch9wavefront6targetE0EEEvS11_.num_vgpr, 0
	.set _ZN7rocprim17ROCPRIM_400000_NS6detail17trampoline_kernelINS0_14default_configENS1_21merge_config_selectorINS0_5tupleIJddEEENS0_10empty_typeEEEZNS1_10merge_implIS3_NS0_12zip_iteratorINS5_IJN6thrust23THRUST_200600_302600_NS6detail15normal_iteratorINSC_10device_ptrIKdEEEESI_EEEEESK_NSA_INS5_IJNSC_16discard_iteratorINSC_11use_defaultEEESN_EEEEEPS7_SQ_SQ_NSC_11hip_rocprim7__merge17predicate_wrapperIddNSC_4lessIdEEEEEE10hipError_tPvRmT0_T1_T2_T3_T4_T5_mmT6_P12ihipStream_tbEUlT_E_NS1_11comp_targetILNS1_3genE4ELNS1_11target_archE910ELNS1_3gpuE8ELNS1_3repE0EEENS1_30default_config_static_selectorELNS0_4arch9wavefront6targetE0EEEvS11_.num_agpr, 0
	.set _ZN7rocprim17ROCPRIM_400000_NS6detail17trampoline_kernelINS0_14default_configENS1_21merge_config_selectorINS0_5tupleIJddEEENS0_10empty_typeEEEZNS1_10merge_implIS3_NS0_12zip_iteratorINS5_IJN6thrust23THRUST_200600_302600_NS6detail15normal_iteratorINSC_10device_ptrIKdEEEESI_EEEEESK_NSA_INS5_IJNSC_16discard_iteratorINSC_11use_defaultEEESN_EEEEEPS7_SQ_SQ_NSC_11hip_rocprim7__merge17predicate_wrapperIddNSC_4lessIdEEEEEE10hipError_tPvRmT0_T1_T2_T3_T4_T5_mmT6_P12ihipStream_tbEUlT_E_NS1_11comp_targetILNS1_3genE4ELNS1_11target_archE910ELNS1_3gpuE8ELNS1_3repE0EEENS1_30default_config_static_selectorELNS0_4arch9wavefront6targetE0EEEvS11_.numbered_sgpr, 0
	.set _ZN7rocprim17ROCPRIM_400000_NS6detail17trampoline_kernelINS0_14default_configENS1_21merge_config_selectorINS0_5tupleIJddEEENS0_10empty_typeEEEZNS1_10merge_implIS3_NS0_12zip_iteratorINS5_IJN6thrust23THRUST_200600_302600_NS6detail15normal_iteratorINSC_10device_ptrIKdEEEESI_EEEEESK_NSA_INS5_IJNSC_16discard_iteratorINSC_11use_defaultEEESN_EEEEEPS7_SQ_SQ_NSC_11hip_rocprim7__merge17predicate_wrapperIddNSC_4lessIdEEEEEE10hipError_tPvRmT0_T1_T2_T3_T4_T5_mmT6_P12ihipStream_tbEUlT_E_NS1_11comp_targetILNS1_3genE4ELNS1_11target_archE910ELNS1_3gpuE8ELNS1_3repE0EEENS1_30default_config_static_selectorELNS0_4arch9wavefront6targetE0EEEvS11_.num_named_barrier, 0
	.set _ZN7rocprim17ROCPRIM_400000_NS6detail17trampoline_kernelINS0_14default_configENS1_21merge_config_selectorINS0_5tupleIJddEEENS0_10empty_typeEEEZNS1_10merge_implIS3_NS0_12zip_iteratorINS5_IJN6thrust23THRUST_200600_302600_NS6detail15normal_iteratorINSC_10device_ptrIKdEEEESI_EEEEESK_NSA_INS5_IJNSC_16discard_iteratorINSC_11use_defaultEEESN_EEEEEPS7_SQ_SQ_NSC_11hip_rocprim7__merge17predicate_wrapperIddNSC_4lessIdEEEEEE10hipError_tPvRmT0_T1_T2_T3_T4_T5_mmT6_P12ihipStream_tbEUlT_E_NS1_11comp_targetILNS1_3genE4ELNS1_11target_archE910ELNS1_3gpuE8ELNS1_3repE0EEENS1_30default_config_static_selectorELNS0_4arch9wavefront6targetE0EEEvS11_.private_seg_size, 0
	.set _ZN7rocprim17ROCPRIM_400000_NS6detail17trampoline_kernelINS0_14default_configENS1_21merge_config_selectorINS0_5tupleIJddEEENS0_10empty_typeEEEZNS1_10merge_implIS3_NS0_12zip_iteratorINS5_IJN6thrust23THRUST_200600_302600_NS6detail15normal_iteratorINSC_10device_ptrIKdEEEESI_EEEEESK_NSA_INS5_IJNSC_16discard_iteratorINSC_11use_defaultEEESN_EEEEEPS7_SQ_SQ_NSC_11hip_rocprim7__merge17predicate_wrapperIddNSC_4lessIdEEEEEE10hipError_tPvRmT0_T1_T2_T3_T4_T5_mmT6_P12ihipStream_tbEUlT_E_NS1_11comp_targetILNS1_3genE4ELNS1_11target_archE910ELNS1_3gpuE8ELNS1_3repE0EEENS1_30default_config_static_selectorELNS0_4arch9wavefront6targetE0EEEvS11_.uses_vcc, 0
	.set _ZN7rocprim17ROCPRIM_400000_NS6detail17trampoline_kernelINS0_14default_configENS1_21merge_config_selectorINS0_5tupleIJddEEENS0_10empty_typeEEEZNS1_10merge_implIS3_NS0_12zip_iteratorINS5_IJN6thrust23THRUST_200600_302600_NS6detail15normal_iteratorINSC_10device_ptrIKdEEEESI_EEEEESK_NSA_INS5_IJNSC_16discard_iteratorINSC_11use_defaultEEESN_EEEEEPS7_SQ_SQ_NSC_11hip_rocprim7__merge17predicate_wrapperIddNSC_4lessIdEEEEEE10hipError_tPvRmT0_T1_T2_T3_T4_T5_mmT6_P12ihipStream_tbEUlT_E_NS1_11comp_targetILNS1_3genE4ELNS1_11target_archE910ELNS1_3gpuE8ELNS1_3repE0EEENS1_30default_config_static_selectorELNS0_4arch9wavefront6targetE0EEEvS11_.uses_flat_scratch, 0
	.set _ZN7rocprim17ROCPRIM_400000_NS6detail17trampoline_kernelINS0_14default_configENS1_21merge_config_selectorINS0_5tupleIJddEEENS0_10empty_typeEEEZNS1_10merge_implIS3_NS0_12zip_iteratorINS5_IJN6thrust23THRUST_200600_302600_NS6detail15normal_iteratorINSC_10device_ptrIKdEEEESI_EEEEESK_NSA_INS5_IJNSC_16discard_iteratorINSC_11use_defaultEEESN_EEEEEPS7_SQ_SQ_NSC_11hip_rocprim7__merge17predicate_wrapperIddNSC_4lessIdEEEEEE10hipError_tPvRmT0_T1_T2_T3_T4_T5_mmT6_P12ihipStream_tbEUlT_E_NS1_11comp_targetILNS1_3genE4ELNS1_11target_archE910ELNS1_3gpuE8ELNS1_3repE0EEENS1_30default_config_static_selectorELNS0_4arch9wavefront6targetE0EEEvS11_.has_dyn_sized_stack, 0
	.set _ZN7rocprim17ROCPRIM_400000_NS6detail17trampoline_kernelINS0_14default_configENS1_21merge_config_selectorINS0_5tupleIJddEEENS0_10empty_typeEEEZNS1_10merge_implIS3_NS0_12zip_iteratorINS5_IJN6thrust23THRUST_200600_302600_NS6detail15normal_iteratorINSC_10device_ptrIKdEEEESI_EEEEESK_NSA_INS5_IJNSC_16discard_iteratorINSC_11use_defaultEEESN_EEEEEPS7_SQ_SQ_NSC_11hip_rocprim7__merge17predicate_wrapperIddNSC_4lessIdEEEEEE10hipError_tPvRmT0_T1_T2_T3_T4_T5_mmT6_P12ihipStream_tbEUlT_E_NS1_11comp_targetILNS1_3genE4ELNS1_11target_archE910ELNS1_3gpuE8ELNS1_3repE0EEENS1_30default_config_static_selectorELNS0_4arch9wavefront6targetE0EEEvS11_.has_recursion, 0
	.set _ZN7rocprim17ROCPRIM_400000_NS6detail17trampoline_kernelINS0_14default_configENS1_21merge_config_selectorINS0_5tupleIJddEEENS0_10empty_typeEEEZNS1_10merge_implIS3_NS0_12zip_iteratorINS5_IJN6thrust23THRUST_200600_302600_NS6detail15normal_iteratorINSC_10device_ptrIKdEEEESI_EEEEESK_NSA_INS5_IJNSC_16discard_iteratorINSC_11use_defaultEEESN_EEEEEPS7_SQ_SQ_NSC_11hip_rocprim7__merge17predicate_wrapperIddNSC_4lessIdEEEEEE10hipError_tPvRmT0_T1_T2_T3_T4_T5_mmT6_P12ihipStream_tbEUlT_E_NS1_11comp_targetILNS1_3genE4ELNS1_11target_archE910ELNS1_3gpuE8ELNS1_3repE0EEENS1_30default_config_static_selectorELNS0_4arch9wavefront6targetE0EEEvS11_.has_indirect_call, 0
	.section	.AMDGPU.csdata,"",@progbits
; Kernel info:
; codeLenInByte = 0
; TotalNumSgprs: 0
; NumVgprs: 0
; ScratchSize: 0
; MemoryBound: 0
; FloatMode: 240
; IeeeMode: 1
; LDSByteSize: 0 bytes/workgroup (compile time only)
; SGPRBlocks: 0
; VGPRBlocks: 0
; NumSGPRsForWavesPerEU: 1
; NumVGPRsForWavesPerEU: 1
; NamedBarCnt: 0
; Occupancy: 16
; WaveLimiterHint : 0
; COMPUTE_PGM_RSRC2:SCRATCH_EN: 0
; COMPUTE_PGM_RSRC2:USER_SGPR: 2
; COMPUTE_PGM_RSRC2:TRAP_HANDLER: 0
; COMPUTE_PGM_RSRC2:TGID_X_EN: 1
; COMPUTE_PGM_RSRC2:TGID_Y_EN: 0
; COMPUTE_PGM_RSRC2:TGID_Z_EN: 0
; COMPUTE_PGM_RSRC2:TIDIG_COMP_CNT: 0
	.section	.text._ZN7rocprim17ROCPRIM_400000_NS6detail17trampoline_kernelINS0_14default_configENS1_21merge_config_selectorINS0_5tupleIJddEEENS0_10empty_typeEEEZNS1_10merge_implIS3_NS0_12zip_iteratorINS5_IJN6thrust23THRUST_200600_302600_NS6detail15normal_iteratorINSC_10device_ptrIKdEEEESI_EEEEESK_NSA_INS5_IJNSC_16discard_iteratorINSC_11use_defaultEEESN_EEEEEPS7_SQ_SQ_NSC_11hip_rocprim7__merge17predicate_wrapperIddNSC_4lessIdEEEEEE10hipError_tPvRmT0_T1_T2_T3_T4_T5_mmT6_P12ihipStream_tbEUlT_E_NS1_11comp_targetILNS1_3genE3ELNS1_11target_archE908ELNS1_3gpuE7ELNS1_3repE0EEENS1_30default_config_static_selectorELNS0_4arch9wavefront6targetE0EEEvS11_,"axG",@progbits,_ZN7rocprim17ROCPRIM_400000_NS6detail17trampoline_kernelINS0_14default_configENS1_21merge_config_selectorINS0_5tupleIJddEEENS0_10empty_typeEEEZNS1_10merge_implIS3_NS0_12zip_iteratorINS5_IJN6thrust23THRUST_200600_302600_NS6detail15normal_iteratorINSC_10device_ptrIKdEEEESI_EEEEESK_NSA_INS5_IJNSC_16discard_iteratorINSC_11use_defaultEEESN_EEEEEPS7_SQ_SQ_NSC_11hip_rocprim7__merge17predicate_wrapperIddNSC_4lessIdEEEEEE10hipError_tPvRmT0_T1_T2_T3_T4_T5_mmT6_P12ihipStream_tbEUlT_E_NS1_11comp_targetILNS1_3genE3ELNS1_11target_archE908ELNS1_3gpuE7ELNS1_3repE0EEENS1_30default_config_static_selectorELNS0_4arch9wavefront6targetE0EEEvS11_,comdat
	.protected	_ZN7rocprim17ROCPRIM_400000_NS6detail17trampoline_kernelINS0_14default_configENS1_21merge_config_selectorINS0_5tupleIJddEEENS0_10empty_typeEEEZNS1_10merge_implIS3_NS0_12zip_iteratorINS5_IJN6thrust23THRUST_200600_302600_NS6detail15normal_iteratorINSC_10device_ptrIKdEEEESI_EEEEESK_NSA_INS5_IJNSC_16discard_iteratorINSC_11use_defaultEEESN_EEEEEPS7_SQ_SQ_NSC_11hip_rocprim7__merge17predicate_wrapperIddNSC_4lessIdEEEEEE10hipError_tPvRmT0_T1_T2_T3_T4_T5_mmT6_P12ihipStream_tbEUlT_E_NS1_11comp_targetILNS1_3genE3ELNS1_11target_archE908ELNS1_3gpuE7ELNS1_3repE0EEENS1_30default_config_static_selectorELNS0_4arch9wavefront6targetE0EEEvS11_ ; -- Begin function _ZN7rocprim17ROCPRIM_400000_NS6detail17trampoline_kernelINS0_14default_configENS1_21merge_config_selectorINS0_5tupleIJddEEENS0_10empty_typeEEEZNS1_10merge_implIS3_NS0_12zip_iteratorINS5_IJN6thrust23THRUST_200600_302600_NS6detail15normal_iteratorINSC_10device_ptrIKdEEEESI_EEEEESK_NSA_INS5_IJNSC_16discard_iteratorINSC_11use_defaultEEESN_EEEEEPS7_SQ_SQ_NSC_11hip_rocprim7__merge17predicate_wrapperIddNSC_4lessIdEEEEEE10hipError_tPvRmT0_T1_T2_T3_T4_T5_mmT6_P12ihipStream_tbEUlT_E_NS1_11comp_targetILNS1_3genE3ELNS1_11target_archE908ELNS1_3gpuE7ELNS1_3repE0EEENS1_30default_config_static_selectorELNS0_4arch9wavefront6targetE0EEEvS11_
	.globl	_ZN7rocprim17ROCPRIM_400000_NS6detail17trampoline_kernelINS0_14default_configENS1_21merge_config_selectorINS0_5tupleIJddEEENS0_10empty_typeEEEZNS1_10merge_implIS3_NS0_12zip_iteratorINS5_IJN6thrust23THRUST_200600_302600_NS6detail15normal_iteratorINSC_10device_ptrIKdEEEESI_EEEEESK_NSA_INS5_IJNSC_16discard_iteratorINSC_11use_defaultEEESN_EEEEEPS7_SQ_SQ_NSC_11hip_rocprim7__merge17predicate_wrapperIddNSC_4lessIdEEEEEE10hipError_tPvRmT0_T1_T2_T3_T4_T5_mmT6_P12ihipStream_tbEUlT_E_NS1_11comp_targetILNS1_3genE3ELNS1_11target_archE908ELNS1_3gpuE7ELNS1_3repE0EEENS1_30default_config_static_selectorELNS0_4arch9wavefront6targetE0EEEvS11_
	.p2align	8
	.type	_ZN7rocprim17ROCPRIM_400000_NS6detail17trampoline_kernelINS0_14default_configENS1_21merge_config_selectorINS0_5tupleIJddEEENS0_10empty_typeEEEZNS1_10merge_implIS3_NS0_12zip_iteratorINS5_IJN6thrust23THRUST_200600_302600_NS6detail15normal_iteratorINSC_10device_ptrIKdEEEESI_EEEEESK_NSA_INS5_IJNSC_16discard_iteratorINSC_11use_defaultEEESN_EEEEEPS7_SQ_SQ_NSC_11hip_rocprim7__merge17predicate_wrapperIddNSC_4lessIdEEEEEE10hipError_tPvRmT0_T1_T2_T3_T4_T5_mmT6_P12ihipStream_tbEUlT_E_NS1_11comp_targetILNS1_3genE3ELNS1_11target_archE908ELNS1_3gpuE7ELNS1_3repE0EEENS1_30default_config_static_selectorELNS0_4arch9wavefront6targetE0EEEvS11_,@function
_ZN7rocprim17ROCPRIM_400000_NS6detail17trampoline_kernelINS0_14default_configENS1_21merge_config_selectorINS0_5tupleIJddEEENS0_10empty_typeEEEZNS1_10merge_implIS3_NS0_12zip_iteratorINS5_IJN6thrust23THRUST_200600_302600_NS6detail15normal_iteratorINSC_10device_ptrIKdEEEESI_EEEEESK_NSA_INS5_IJNSC_16discard_iteratorINSC_11use_defaultEEESN_EEEEEPS7_SQ_SQ_NSC_11hip_rocprim7__merge17predicate_wrapperIddNSC_4lessIdEEEEEE10hipError_tPvRmT0_T1_T2_T3_T4_T5_mmT6_P12ihipStream_tbEUlT_E_NS1_11comp_targetILNS1_3genE3ELNS1_11target_archE908ELNS1_3gpuE7ELNS1_3repE0EEENS1_30default_config_static_selectorELNS0_4arch9wavefront6targetE0EEEvS11_: ; @_ZN7rocprim17ROCPRIM_400000_NS6detail17trampoline_kernelINS0_14default_configENS1_21merge_config_selectorINS0_5tupleIJddEEENS0_10empty_typeEEEZNS1_10merge_implIS3_NS0_12zip_iteratorINS5_IJN6thrust23THRUST_200600_302600_NS6detail15normal_iteratorINSC_10device_ptrIKdEEEESI_EEEEESK_NSA_INS5_IJNSC_16discard_iteratorINSC_11use_defaultEEESN_EEEEEPS7_SQ_SQ_NSC_11hip_rocprim7__merge17predicate_wrapperIddNSC_4lessIdEEEEEE10hipError_tPvRmT0_T1_T2_T3_T4_T5_mmT6_P12ihipStream_tbEUlT_E_NS1_11comp_targetILNS1_3genE3ELNS1_11target_archE908ELNS1_3gpuE7ELNS1_3repE0EEENS1_30default_config_static_selectorELNS0_4arch9wavefront6targetE0EEEvS11_
; %bb.0:
	.section	.rodata,"a",@progbits
	.p2align	6, 0x0
	.amdhsa_kernel _ZN7rocprim17ROCPRIM_400000_NS6detail17trampoline_kernelINS0_14default_configENS1_21merge_config_selectorINS0_5tupleIJddEEENS0_10empty_typeEEEZNS1_10merge_implIS3_NS0_12zip_iteratorINS5_IJN6thrust23THRUST_200600_302600_NS6detail15normal_iteratorINSC_10device_ptrIKdEEEESI_EEEEESK_NSA_INS5_IJNSC_16discard_iteratorINSC_11use_defaultEEESN_EEEEEPS7_SQ_SQ_NSC_11hip_rocprim7__merge17predicate_wrapperIddNSC_4lessIdEEEEEE10hipError_tPvRmT0_T1_T2_T3_T4_T5_mmT6_P12ihipStream_tbEUlT_E_NS1_11comp_targetILNS1_3genE3ELNS1_11target_archE908ELNS1_3gpuE7ELNS1_3repE0EEENS1_30default_config_static_selectorELNS0_4arch9wavefront6targetE0EEEvS11_
		.amdhsa_group_segment_fixed_size 0
		.amdhsa_private_segment_fixed_size 0
		.amdhsa_kernarg_size 64
		.amdhsa_user_sgpr_count 2
		.amdhsa_user_sgpr_dispatch_ptr 0
		.amdhsa_user_sgpr_queue_ptr 0
		.amdhsa_user_sgpr_kernarg_segment_ptr 1
		.amdhsa_user_sgpr_dispatch_id 0
		.amdhsa_user_sgpr_kernarg_preload_length 0
		.amdhsa_user_sgpr_kernarg_preload_offset 0
		.amdhsa_user_sgpr_private_segment_size 0
		.amdhsa_wavefront_size32 1
		.amdhsa_uses_dynamic_stack 0
		.amdhsa_enable_private_segment 0
		.amdhsa_system_sgpr_workgroup_id_x 1
		.amdhsa_system_sgpr_workgroup_id_y 0
		.amdhsa_system_sgpr_workgroup_id_z 0
		.amdhsa_system_sgpr_workgroup_info 0
		.amdhsa_system_vgpr_workitem_id 0
		.amdhsa_next_free_vgpr 1
		.amdhsa_next_free_sgpr 1
		.amdhsa_named_barrier_count 0
		.amdhsa_reserve_vcc 0
		.amdhsa_float_round_mode_32 0
		.amdhsa_float_round_mode_16_64 0
		.amdhsa_float_denorm_mode_32 3
		.amdhsa_float_denorm_mode_16_64 3
		.amdhsa_fp16_overflow 0
		.amdhsa_memory_ordered 1
		.amdhsa_forward_progress 1
		.amdhsa_inst_pref_size 0
		.amdhsa_round_robin_scheduling 0
		.amdhsa_exception_fp_ieee_invalid_op 0
		.amdhsa_exception_fp_denorm_src 0
		.amdhsa_exception_fp_ieee_div_zero 0
		.amdhsa_exception_fp_ieee_overflow 0
		.amdhsa_exception_fp_ieee_underflow 0
		.amdhsa_exception_fp_ieee_inexact 0
		.amdhsa_exception_int_div_zero 0
	.end_amdhsa_kernel
	.section	.text._ZN7rocprim17ROCPRIM_400000_NS6detail17trampoline_kernelINS0_14default_configENS1_21merge_config_selectorINS0_5tupleIJddEEENS0_10empty_typeEEEZNS1_10merge_implIS3_NS0_12zip_iteratorINS5_IJN6thrust23THRUST_200600_302600_NS6detail15normal_iteratorINSC_10device_ptrIKdEEEESI_EEEEESK_NSA_INS5_IJNSC_16discard_iteratorINSC_11use_defaultEEESN_EEEEEPS7_SQ_SQ_NSC_11hip_rocprim7__merge17predicate_wrapperIddNSC_4lessIdEEEEEE10hipError_tPvRmT0_T1_T2_T3_T4_T5_mmT6_P12ihipStream_tbEUlT_E_NS1_11comp_targetILNS1_3genE3ELNS1_11target_archE908ELNS1_3gpuE7ELNS1_3repE0EEENS1_30default_config_static_selectorELNS0_4arch9wavefront6targetE0EEEvS11_,"axG",@progbits,_ZN7rocprim17ROCPRIM_400000_NS6detail17trampoline_kernelINS0_14default_configENS1_21merge_config_selectorINS0_5tupleIJddEEENS0_10empty_typeEEEZNS1_10merge_implIS3_NS0_12zip_iteratorINS5_IJN6thrust23THRUST_200600_302600_NS6detail15normal_iteratorINSC_10device_ptrIKdEEEESI_EEEEESK_NSA_INS5_IJNSC_16discard_iteratorINSC_11use_defaultEEESN_EEEEEPS7_SQ_SQ_NSC_11hip_rocprim7__merge17predicate_wrapperIddNSC_4lessIdEEEEEE10hipError_tPvRmT0_T1_T2_T3_T4_T5_mmT6_P12ihipStream_tbEUlT_E_NS1_11comp_targetILNS1_3genE3ELNS1_11target_archE908ELNS1_3gpuE7ELNS1_3repE0EEENS1_30default_config_static_selectorELNS0_4arch9wavefront6targetE0EEEvS11_,comdat
.Lfunc_end482:
	.size	_ZN7rocprim17ROCPRIM_400000_NS6detail17trampoline_kernelINS0_14default_configENS1_21merge_config_selectorINS0_5tupleIJddEEENS0_10empty_typeEEEZNS1_10merge_implIS3_NS0_12zip_iteratorINS5_IJN6thrust23THRUST_200600_302600_NS6detail15normal_iteratorINSC_10device_ptrIKdEEEESI_EEEEESK_NSA_INS5_IJNSC_16discard_iteratorINSC_11use_defaultEEESN_EEEEEPS7_SQ_SQ_NSC_11hip_rocprim7__merge17predicate_wrapperIddNSC_4lessIdEEEEEE10hipError_tPvRmT0_T1_T2_T3_T4_T5_mmT6_P12ihipStream_tbEUlT_E_NS1_11comp_targetILNS1_3genE3ELNS1_11target_archE908ELNS1_3gpuE7ELNS1_3repE0EEENS1_30default_config_static_selectorELNS0_4arch9wavefront6targetE0EEEvS11_, .Lfunc_end482-_ZN7rocprim17ROCPRIM_400000_NS6detail17trampoline_kernelINS0_14default_configENS1_21merge_config_selectorINS0_5tupleIJddEEENS0_10empty_typeEEEZNS1_10merge_implIS3_NS0_12zip_iteratorINS5_IJN6thrust23THRUST_200600_302600_NS6detail15normal_iteratorINSC_10device_ptrIKdEEEESI_EEEEESK_NSA_INS5_IJNSC_16discard_iteratorINSC_11use_defaultEEESN_EEEEEPS7_SQ_SQ_NSC_11hip_rocprim7__merge17predicate_wrapperIddNSC_4lessIdEEEEEE10hipError_tPvRmT0_T1_T2_T3_T4_T5_mmT6_P12ihipStream_tbEUlT_E_NS1_11comp_targetILNS1_3genE3ELNS1_11target_archE908ELNS1_3gpuE7ELNS1_3repE0EEENS1_30default_config_static_selectorELNS0_4arch9wavefront6targetE0EEEvS11_
                                        ; -- End function
	.set _ZN7rocprim17ROCPRIM_400000_NS6detail17trampoline_kernelINS0_14default_configENS1_21merge_config_selectorINS0_5tupleIJddEEENS0_10empty_typeEEEZNS1_10merge_implIS3_NS0_12zip_iteratorINS5_IJN6thrust23THRUST_200600_302600_NS6detail15normal_iteratorINSC_10device_ptrIKdEEEESI_EEEEESK_NSA_INS5_IJNSC_16discard_iteratorINSC_11use_defaultEEESN_EEEEEPS7_SQ_SQ_NSC_11hip_rocprim7__merge17predicate_wrapperIddNSC_4lessIdEEEEEE10hipError_tPvRmT0_T1_T2_T3_T4_T5_mmT6_P12ihipStream_tbEUlT_E_NS1_11comp_targetILNS1_3genE3ELNS1_11target_archE908ELNS1_3gpuE7ELNS1_3repE0EEENS1_30default_config_static_selectorELNS0_4arch9wavefront6targetE0EEEvS11_.num_vgpr, 0
	.set _ZN7rocprim17ROCPRIM_400000_NS6detail17trampoline_kernelINS0_14default_configENS1_21merge_config_selectorINS0_5tupleIJddEEENS0_10empty_typeEEEZNS1_10merge_implIS3_NS0_12zip_iteratorINS5_IJN6thrust23THRUST_200600_302600_NS6detail15normal_iteratorINSC_10device_ptrIKdEEEESI_EEEEESK_NSA_INS5_IJNSC_16discard_iteratorINSC_11use_defaultEEESN_EEEEEPS7_SQ_SQ_NSC_11hip_rocprim7__merge17predicate_wrapperIddNSC_4lessIdEEEEEE10hipError_tPvRmT0_T1_T2_T3_T4_T5_mmT6_P12ihipStream_tbEUlT_E_NS1_11comp_targetILNS1_3genE3ELNS1_11target_archE908ELNS1_3gpuE7ELNS1_3repE0EEENS1_30default_config_static_selectorELNS0_4arch9wavefront6targetE0EEEvS11_.num_agpr, 0
	.set _ZN7rocprim17ROCPRIM_400000_NS6detail17trampoline_kernelINS0_14default_configENS1_21merge_config_selectorINS0_5tupleIJddEEENS0_10empty_typeEEEZNS1_10merge_implIS3_NS0_12zip_iteratorINS5_IJN6thrust23THRUST_200600_302600_NS6detail15normal_iteratorINSC_10device_ptrIKdEEEESI_EEEEESK_NSA_INS5_IJNSC_16discard_iteratorINSC_11use_defaultEEESN_EEEEEPS7_SQ_SQ_NSC_11hip_rocprim7__merge17predicate_wrapperIddNSC_4lessIdEEEEEE10hipError_tPvRmT0_T1_T2_T3_T4_T5_mmT6_P12ihipStream_tbEUlT_E_NS1_11comp_targetILNS1_3genE3ELNS1_11target_archE908ELNS1_3gpuE7ELNS1_3repE0EEENS1_30default_config_static_selectorELNS0_4arch9wavefront6targetE0EEEvS11_.numbered_sgpr, 0
	.set _ZN7rocprim17ROCPRIM_400000_NS6detail17trampoline_kernelINS0_14default_configENS1_21merge_config_selectorINS0_5tupleIJddEEENS0_10empty_typeEEEZNS1_10merge_implIS3_NS0_12zip_iteratorINS5_IJN6thrust23THRUST_200600_302600_NS6detail15normal_iteratorINSC_10device_ptrIKdEEEESI_EEEEESK_NSA_INS5_IJNSC_16discard_iteratorINSC_11use_defaultEEESN_EEEEEPS7_SQ_SQ_NSC_11hip_rocprim7__merge17predicate_wrapperIddNSC_4lessIdEEEEEE10hipError_tPvRmT0_T1_T2_T3_T4_T5_mmT6_P12ihipStream_tbEUlT_E_NS1_11comp_targetILNS1_3genE3ELNS1_11target_archE908ELNS1_3gpuE7ELNS1_3repE0EEENS1_30default_config_static_selectorELNS0_4arch9wavefront6targetE0EEEvS11_.num_named_barrier, 0
	.set _ZN7rocprim17ROCPRIM_400000_NS6detail17trampoline_kernelINS0_14default_configENS1_21merge_config_selectorINS0_5tupleIJddEEENS0_10empty_typeEEEZNS1_10merge_implIS3_NS0_12zip_iteratorINS5_IJN6thrust23THRUST_200600_302600_NS6detail15normal_iteratorINSC_10device_ptrIKdEEEESI_EEEEESK_NSA_INS5_IJNSC_16discard_iteratorINSC_11use_defaultEEESN_EEEEEPS7_SQ_SQ_NSC_11hip_rocprim7__merge17predicate_wrapperIddNSC_4lessIdEEEEEE10hipError_tPvRmT0_T1_T2_T3_T4_T5_mmT6_P12ihipStream_tbEUlT_E_NS1_11comp_targetILNS1_3genE3ELNS1_11target_archE908ELNS1_3gpuE7ELNS1_3repE0EEENS1_30default_config_static_selectorELNS0_4arch9wavefront6targetE0EEEvS11_.private_seg_size, 0
	.set _ZN7rocprim17ROCPRIM_400000_NS6detail17trampoline_kernelINS0_14default_configENS1_21merge_config_selectorINS0_5tupleIJddEEENS0_10empty_typeEEEZNS1_10merge_implIS3_NS0_12zip_iteratorINS5_IJN6thrust23THRUST_200600_302600_NS6detail15normal_iteratorINSC_10device_ptrIKdEEEESI_EEEEESK_NSA_INS5_IJNSC_16discard_iteratorINSC_11use_defaultEEESN_EEEEEPS7_SQ_SQ_NSC_11hip_rocprim7__merge17predicate_wrapperIddNSC_4lessIdEEEEEE10hipError_tPvRmT0_T1_T2_T3_T4_T5_mmT6_P12ihipStream_tbEUlT_E_NS1_11comp_targetILNS1_3genE3ELNS1_11target_archE908ELNS1_3gpuE7ELNS1_3repE0EEENS1_30default_config_static_selectorELNS0_4arch9wavefront6targetE0EEEvS11_.uses_vcc, 0
	.set _ZN7rocprim17ROCPRIM_400000_NS6detail17trampoline_kernelINS0_14default_configENS1_21merge_config_selectorINS0_5tupleIJddEEENS0_10empty_typeEEEZNS1_10merge_implIS3_NS0_12zip_iteratorINS5_IJN6thrust23THRUST_200600_302600_NS6detail15normal_iteratorINSC_10device_ptrIKdEEEESI_EEEEESK_NSA_INS5_IJNSC_16discard_iteratorINSC_11use_defaultEEESN_EEEEEPS7_SQ_SQ_NSC_11hip_rocprim7__merge17predicate_wrapperIddNSC_4lessIdEEEEEE10hipError_tPvRmT0_T1_T2_T3_T4_T5_mmT6_P12ihipStream_tbEUlT_E_NS1_11comp_targetILNS1_3genE3ELNS1_11target_archE908ELNS1_3gpuE7ELNS1_3repE0EEENS1_30default_config_static_selectorELNS0_4arch9wavefront6targetE0EEEvS11_.uses_flat_scratch, 0
	.set _ZN7rocprim17ROCPRIM_400000_NS6detail17trampoline_kernelINS0_14default_configENS1_21merge_config_selectorINS0_5tupleIJddEEENS0_10empty_typeEEEZNS1_10merge_implIS3_NS0_12zip_iteratorINS5_IJN6thrust23THRUST_200600_302600_NS6detail15normal_iteratorINSC_10device_ptrIKdEEEESI_EEEEESK_NSA_INS5_IJNSC_16discard_iteratorINSC_11use_defaultEEESN_EEEEEPS7_SQ_SQ_NSC_11hip_rocprim7__merge17predicate_wrapperIddNSC_4lessIdEEEEEE10hipError_tPvRmT0_T1_T2_T3_T4_T5_mmT6_P12ihipStream_tbEUlT_E_NS1_11comp_targetILNS1_3genE3ELNS1_11target_archE908ELNS1_3gpuE7ELNS1_3repE0EEENS1_30default_config_static_selectorELNS0_4arch9wavefront6targetE0EEEvS11_.has_dyn_sized_stack, 0
	.set _ZN7rocprim17ROCPRIM_400000_NS6detail17trampoline_kernelINS0_14default_configENS1_21merge_config_selectorINS0_5tupleIJddEEENS0_10empty_typeEEEZNS1_10merge_implIS3_NS0_12zip_iteratorINS5_IJN6thrust23THRUST_200600_302600_NS6detail15normal_iteratorINSC_10device_ptrIKdEEEESI_EEEEESK_NSA_INS5_IJNSC_16discard_iteratorINSC_11use_defaultEEESN_EEEEEPS7_SQ_SQ_NSC_11hip_rocprim7__merge17predicate_wrapperIddNSC_4lessIdEEEEEE10hipError_tPvRmT0_T1_T2_T3_T4_T5_mmT6_P12ihipStream_tbEUlT_E_NS1_11comp_targetILNS1_3genE3ELNS1_11target_archE908ELNS1_3gpuE7ELNS1_3repE0EEENS1_30default_config_static_selectorELNS0_4arch9wavefront6targetE0EEEvS11_.has_recursion, 0
	.set _ZN7rocprim17ROCPRIM_400000_NS6detail17trampoline_kernelINS0_14default_configENS1_21merge_config_selectorINS0_5tupleIJddEEENS0_10empty_typeEEEZNS1_10merge_implIS3_NS0_12zip_iteratorINS5_IJN6thrust23THRUST_200600_302600_NS6detail15normal_iteratorINSC_10device_ptrIKdEEEESI_EEEEESK_NSA_INS5_IJNSC_16discard_iteratorINSC_11use_defaultEEESN_EEEEEPS7_SQ_SQ_NSC_11hip_rocprim7__merge17predicate_wrapperIddNSC_4lessIdEEEEEE10hipError_tPvRmT0_T1_T2_T3_T4_T5_mmT6_P12ihipStream_tbEUlT_E_NS1_11comp_targetILNS1_3genE3ELNS1_11target_archE908ELNS1_3gpuE7ELNS1_3repE0EEENS1_30default_config_static_selectorELNS0_4arch9wavefront6targetE0EEEvS11_.has_indirect_call, 0
	.section	.AMDGPU.csdata,"",@progbits
; Kernel info:
; codeLenInByte = 0
; TotalNumSgprs: 0
; NumVgprs: 0
; ScratchSize: 0
; MemoryBound: 0
; FloatMode: 240
; IeeeMode: 1
; LDSByteSize: 0 bytes/workgroup (compile time only)
; SGPRBlocks: 0
; VGPRBlocks: 0
; NumSGPRsForWavesPerEU: 1
; NumVGPRsForWavesPerEU: 1
; NamedBarCnt: 0
; Occupancy: 16
; WaveLimiterHint : 0
; COMPUTE_PGM_RSRC2:SCRATCH_EN: 0
; COMPUTE_PGM_RSRC2:USER_SGPR: 2
; COMPUTE_PGM_RSRC2:TRAP_HANDLER: 0
; COMPUTE_PGM_RSRC2:TGID_X_EN: 1
; COMPUTE_PGM_RSRC2:TGID_Y_EN: 0
; COMPUTE_PGM_RSRC2:TGID_Z_EN: 0
; COMPUTE_PGM_RSRC2:TIDIG_COMP_CNT: 0
	.section	.text._ZN7rocprim17ROCPRIM_400000_NS6detail17trampoline_kernelINS0_14default_configENS1_21merge_config_selectorINS0_5tupleIJddEEENS0_10empty_typeEEEZNS1_10merge_implIS3_NS0_12zip_iteratorINS5_IJN6thrust23THRUST_200600_302600_NS6detail15normal_iteratorINSC_10device_ptrIKdEEEESI_EEEEESK_NSA_INS5_IJNSC_16discard_iteratorINSC_11use_defaultEEESN_EEEEEPS7_SQ_SQ_NSC_11hip_rocprim7__merge17predicate_wrapperIddNSC_4lessIdEEEEEE10hipError_tPvRmT0_T1_T2_T3_T4_T5_mmT6_P12ihipStream_tbEUlT_E_NS1_11comp_targetILNS1_3genE2ELNS1_11target_archE906ELNS1_3gpuE6ELNS1_3repE0EEENS1_30default_config_static_selectorELNS0_4arch9wavefront6targetE0EEEvS11_,"axG",@progbits,_ZN7rocprim17ROCPRIM_400000_NS6detail17trampoline_kernelINS0_14default_configENS1_21merge_config_selectorINS0_5tupleIJddEEENS0_10empty_typeEEEZNS1_10merge_implIS3_NS0_12zip_iteratorINS5_IJN6thrust23THRUST_200600_302600_NS6detail15normal_iteratorINSC_10device_ptrIKdEEEESI_EEEEESK_NSA_INS5_IJNSC_16discard_iteratorINSC_11use_defaultEEESN_EEEEEPS7_SQ_SQ_NSC_11hip_rocprim7__merge17predicate_wrapperIddNSC_4lessIdEEEEEE10hipError_tPvRmT0_T1_T2_T3_T4_T5_mmT6_P12ihipStream_tbEUlT_E_NS1_11comp_targetILNS1_3genE2ELNS1_11target_archE906ELNS1_3gpuE6ELNS1_3repE0EEENS1_30default_config_static_selectorELNS0_4arch9wavefront6targetE0EEEvS11_,comdat
	.protected	_ZN7rocprim17ROCPRIM_400000_NS6detail17trampoline_kernelINS0_14default_configENS1_21merge_config_selectorINS0_5tupleIJddEEENS0_10empty_typeEEEZNS1_10merge_implIS3_NS0_12zip_iteratorINS5_IJN6thrust23THRUST_200600_302600_NS6detail15normal_iteratorINSC_10device_ptrIKdEEEESI_EEEEESK_NSA_INS5_IJNSC_16discard_iteratorINSC_11use_defaultEEESN_EEEEEPS7_SQ_SQ_NSC_11hip_rocprim7__merge17predicate_wrapperIddNSC_4lessIdEEEEEE10hipError_tPvRmT0_T1_T2_T3_T4_T5_mmT6_P12ihipStream_tbEUlT_E_NS1_11comp_targetILNS1_3genE2ELNS1_11target_archE906ELNS1_3gpuE6ELNS1_3repE0EEENS1_30default_config_static_selectorELNS0_4arch9wavefront6targetE0EEEvS11_ ; -- Begin function _ZN7rocprim17ROCPRIM_400000_NS6detail17trampoline_kernelINS0_14default_configENS1_21merge_config_selectorINS0_5tupleIJddEEENS0_10empty_typeEEEZNS1_10merge_implIS3_NS0_12zip_iteratorINS5_IJN6thrust23THRUST_200600_302600_NS6detail15normal_iteratorINSC_10device_ptrIKdEEEESI_EEEEESK_NSA_INS5_IJNSC_16discard_iteratorINSC_11use_defaultEEESN_EEEEEPS7_SQ_SQ_NSC_11hip_rocprim7__merge17predicate_wrapperIddNSC_4lessIdEEEEEE10hipError_tPvRmT0_T1_T2_T3_T4_T5_mmT6_P12ihipStream_tbEUlT_E_NS1_11comp_targetILNS1_3genE2ELNS1_11target_archE906ELNS1_3gpuE6ELNS1_3repE0EEENS1_30default_config_static_selectorELNS0_4arch9wavefront6targetE0EEEvS11_
	.globl	_ZN7rocprim17ROCPRIM_400000_NS6detail17trampoline_kernelINS0_14default_configENS1_21merge_config_selectorINS0_5tupleIJddEEENS0_10empty_typeEEEZNS1_10merge_implIS3_NS0_12zip_iteratorINS5_IJN6thrust23THRUST_200600_302600_NS6detail15normal_iteratorINSC_10device_ptrIKdEEEESI_EEEEESK_NSA_INS5_IJNSC_16discard_iteratorINSC_11use_defaultEEESN_EEEEEPS7_SQ_SQ_NSC_11hip_rocprim7__merge17predicate_wrapperIddNSC_4lessIdEEEEEE10hipError_tPvRmT0_T1_T2_T3_T4_T5_mmT6_P12ihipStream_tbEUlT_E_NS1_11comp_targetILNS1_3genE2ELNS1_11target_archE906ELNS1_3gpuE6ELNS1_3repE0EEENS1_30default_config_static_selectorELNS0_4arch9wavefront6targetE0EEEvS11_
	.p2align	8
	.type	_ZN7rocprim17ROCPRIM_400000_NS6detail17trampoline_kernelINS0_14default_configENS1_21merge_config_selectorINS0_5tupleIJddEEENS0_10empty_typeEEEZNS1_10merge_implIS3_NS0_12zip_iteratorINS5_IJN6thrust23THRUST_200600_302600_NS6detail15normal_iteratorINSC_10device_ptrIKdEEEESI_EEEEESK_NSA_INS5_IJNSC_16discard_iteratorINSC_11use_defaultEEESN_EEEEEPS7_SQ_SQ_NSC_11hip_rocprim7__merge17predicate_wrapperIddNSC_4lessIdEEEEEE10hipError_tPvRmT0_T1_T2_T3_T4_T5_mmT6_P12ihipStream_tbEUlT_E_NS1_11comp_targetILNS1_3genE2ELNS1_11target_archE906ELNS1_3gpuE6ELNS1_3repE0EEENS1_30default_config_static_selectorELNS0_4arch9wavefront6targetE0EEEvS11_,@function
_ZN7rocprim17ROCPRIM_400000_NS6detail17trampoline_kernelINS0_14default_configENS1_21merge_config_selectorINS0_5tupleIJddEEENS0_10empty_typeEEEZNS1_10merge_implIS3_NS0_12zip_iteratorINS5_IJN6thrust23THRUST_200600_302600_NS6detail15normal_iteratorINSC_10device_ptrIKdEEEESI_EEEEESK_NSA_INS5_IJNSC_16discard_iteratorINSC_11use_defaultEEESN_EEEEEPS7_SQ_SQ_NSC_11hip_rocprim7__merge17predicate_wrapperIddNSC_4lessIdEEEEEE10hipError_tPvRmT0_T1_T2_T3_T4_T5_mmT6_P12ihipStream_tbEUlT_E_NS1_11comp_targetILNS1_3genE2ELNS1_11target_archE906ELNS1_3gpuE6ELNS1_3repE0EEENS1_30default_config_static_selectorELNS0_4arch9wavefront6targetE0EEEvS11_: ; @_ZN7rocprim17ROCPRIM_400000_NS6detail17trampoline_kernelINS0_14default_configENS1_21merge_config_selectorINS0_5tupleIJddEEENS0_10empty_typeEEEZNS1_10merge_implIS3_NS0_12zip_iteratorINS5_IJN6thrust23THRUST_200600_302600_NS6detail15normal_iteratorINSC_10device_ptrIKdEEEESI_EEEEESK_NSA_INS5_IJNSC_16discard_iteratorINSC_11use_defaultEEESN_EEEEEPS7_SQ_SQ_NSC_11hip_rocprim7__merge17predicate_wrapperIddNSC_4lessIdEEEEEE10hipError_tPvRmT0_T1_T2_T3_T4_T5_mmT6_P12ihipStream_tbEUlT_E_NS1_11comp_targetILNS1_3genE2ELNS1_11target_archE906ELNS1_3gpuE6ELNS1_3repE0EEENS1_30default_config_static_selectorELNS0_4arch9wavefront6targetE0EEEvS11_
; %bb.0:
	.section	.rodata,"a",@progbits
	.p2align	6, 0x0
	.amdhsa_kernel _ZN7rocprim17ROCPRIM_400000_NS6detail17trampoline_kernelINS0_14default_configENS1_21merge_config_selectorINS0_5tupleIJddEEENS0_10empty_typeEEEZNS1_10merge_implIS3_NS0_12zip_iteratorINS5_IJN6thrust23THRUST_200600_302600_NS6detail15normal_iteratorINSC_10device_ptrIKdEEEESI_EEEEESK_NSA_INS5_IJNSC_16discard_iteratorINSC_11use_defaultEEESN_EEEEEPS7_SQ_SQ_NSC_11hip_rocprim7__merge17predicate_wrapperIddNSC_4lessIdEEEEEE10hipError_tPvRmT0_T1_T2_T3_T4_T5_mmT6_P12ihipStream_tbEUlT_E_NS1_11comp_targetILNS1_3genE2ELNS1_11target_archE906ELNS1_3gpuE6ELNS1_3repE0EEENS1_30default_config_static_selectorELNS0_4arch9wavefront6targetE0EEEvS11_
		.amdhsa_group_segment_fixed_size 0
		.amdhsa_private_segment_fixed_size 0
		.amdhsa_kernarg_size 64
		.amdhsa_user_sgpr_count 2
		.amdhsa_user_sgpr_dispatch_ptr 0
		.amdhsa_user_sgpr_queue_ptr 0
		.amdhsa_user_sgpr_kernarg_segment_ptr 1
		.amdhsa_user_sgpr_dispatch_id 0
		.amdhsa_user_sgpr_kernarg_preload_length 0
		.amdhsa_user_sgpr_kernarg_preload_offset 0
		.amdhsa_user_sgpr_private_segment_size 0
		.amdhsa_wavefront_size32 1
		.amdhsa_uses_dynamic_stack 0
		.amdhsa_enable_private_segment 0
		.amdhsa_system_sgpr_workgroup_id_x 1
		.amdhsa_system_sgpr_workgroup_id_y 0
		.amdhsa_system_sgpr_workgroup_id_z 0
		.amdhsa_system_sgpr_workgroup_info 0
		.amdhsa_system_vgpr_workitem_id 0
		.amdhsa_next_free_vgpr 1
		.amdhsa_next_free_sgpr 1
		.amdhsa_named_barrier_count 0
		.amdhsa_reserve_vcc 0
		.amdhsa_float_round_mode_32 0
		.amdhsa_float_round_mode_16_64 0
		.amdhsa_float_denorm_mode_32 3
		.amdhsa_float_denorm_mode_16_64 3
		.amdhsa_fp16_overflow 0
		.amdhsa_memory_ordered 1
		.amdhsa_forward_progress 1
		.amdhsa_inst_pref_size 0
		.amdhsa_round_robin_scheduling 0
		.amdhsa_exception_fp_ieee_invalid_op 0
		.amdhsa_exception_fp_denorm_src 0
		.amdhsa_exception_fp_ieee_div_zero 0
		.amdhsa_exception_fp_ieee_overflow 0
		.amdhsa_exception_fp_ieee_underflow 0
		.amdhsa_exception_fp_ieee_inexact 0
		.amdhsa_exception_int_div_zero 0
	.end_amdhsa_kernel
	.section	.text._ZN7rocprim17ROCPRIM_400000_NS6detail17trampoline_kernelINS0_14default_configENS1_21merge_config_selectorINS0_5tupleIJddEEENS0_10empty_typeEEEZNS1_10merge_implIS3_NS0_12zip_iteratorINS5_IJN6thrust23THRUST_200600_302600_NS6detail15normal_iteratorINSC_10device_ptrIKdEEEESI_EEEEESK_NSA_INS5_IJNSC_16discard_iteratorINSC_11use_defaultEEESN_EEEEEPS7_SQ_SQ_NSC_11hip_rocprim7__merge17predicate_wrapperIddNSC_4lessIdEEEEEE10hipError_tPvRmT0_T1_T2_T3_T4_T5_mmT6_P12ihipStream_tbEUlT_E_NS1_11comp_targetILNS1_3genE2ELNS1_11target_archE906ELNS1_3gpuE6ELNS1_3repE0EEENS1_30default_config_static_selectorELNS0_4arch9wavefront6targetE0EEEvS11_,"axG",@progbits,_ZN7rocprim17ROCPRIM_400000_NS6detail17trampoline_kernelINS0_14default_configENS1_21merge_config_selectorINS0_5tupleIJddEEENS0_10empty_typeEEEZNS1_10merge_implIS3_NS0_12zip_iteratorINS5_IJN6thrust23THRUST_200600_302600_NS6detail15normal_iteratorINSC_10device_ptrIKdEEEESI_EEEEESK_NSA_INS5_IJNSC_16discard_iteratorINSC_11use_defaultEEESN_EEEEEPS7_SQ_SQ_NSC_11hip_rocprim7__merge17predicate_wrapperIddNSC_4lessIdEEEEEE10hipError_tPvRmT0_T1_T2_T3_T4_T5_mmT6_P12ihipStream_tbEUlT_E_NS1_11comp_targetILNS1_3genE2ELNS1_11target_archE906ELNS1_3gpuE6ELNS1_3repE0EEENS1_30default_config_static_selectorELNS0_4arch9wavefront6targetE0EEEvS11_,comdat
.Lfunc_end483:
	.size	_ZN7rocprim17ROCPRIM_400000_NS6detail17trampoline_kernelINS0_14default_configENS1_21merge_config_selectorINS0_5tupleIJddEEENS0_10empty_typeEEEZNS1_10merge_implIS3_NS0_12zip_iteratorINS5_IJN6thrust23THRUST_200600_302600_NS6detail15normal_iteratorINSC_10device_ptrIKdEEEESI_EEEEESK_NSA_INS5_IJNSC_16discard_iteratorINSC_11use_defaultEEESN_EEEEEPS7_SQ_SQ_NSC_11hip_rocprim7__merge17predicate_wrapperIddNSC_4lessIdEEEEEE10hipError_tPvRmT0_T1_T2_T3_T4_T5_mmT6_P12ihipStream_tbEUlT_E_NS1_11comp_targetILNS1_3genE2ELNS1_11target_archE906ELNS1_3gpuE6ELNS1_3repE0EEENS1_30default_config_static_selectorELNS0_4arch9wavefront6targetE0EEEvS11_, .Lfunc_end483-_ZN7rocprim17ROCPRIM_400000_NS6detail17trampoline_kernelINS0_14default_configENS1_21merge_config_selectorINS0_5tupleIJddEEENS0_10empty_typeEEEZNS1_10merge_implIS3_NS0_12zip_iteratorINS5_IJN6thrust23THRUST_200600_302600_NS6detail15normal_iteratorINSC_10device_ptrIKdEEEESI_EEEEESK_NSA_INS5_IJNSC_16discard_iteratorINSC_11use_defaultEEESN_EEEEEPS7_SQ_SQ_NSC_11hip_rocprim7__merge17predicate_wrapperIddNSC_4lessIdEEEEEE10hipError_tPvRmT0_T1_T2_T3_T4_T5_mmT6_P12ihipStream_tbEUlT_E_NS1_11comp_targetILNS1_3genE2ELNS1_11target_archE906ELNS1_3gpuE6ELNS1_3repE0EEENS1_30default_config_static_selectorELNS0_4arch9wavefront6targetE0EEEvS11_
                                        ; -- End function
	.set _ZN7rocprim17ROCPRIM_400000_NS6detail17trampoline_kernelINS0_14default_configENS1_21merge_config_selectorINS0_5tupleIJddEEENS0_10empty_typeEEEZNS1_10merge_implIS3_NS0_12zip_iteratorINS5_IJN6thrust23THRUST_200600_302600_NS6detail15normal_iteratorINSC_10device_ptrIKdEEEESI_EEEEESK_NSA_INS5_IJNSC_16discard_iteratorINSC_11use_defaultEEESN_EEEEEPS7_SQ_SQ_NSC_11hip_rocprim7__merge17predicate_wrapperIddNSC_4lessIdEEEEEE10hipError_tPvRmT0_T1_T2_T3_T4_T5_mmT6_P12ihipStream_tbEUlT_E_NS1_11comp_targetILNS1_3genE2ELNS1_11target_archE906ELNS1_3gpuE6ELNS1_3repE0EEENS1_30default_config_static_selectorELNS0_4arch9wavefront6targetE0EEEvS11_.num_vgpr, 0
	.set _ZN7rocprim17ROCPRIM_400000_NS6detail17trampoline_kernelINS0_14default_configENS1_21merge_config_selectorINS0_5tupleIJddEEENS0_10empty_typeEEEZNS1_10merge_implIS3_NS0_12zip_iteratorINS5_IJN6thrust23THRUST_200600_302600_NS6detail15normal_iteratorINSC_10device_ptrIKdEEEESI_EEEEESK_NSA_INS5_IJNSC_16discard_iteratorINSC_11use_defaultEEESN_EEEEEPS7_SQ_SQ_NSC_11hip_rocprim7__merge17predicate_wrapperIddNSC_4lessIdEEEEEE10hipError_tPvRmT0_T1_T2_T3_T4_T5_mmT6_P12ihipStream_tbEUlT_E_NS1_11comp_targetILNS1_3genE2ELNS1_11target_archE906ELNS1_3gpuE6ELNS1_3repE0EEENS1_30default_config_static_selectorELNS0_4arch9wavefront6targetE0EEEvS11_.num_agpr, 0
	.set _ZN7rocprim17ROCPRIM_400000_NS6detail17trampoline_kernelINS0_14default_configENS1_21merge_config_selectorINS0_5tupleIJddEEENS0_10empty_typeEEEZNS1_10merge_implIS3_NS0_12zip_iteratorINS5_IJN6thrust23THRUST_200600_302600_NS6detail15normal_iteratorINSC_10device_ptrIKdEEEESI_EEEEESK_NSA_INS5_IJNSC_16discard_iteratorINSC_11use_defaultEEESN_EEEEEPS7_SQ_SQ_NSC_11hip_rocprim7__merge17predicate_wrapperIddNSC_4lessIdEEEEEE10hipError_tPvRmT0_T1_T2_T3_T4_T5_mmT6_P12ihipStream_tbEUlT_E_NS1_11comp_targetILNS1_3genE2ELNS1_11target_archE906ELNS1_3gpuE6ELNS1_3repE0EEENS1_30default_config_static_selectorELNS0_4arch9wavefront6targetE0EEEvS11_.numbered_sgpr, 0
	.set _ZN7rocprim17ROCPRIM_400000_NS6detail17trampoline_kernelINS0_14default_configENS1_21merge_config_selectorINS0_5tupleIJddEEENS0_10empty_typeEEEZNS1_10merge_implIS3_NS0_12zip_iteratorINS5_IJN6thrust23THRUST_200600_302600_NS6detail15normal_iteratorINSC_10device_ptrIKdEEEESI_EEEEESK_NSA_INS5_IJNSC_16discard_iteratorINSC_11use_defaultEEESN_EEEEEPS7_SQ_SQ_NSC_11hip_rocprim7__merge17predicate_wrapperIddNSC_4lessIdEEEEEE10hipError_tPvRmT0_T1_T2_T3_T4_T5_mmT6_P12ihipStream_tbEUlT_E_NS1_11comp_targetILNS1_3genE2ELNS1_11target_archE906ELNS1_3gpuE6ELNS1_3repE0EEENS1_30default_config_static_selectorELNS0_4arch9wavefront6targetE0EEEvS11_.num_named_barrier, 0
	.set _ZN7rocprim17ROCPRIM_400000_NS6detail17trampoline_kernelINS0_14default_configENS1_21merge_config_selectorINS0_5tupleIJddEEENS0_10empty_typeEEEZNS1_10merge_implIS3_NS0_12zip_iteratorINS5_IJN6thrust23THRUST_200600_302600_NS6detail15normal_iteratorINSC_10device_ptrIKdEEEESI_EEEEESK_NSA_INS5_IJNSC_16discard_iteratorINSC_11use_defaultEEESN_EEEEEPS7_SQ_SQ_NSC_11hip_rocprim7__merge17predicate_wrapperIddNSC_4lessIdEEEEEE10hipError_tPvRmT0_T1_T2_T3_T4_T5_mmT6_P12ihipStream_tbEUlT_E_NS1_11comp_targetILNS1_3genE2ELNS1_11target_archE906ELNS1_3gpuE6ELNS1_3repE0EEENS1_30default_config_static_selectorELNS0_4arch9wavefront6targetE0EEEvS11_.private_seg_size, 0
	.set _ZN7rocprim17ROCPRIM_400000_NS6detail17trampoline_kernelINS0_14default_configENS1_21merge_config_selectorINS0_5tupleIJddEEENS0_10empty_typeEEEZNS1_10merge_implIS3_NS0_12zip_iteratorINS5_IJN6thrust23THRUST_200600_302600_NS6detail15normal_iteratorINSC_10device_ptrIKdEEEESI_EEEEESK_NSA_INS5_IJNSC_16discard_iteratorINSC_11use_defaultEEESN_EEEEEPS7_SQ_SQ_NSC_11hip_rocprim7__merge17predicate_wrapperIddNSC_4lessIdEEEEEE10hipError_tPvRmT0_T1_T2_T3_T4_T5_mmT6_P12ihipStream_tbEUlT_E_NS1_11comp_targetILNS1_3genE2ELNS1_11target_archE906ELNS1_3gpuE6ELNS1_3repE0EEENS1_30default_config_static_selectorELNS0_4arch9wavefront6targetE0EEEvS11_.uses_vcc, 0
	.set _ZN7rocprim17ROCPRIM_400000_NS6detail17trampoline_kernelINS0_14default_configENS1_21merge_config_selectorINS0_5tupleIJddEEENS0_10empty_typeEEEZNS1_10merge_implIS3_NS0_12zip_iteratorINS5_IJN6thrust23THRUST_200600_302600_NS6detail15normal_iteratorINSC_10device_ptrIKdEEEESI_EEEEESK_NSA_INS5_IJNSC_16discard_iteratorINSC_11use_defaultEEESN_EEEEEPS7_SQ_SQ_NSC_11hip_rocprim7__merge17predicate_wrapperIddNSC_4lessIdEEEEEE10hipError_tPvRmT0_T1_T2_T3_T4_T5_mmT6_P12ihipStream_tbEUlT_E_NS1_11comp_targetILNS1_3genE2ELNS1_11target_archE906ELNS1_3gpuE6ELNS1_3repE0EEENS1_30default_config_static_selectorELNS0_4arch9wavefront6targetE0EEEvS11_.uses_flat_scratch, 0
	.set _ZN7rocprim17ROCPRIM_400000_NS6detail17trampoline_kernelINS0_14default_configENS1_21merge_config_selectorINS0_5tupleIJddEEENS0_10empty_typeEEEZNS1_10merge_implIS3_NS0_12zip_iteratorINS5_IJN6thrust23THRUST_200600_302600_NS6detail15normal_iteratorINSC_10device_ptrIKdEEEESI_EEEEESK_NSA_INS5_IJNSC_16discard_iteratorINSC_11use_defaultEEESN_EEEEEPS7_SQ_SQ_NSC_11hip_rocprim7__merge17predicate_wrapperIddNSC_4lessIdEEEEEE10hipError_tPvRmT0_T1_T2_T3_T4_T5_mmT6_P12ihipStream_tbEUlT_E_NS1_11comp_targetILNS1_3genE2ELNS1_11target_archE906ELNS1_3gpuE6ELNS1_3repE0EEENS1_30default_config_static_selectorELNS0_4arch9wavefront6targetE0EEEvS11_.has_dyn_sized_stack, 0
	.set _ZN7rocprim17ROCPRIM_400000_NS6detail17trampoline_kernelINS0_14default_configENS1_21merge_config_selectorINS0_5tupleIJddEEENS0_10empty_typeEEEZNS1_10merge_implIS3_NS0_12zip_iteratorINS5_IJN6thrust23THRUST_200600_302600_NS6detail15normal_iteratorINSC_10device_ptrIKdEEEESI_EEEEESK_NSA_INS5_IJNSC_16discard_iteratorINSC_11use_defaultEEESN_EEEEEPS7_SQ_SQ_NSC_11hip_rocprim7__merge17predicate_wrapperIddNSC_4lessIdEEEEEE10hipError_tPvRmT0_T1_T2_T3_T4_T5_mmT6_P12ihipStream_tbEUlT_E_NS1_11comp_targetILNS1_3genE2ELNS1_11target_archE906ELNS1_3gpuE6ELNS1_3repE0EEENS1_30default_config_static_selectorELNS0_4arch9wavefront6targetE0EEEvS11_.has_recursion, 0
	.set _ZN7rocprim17ROCPRIM_400000_NS6detail17trampoline_kernelINS0_14default_configENS1_21merge_config_selectorINS0_5tupleIJddEEENS0_10empty_typeEEEZNS1_10merge_implIS3_NS0_12zip_iteratorINS5_IJN6thrust23THRUST_200600_302600_NS6detail15normal_iteratorINSC_10device_ptrIKdEEEESI_EEEEESK_NSA_INS5_IJNSC_16discard_iteratorINSC_11use_defaultEEESN_EEEEEPS7_SQ_SQ_NSC_11hip_rocprim7__merge17predicate_wrapperIddNSC_4lessIdEEEEEE10hipError_tPvRmT0_T1_T2_T3_T4_T5_mmT6_P12ihipStream_tbEUlT_E_NS1_11comp_targetILNS1_3genE2ELNS1_11target_archE906ELNS1_3gpuE6ELNS1_3repE0EEENS1_30default_config_static_selectorELNS0_4arch9wavefront6targetE0EEEvS11_.has_indirect_call, 0
	.section	.AMDGPU.csdata,"",@progbits
; Kernel info:
; codeLenInByte = 0
; TotalNumSgprs: 0
; NumVgprs: 0
; ScratchSize: 0
; MemoryBound: 0
; FloatMode: 240
; IeeeMode: 1
; LDSByteSize: 0 bytes/workgroup (compile time only)
; SGPRBlocks: 0
; VGPRBlocks: 0
; NumSGPRsForWavesPerEU: 1
; NumVGPRsForWavesPerEU: 1
; NamedBarCnt: 0
; Occupancy: 16
; WaveLimiterHint : 0
; COMPUTE_PGM_RSRC2:SCRATCH_EN: 0
; COMPUTE_PGM_RSRC2:USER_SGPR: 2
; COMPUTE_PGM_RSRC2:TRAP_HANDLER: 0
; COMPUTE_PGM_RSRC2:TGID_X_EN: 1
; COMPUTE_PGM_RSRC2:TGID_Y_EN: 0
; COMPUTE_PGM_RSRC2:TGID_Z_EN: 0
; COMPUTE_PGM_RSRC2:TIDIG_COMP_CNT: 0
	.section	.text._ZN7rocprim17ROCPRIM_400000_NS6detail17trampoline_kernelINS0_14default_configENS1_21merge_config_selectorINS0_5tupleIJddEEENS0_10empty_typeEEEZNS1_10merge_implIS3_NS0_12zip_iteratorINS5_IJN6thrust23THRUST_200600_302600_NS6detail15normal_iteratorINSC_10device_ptrIKdEEEESI_EEEEESK_NSA_INS5_IJNSC_16discard_iteratorINSC_11use_defaultEEESN_EEEEEPS7_SQ_SQ_NSC_11hip_rocprim7__merge17predicate_wrapperIddNSC_4lessIdEEEEEE10hipError_tPvRmT0_T1_T2_T3_T4_T5_mmT6_P12ihipStream_tbEUlT_E_NS1_11comp_targetILNS1_3genE10ELNS1_11target_archE1201ELNS1_3gpuE5ELNS1_3repE0EEENS1_30default_config_static_selectorELNS0_4arch9wavefront6targetE0EEEvS11_,"axG",@progbits,_ZN7rocprim17ROCPRIM_400000_NS6detail17trampoline_kernelINS0_14default_configENS1_21merge_config_selectorINS0_5tupleIJddEEENS0_10empty_typeEEEZNS1_10merge_implIS3_NS0_12zip_iteratorINS5_IJN6thrust23THRUST_200600_302600_NS6detail15normal_iteratorINSC_10device_ptrIKdEEEESI_EEEEESK_NSA_INS5_IJNSC_16discard_iteratorINSC_11use_defaultEEESN_EEEEEPS7_SQ_SQ_NSC_11hip_rocprim7__merge17predicate_wrapperIddNSC_4lessIdEEEEEE10hipError_tPvRmT0_T1_T2_T3_T4_T5_mmT6_P12ihipStream_tbEUlT_E_NS1_11comp_targetILNS1_3genE10ELNS1_11target_archE1201ELNS1_3gpuE5ELNS1_3repE0EEENS1_30default_config_static_selectorELNS0_4arch9wavefront6targetE0EEEvS11_,comdat
	.protected	_ZN7rocprim17ROCPRIM_400000_NS6detail17trampoline_kernelINS0_14default_configENS1_21merge_config_selectorINS0_5tupleIJddEEENS0_10empty_typeEEEZNS1_10merge_implIS3_NS0_12zip_iteratorINS5_IJN6thrust23THRUST_200600_302600_NS6detail15normal_iteratorINSC_10device_ptrIKdEEEESI_EEEEESK_NSA_INS5_IJNSC_16discard_iteratorINSC_11use_defaultEEESN_EEEEEPS7_SQ_SQ_NSC_11hip_rocprim7__merge17predicate_wrapperIddNSC_4lessIdEEEEEE10hipError_tPvRmT0_T1_T2_T3_T4_T5_mmT6_P12ihipStream_tbEUlT_E_NS1_11comp_targetILNS1_3genE10ELNS1_11target_archE1201ELNS1_3gpuE5ELNS1_3repE0EEENS1_30default_config_static_selectorELNS0_4arch9wavefront6targetE0EEEvS11_ ; -- Begin function _ZN7rocprim17ROCPRIM_400000_NS6detail17trampoline_kernelINS0_14default_configENS1_21merge_config_selectorINS0_5tupleIJddEEENS0_10empty_typeEEEZNS1_10merge_implIS3_NS0_12zip_iteratorINS5_IJN6thrust23THRUST_200600_302600_NS6detail15normal_iteratorINSC_10device_ptrIKdEEEESI_EEEEESK_NSA_INS5_IJNSC_16discard_iteratorINSC_11use_defaultEEESN_EEEEEPS7_SQ_SQ_NSC_11hip_rocprim7__merge17predicate_wrapperIddNSC_4lessIdEEEEEE10hipError_tPvRmT0_T1_T2_T3_T4_T5_mmT6_P12ihipStream_tbEUlT_E_NS1_11comp_targetILNS1_3genE10ELNS1_11target_archE1201ELNS1_3gpuE5ELNS1_3repE0EEENS1_30default_config_static_selectorELNS0_4arch9wavefront6targetE0EEEvS11_
	.globl	_ZN7rocprim17ROCPRIM_400000_NS6detail17trampoline_kernelINS0_14default_configENS1_21merge_config_selectorINS0_5tupleIJddEEENS0_10empty_typeEEEZNS1_10merge_implIS3_NS0_12zip_iteratorINS5_IJN6thrust23THRUST_200600_302600_NS6detail15normal_iteratorINSC_10device_ptrIKdEEEESI_EEEEESK_NSA_INS5_IJNSC_16discard_iteratorINSC_11use_defaultEEESN_EEEEEPS7_SQ_SQ_NSC_11hip_rocprim7__merge17predicate_wrapperIddNSC_4lessIdEEEEEE10hipError_tPvRmT0_T1_T2_T3_T4_T5_mmT6_P12ihipStream_tbEUlT_E_NS1_11comp_targetILNS1_3genE10ELNS1_11target_archE1201ELNS1_3gpuE5ELNS1_3repE0EEENS1_30default_config_static_selectorELNS0_4arch9wavefront6targetE0EEEvS11_
	.p2align	8
	.type	_ZN7rocprim17ROCPRIM_400000_NS6detail17trampoline_kernelINS0_14default_configENS1_21merge_config_selectorINS0_5tupleIJddEEENS0_10empty_typeEEEZNS1_10merge_implIS3_NS0_12zip_iteratorINS5_IJN6thrust23THRUST_200600_302600_NS6detail15normal_iteratorINSC_10device_ptrIKdEEEESI_EEEEESK_NSA_INS5_IJNSC_16discard_iteratorINSC_11use_defaultEEESN_EEEEEPS7_SQ_SQ_NSC_11hip_rocprim7__merge17predicate_wrapperIddNSC_4lessIdEEEEEE10hipError_tPvRmT0_T1_T2_T3_T4_T5_mmT6_P12ihipStream_tbEUlT_E_NS1_11comp_targetILNS1_3genE10ELNS1_11target_archE1201ELNS1_3gpuE5ELNS1_3repE0EEENS1_30default_config_static_selectorELNS0_4arch9wavefront6targetE0EEEvS11_,@function
_ZN7rocprim17ROCPRIM_400000_NS6detail17trampoline_kernelINS0_14default_configENS1_21merge_config_selectorINS0_5tupleIJddEEENS0_10empty_typeEEEZNS1_10merge_implIS3_NS0_12zip_iteratorINS5_IJN6thrust23THRUST_200600_302600_NS6detail15normal_iteratorINSC_10device_ptrIKdEEEESI_EEEEESK_NSA_INS5_IJNSC_16discard_iteratorINSC_11use_defaultEEESN_EEEEEPS7_SQ_SQ_NSC_11hip_rocprim7__merge17predicate_wrapperIddNSC_4lessIdEEEEEE10hipError_tPvRmT0_T1_T2_T3_T4_T5_mmT6_P12ihipStream_tbEUlT_E_NS1_11comp_targetILNS1_3genE10ELNS1_11target_archE1201ELNS1_3gpuE5ELNS1_3repE0EEENS1_30default_config_static_selectorELNS0_4arch9wavefront6targetE0EEEvS11_: ; @_ZN7rocprim17ROCPRIM_400000_NS6detail17trampoline_kernelINS0_14default_configENS1_21merge_config_selectorINS0_5tupleIJddEEENS0_10empty_typeEEEZNS1_10merge_implIS3_NS0_12zip_iteratorINS5_IJN6thrust23THRUST_200600_302600_NS6detail15normal_iteratorINSC_10device_ptrIKdEEEESI_EEEEESK_NSA_INS5_IJNSC_16discard_iteratorINSC_11use_defaultEEESN_EEEEEPS7_SQ_SQ_NSC_11hip_rocprim7__merge17predicate_wrapperIddNSC_4lessIdEEEEEE10hipError_tPvRmT0_T1_T2_T3_T4_T5_mmT6_P12ihipStream_tbEUlT_E_NS1_11comp_targetILNS1_3genE10ELNS1_11target_archE1201ELNS1_3gpuE5ELNS1_3repE0EEENS1_30default_config_static_selectorELNS0_4arch9wavefront6targetE0EEEvS11_
; %bb.0:
	.section	.rodata,"a",@progbits
	.p2align	6, 0x0
	.amdhsa_kernel _ZN7rocprim17ROCPRIM_400000_NS6detail17trampoline_kernelINS0_14default_configENS1_21merge_config_selectorINS0_5tupleIJddEEENS0_10empty_typeEEEZNS1_10merge_implIS3_NS0_12zip_iteratorINS5_IJN6thrust23THRUST_200600_302600_NS6detail15normal_iteratorINSC_10device_ptrIKdEEEESI_EEEEESK_NSA_INS5_IJNSC_16discard_iteratorINSC_11use_defaultEEESN_EEEEEPS7_SQ_SQ_NSC_11hip_rocprim7__merge17predicate_wrapperIddNSC_4lessIdEEEEEE10hipError_tPvRmT0_T1_T2_T3_T4_T5_mmT6_P12ihipStream_tbEUlT_E_NS1_11comp_targetILNS1_3genE10ELNS1_11target_archE1201ELNS1_3gpuE5ELNS1_3repE0EEENS1_30default_config_static_selectorELNS0_4arch9wavefront6targetE0EEEvS11_
		.amdhsa_group_segment_fixed_size 0
		.amdhsa_private_segment_fixed_size 0
		.amdhsa_kernarg_size 64
		.amdhsa_user_sgpr_count 2
		.amdhsa_user_sgpr_dispatch_ptr 0
		.amdhsa_user_sgpr_queue_ptr 0
		.amdhsa_user_sgpr_kernarg_segment_ptr 1
		.amdhsa_user_sgpr_dispatch_id 0
		.amdhsa_user_sgpr_kernarg_preload_length 0
		.amdhsa_user_sgpr_kernarg_preload_offset 0
		.amdhsa_user_sgpr_private_segment_size 0
		.amdhsa_wavefront_size32 1
		.amdhsa_uses_dynamic_stack 0
		.amdhsa_enable_private_segment 0
		.amdhsa_system_sgpr_workgroup_id_x 1
		.amdhsa_system_sgpr_workgroup_id_y 0
		.amdhsa_system_sgpr_workgroup_id_z 0
		.amdhsa_system_sgpr_workgroup_info 0
		.amdhsa_system_vgpr_workitem_id 0
		.amdhsa_next_free_vgpr 1
		.amdhsa_next_free_sgpr 1
		.amdhsa_named_barrier_count 0
		.amdhsa_reserve_vcc 0
		.amdhsa_float_round_mode_32 0
		.amdhsa_float_round_mode_16_64 0
		.amdhsa_float_denorm_mode_32 3
		.amdhsa_float_denorm_mode_16_64 3
		.amdhsa_fp16_overflow 0
		.amdhsa_memory_ordered 1
		.amdhsa_forward_progress 1
		.amdhsa_inst_pref_size 0
		.amdhsa_round_robin_scheduling 0
		.amdhsa_exception_fp_ieee_invalid_op 0
		.amdhsa_exception_fp_denorm_src 0
		.amdhsa_exception_fp_ieee_div_zero 0
		.amdhsa_exception_fp_ieee_overflow 0
		.amdhsa_exception_fp_ieee_underflow 0
		.amdhsa_exception_fp_ieee_inexact 0
		.amdhsa_exception_int_div_zero 0
	.end_amdhsa_kernel
	.section	.text._ZN7rocprim17ROCPRIM_400000_NS6detail17trampoline_kernelINS0_14default_configENS1_21merge_config_selectorINS0_5tupleIJddEEENS0_10empty_typeEEEZNS1_10merge_implIS3_NS0_12zip_iteratorINS5_IJN6thrust23THRUST_200600_302600_NS6detail15normal_iteratorINSC_10device_ptrIKdEEEESI_EEEEESK_NSA_INS5_IJNSC_16discard_iteratorINSC_11use_defaultEEESN_EEEEEPS7_SQ_SQ_NSC_11hip_rocprim7__merge17predicate_wrapperIddNSC_4lessIdEEEEEE10hipError_tPvRmT0_T1_T2_T3_T4_T5_mmT6_P12ihipStream_tbEUlT_E_NS1_11comp_targetILNS1_3genE10ELNS1_11target_archE1201ELNS1_3gpuE5ELNS1_3repE0EEENS1_30default_config_static_selectorELNS0_4arch9wavefront6targetE0EEEvS11_,"axG",@progbits,_ZN7rocprim17ROCPRIM_400000_NS6detail17trampoline_kernelINS0_14default_configENS1_21merge_config_selectorINS0_5tupleIJddEEENS0_10empty_typeEEEZNS1_10merge_implIS3_NS0_12zip_iteratorINS5_IJN6thrust23THRUST_200600_302600_NS6detail15normal_iteratorINSC_10device_ptrIKdEEEESI_EEEEESK_NSA_INS5_IJNSC_16discard_iteratorINSC_11use_defaultEEESN_EEEEEPS7_SQ_SQ_NSC_11hip_rocprim7__merge17predicate_wrapperIddNSC_4lessIdEEEEEE10hipError_tPvRmT0_T1_T2_T3_T4_T5_mmT6_P12ihipStream_tbEUlT_E_NS1_11comp_targetILNS1_3genE10ELNS1_11target_archE1201ELNS1_3gpuE5ELNS1_3repE0EEENS1_30default_config_static_selectorELNS0_4arch9wavefront6targetE0EEEvS11_,comdat
.Lfunc_end484:
	.size	_ZN7rocprim17ROCPRIM_400000_NS6detail17trampoline_kernelINS0_14default_configENS1_21merge_config_selectorINS0_5tupleIJddEEENS0_10empty_typeEEEZNS1_10merge_implIS3_NS0_12zip_iteratorINS5_IJN6thrust23THRUST_200600_302600_NS6detail15normal_iteratorINSC_10device_ptrIKdEEEESI_EEEEESK_NSA_INS5_IJNSC_16discard_iteratorINSC_11use_defaultEEESN_EEEEEPS7_SQ_SQ_NSC_11hip_rocprim7__merge17predicate_wrapperIddNSC_4lessIdEEEEEE10hipError_tPvRmT0_T1_T2_T3_T4_T5_mmT6_P12ihipStream_tbEUlT_E_NS1_11comp_targetILNS1_3genE10ELNS1_11target_archE1201ELNS1_3gpuE5ELNS1_3repE0EEENS1_30default_config_static_selectorELNS0_4arch9wavefront6targetE0EEEvS11_, .Lfunc_end484-_ZN7rocprim17ROCPRIM_400000_NS6detail17trampoline_kernelINS0_14default_configENS1_21merge_config_selectorINS0_5tupleIJddEEENS0_10empty_typeEEEZNS1_10merge_implIS3_NS0_12zip_iteratorINS5_IJN6thrust23THRUST_200600_302600_NS6detail15normal_iteratorINSC_10device_ptrIKdEEEESI_EEEEESK_NSA_INS5_IJNSC_16discard_iteratorINSC_11use_defaultEEESN_EEEEEPS7_SQ_SQ_NSC_11hip_rocprim7__merge17predicate_wrapperIddNSC_4lessIdEEEEEE10hipError_tPvRmT0_T1_T2_T3_T4_T5_mmT6_P12ihipStream_tbEUlT_E_NS1_11comp_targetILNS1_3genE10ELNS1_11target_archE1201ELNS1_3gpuE5ELNS1_3repE0EEENS1_30default_config_static_selectorELNS0_4arch9wavefront6targetE0EEEvS11_
                                        ; -- End function
	.set _ZN7rocprim17ROCPRIM_400000_NS6detail17trampoline_kernelINS0_14default_configENS1_21merge_config_selectorINS0_5tupleIJddEEENS0_10empty_typeEEEZNS1_10merge_implIS3_NS0_12zip_iteratorINS5_IJN6thrust23THRUST_200600_302600_NS6detail15normal_iteratorINSC_10device_ptrIKdEEEESI_EEEEESK_NSA_INS5_IJNSC_16discard_iteratorINSC_11use_defaultEEESN_EEEEEPS7_SQ_SQ_NSC_11hip_rocprim7__merge17predicate_wrapperIddNSC_4lessIdEEEEEE10hipError_tPvRmT0_T1_T2_T3_T4_T5_mmT6_P12ihipStream_tbEUlT_E_NS1_11comp_targetILNS1_3genE10ELNS1_11target_archE1201ELNS1_3gpuE5ELNS1_3repE0EEENS1_30default_config_static_selectorELNS0_4arch9wavefront6targetE0EEEvS11_.num_vgpr, 0
	.set _ZN7rocprim17ROCPRIM_400000_NS6detail17trampoline_kernelINS0_14default_configENS1_21merge_config_selectorINS0_5tupleIJddEEENS0_10empty_typeEEEZNS1_10merge_implIS3_NS0_12zip_iteratorINS5_IJN6thrust23THRUST_200600_302600_NS6detail15normal_iteratorINSC_10device_ptrIKdEEEESI_EEEEESK_NSA_INS5_IJNSC_16discard_iteratorINSC_11use_defaultEEESN_EEEEEPS7_SQ_SQ_NSC_11hip_rocprim7__merge17predicate_wrapperIddNSC_4lessIdEEEEEE10hipError_tPvRmT0_T1_T2_T3_T4_T5_mmT6_P12ihipStream_tbEUlT_E_NS1_11comp_targetILNS1_3genE10ELNS1_11target_archE1201ELNS1_3gpuE5ELNS1_3repE0EEENS1_30default_config_static_selectorELNS0_4arch9wavefront6targetE0EEEvS11_.num_agpr, 0
	.set _ZN7rocprim17ROCPRIM_400000_NS6detail17trampoline_kernelINS0_14default_configENS1_21merge_config_selectorINS0_5tupleIJddEEENS0_10empty_typeEEEZNS1_10merge_implIS3_NS0_12zip_iteratorINS5_IJN6thrust23THRUST_200600_302600_NS6detail15normal_iteratorINSC_10device_ptrIKdEEEESI_EEEEESK_NSA_INS5_IJNSC_16discard_iteratorINSC_11use_defaultEEESN_EEEEEPS7_SQ_SQ_NSC_11hip_rocprim7__merge17predicate_wrapperIddNSC_4lessIdEEEEEE10hipError_tPvRmT0_T1_T2_T3_T4_T5_mmT6_P12ihipStream_tbEUlT_E_NS1_11comp_targetILNS1_3genE10ELNS1_11target_archE1201ELNS1_3gpuE5ELNS1_3repE0EEENS1_30default_config_static_selectorELNS0_4arch9wavefront6targetE0EEEvS11_.numbered_sgpr, 0
	.set _ZN7rocprim17ROCPRIM_400000_NS6detail17trampoline_kernelINS0_14default_configENS1_21merge_config_selectorINS0_5tupleIJddEEENS0_10empty_typeEEEZNS1_10merge_implIS3_NS0_12zip_iteratorINS5_IJN6thrust23THRUST_200600_302600_NS6detail15normal_iteratorINSC_10device_ptrIKdEEEESI_EEEEESK_NSA_INS5_IJNSC_16discard_iteratorINSC_11use_defaultEEESN_EEEEEPS7_SQ_SQ_NSC_11hip_rocprim7__merge17predicate_wrapperIddNSC_4lessIdEEEEEE10hipError_tPvRmT0_T1_T2_T3_T4_T5_mmT6_P12ihipStream_tbEUlT_E_NS1_11comp_targetILNS1_3genE10ELNS1_11target_archE1201ELNS1_3gpuE5ELNS1_3repE0EEENS1_30default_config_static_selectorELNS0_4arch9wavefront6targetE0EEEvS11_.num_named_barrier, 0
	.set _ZN7rocprim17ROCPRIM_400000_NS6detail17trampoline_kernelINS0_14default_configENS1_21merge_config_selectorINS0_5tupleIJddEEENS0_10empty_typeEEEZNS1_10merge_implIS3_NS0_12zip_iteratorINS5_IJN6thrust23THRUST_200600_302600_NS6detail15normal_iteratorINSC_10device_ptrIKdEEEESI_EEEEESK_NSA_INS5_IJNSC_16discard_iteratorINSC_11use_defaultEEESN_EEEEEPS7_SQ_SQ_NSC_11hip_rocprim7__merge17predicate_wrapperIddNSC_4lessIdEEEEEE10hipError_tPvRmT0_T1_T2_T3_T4_T5_mmT6_P12ihipStream_tbEUlT_E_NS1_11comp_targetILNS1_3genE10ELNS1_11target_archE1201ELNS1_3gpuE5ELNS1_3repE0EEENS1_30default_config_static_selectorELNS0_4arch9wavefront6targetE0EEEvS11_.private_seg_size, 0
	.set _ZN7rocprim17ROCPRIM_400000_NS6detail17trampoline_kernelINS0_14default_configENS1_21merge_config_selectorINS0_5tupleIJddEEENS0_10empty_typeEEEZNS1_10merge_implIS3_NS0_12zip_iteratorINS5_IJN6thrust23THRUST_200600_302600_NS6detail15normal_iteratorINSC_10device_ptrIKdEEEESI_EEEEESK_NSA_INS5_IJNSC_16discard_iteratorINSC_11use_defaultEEESN_EEEEEPS7_SQ_SQ_NSC_11hip_rocprim7__merge17predicate_wrapperIddNSC_4lessIdEEEEEE10hipError_tPvRmT0_T1_T2_T3_T4_T5_mmT6_P12ihipStream_tbEUlT_E_NS1_11comp_targetILNS1_3genE10ELNS1_11target_archE1201ELNS1_3gpuE5ELNS1_3repE0EEENS1_30default_config_static_selectorELNS0_4arch9wavefront6targetE0EEEvS11_.uses_vcc, 0
	.set _ZN7rocprim17ROCPRIM_400000_NS6detail17trampoline_kernelINS0_14default_configENS1_21merge_config_selectorINS0_5tupleIJddEEENS0_10empty_typeEEEZNS1_10merge_implIS3_NS0_12zip_iteratorINS5_IJN6thrust23THRUST_200600_302600_NS6detail15normal_iteratorINSC_10device_ptrIKdEEEESI_EEEEESK_NSA_INS5_IJNSC_16discard_iteratorINSC_11use_defaultEEESN_EEEEEPS7_SQ_SQ_NSC_11hip_rocprim7__merge17predicate_wrapperIddNSC_4lessIdEEEEEE10hipError_tPvRmT0_T1_T2_T3_T4_T5_mmT6_P12ihipStream_tbEUlT_E_NS1_11comp_targetILNS1_3genE10ELNS1_11target_archE1201ELNS1_3gpuE5ELNS1_3repE0EEENS1_30default_config_static_selectorELNS0_4arch9wavefront6targetE0EEEvS11_.uses_flat_scratch, 0
	.set _ZN7rocprim17ROCPRIM_400000_NS6detail17trampoline_kernelINS0_14default_configENS1_21merge_config_selectorINS0_5tupleIJddEEENS0_10empty_typeEEEZNS1_10merge_implIS3_NS0_12zip_iteratorINS5_IJN6thrust23THRUST_200600_302600_NS6detail15normal_iteratorINSC_10device_ptrIKdEEEESI_EEEEESK_NSA_INS5_IJNSC_16discard_iteratorINSC_11use_defaultEEESN_EEEEEPS7_SQ_SQ_NSC_11hip_rocprim7__merge17predicate_wrapperIddNSC_4lessIdEEEEEE10hipError_tPvRmT0_T1_T2_T3_T4_T5_mmT6_P12ihipStream_tbEUlT_E_NS1_11comp_targetILNS1_3genE10ELNS1_11target_archE1201ELNS1_3gpuE5ELNS1_3repE0EEENS1_30default_config_static_selectorELNS0_4arch9wavefront6targetE0EEEvS11_.has_dyn_sized_stack, 0
	.set _ZN7rocprim17ROCPRIM_400000_NS6detail17trampoline_kernelINS0_14default_configENS1_21merge_config_selectorINS0_5tupleIJddEEENS0_10empty_typeEEEZNS1_10merge_implIS3_NS0_12zip_iteratorINS5_IJN6thrust23THRUST_200600_302600_NS6detail15normal_iteratorINSC_10device_ptrIKdEEEESI_EEEEESK_NSA_INS5_IJNSC_16discard_iteratorINSC_11use_defaultEEESN_EEEEEPS7_SQ_SQ_NSC_11hip_rocprim7__merge17predicate_wrapperIddNSC_4lessIdEEEEEE10hipError_tPvRmT0_T1_T2_T3_T4_T5_mmT6_P12ihipStream_tbEUlT_E_NS1_11comp_targetILNS1_3genE10ELNS1_11target_archE1201ELNS1_3gpuE5ELNS1_3repE0EEENS1_30default_config_static_selectorELNS0_4arch9wavefront6targetE0EEEvS11_.has_recursion, 0
	.set _ZN7rocprim17ROCPRIM_400000_NS6detail17trampoline_kernelINS0_14default_configENS1_21merge_config_selectorINS0_5tupleIJddEEENS0_10empty_typeEEEZNS1_10merge_implIS3_NS0_12zip_iteratorINS5_IJN6thrust23THRUST_200600_302600_NS6detail15normal_iteratorINSC_10device_ptrIKdEEEESI_EEEEESK_NSA_INS5_IJNSC_16discard_iteratorINSC_11use_defaultEEESN_EEEEEPS7_SQ_SQ_NSC_11hip_rocprim7__merge17predicate_wrapperIddNSC_4lessIdEEEEEE10hipError_tPvRmT0_T1_T2_T3_T4_T5_mmT6_P12ihipStream_tbEUlT_E_NS1_11comp_targetILNS1_3genE10ELNS1_11target_archE1201ELNS1_3gpuE5ELNS1_3repE0EEENS1_30default_config_static_selectorELNS0_4arch9wavefront6targetE0EEEvS11_.has_indirect_call, 0
	.section	.AMDGPU.csdata,"",@progbits
; Kernel info:
; codeLenInByte = 0
; TotalNumSgprs: 0
; NumVgprs: 0
; ScratchSize: 0
; MemoryBound: 0
; FloatMode: 240
; IeeeMode: 1
; LDSByteSize: 0 bytes/workgroup (compile time only)
; SGPRBlocks: 0
; VGPRBlocks: 0
; NumSGPRsForWavesPerEU: 1
; NumVGPRsForWavesPerEU: 1
; NamedBarCnt: 0
; Occupancy: 16
; WaveLimiterHint : 0
; COMPUTE_PGM_RSRC2:SCRATCH_EN: 0
; COMPUTE_PGM_RSRC2:USER_SGPR: 2
; COMPUTE_PGM_RSRC2:TRAP_HANDLER: 0
; COMPUTE_PGM_RSRC2:TGID_X_EN: 1
; COMPUTE_PGM_RSRC2:TGID_Y_EN: 0
; COMPUTE_PGM_RSRC2:TGID_Z_EN: 0
; COMPUTE_PGM_RSRC2:TIDIG_COMP_CNT: 0
	.section	.text._ZN7rocprim17ROCPRIM_400000_NS6detail17trampoline_kernelINS0_14default_configENS1_21merge_config_selectorINS0_5tupleIJddEEENS0_10empty_typeEEEZNS1_10merge_implIS3_NS0_12zip_iteratorINS5_IJN6thrust23THRUST_200600_302600_NS6detail15normal_iteratorINSC_10device_ptrIKdEEEESI_EEEEESK_NSA_INS5_IJNSC_16discard_iteratorINSC_11use_defaultEEESN_EEEEEPS7_SQ_SQ_NSC_11hip_rocprim7__merge17predicate_wrapperIddNSC_4lessIdEEEEEE10hipError_tPvRmT0_T1_T2_T3_T4_T5_mmT6_P12ihipStream_tbEUlT_E_NS1_11comp_targetILNS1_3genE10ELNS1_11target_archE1200ELNS1_3gpuE4ELNS1_3repE0EEENS1_30default_config_static_selectorELNS0_4arch9wavefront6targetE0EEEvS11_,"axG",@progbits,_ZN7rocprim17ROCPRIM_400000_NS6detail17trampoline_kernelINS0_14default_configENS1_21merge_config_selectorINS0_5tupleIJddEEENS0_10empty_typeEEEZNS1_10merge_implIS3_NS0_12zip_iteratorINS5_IJN6thrust23THRUST_200600_302600_NS6detail15normal_iteratorINSC_10device_ptrIKdEEEESI_EEEEESK_NSA_INS5_IJNSC_16discard_iteratorINSC_11use_defaultEEESN_EEEEEPS7_SQ_SQ_NSC_11hip_rocprim7__merge17predicate_wrapperIddNSC_4lessIdEEEEEE10hipError_tPvRmT0_T1_T2_T3_T4_T5_mmT6_P12ihipStream_tbEUlT_E_NS1_11comp_targetILNS1_3genE10ELNS1_11target_archE1200ELNS1_3gpuE4ELNS1_3repE0EEENS1_30default_config_static_selectorELNS0_4arch9wavefront6targetE0EEEvS11_,comdat
	.protected	_ZN7rocprim17ROCPRIM_400000_NS6detail17trampoline_kernelINS0_14default_configENS1_21merge_config_selectorINS0_5tupleIJddEEENS0_10empty_typeEEEZNS1_10merge_implIS3_NS0_12zip_iteratorINS5_IJN6thrust23THRUST_200600_302600_NS6detail15normal_iteratorINSC_10device_ptrIKdEEEESI_EEEEESK_NSA_INS5_IJNSC_16discard_iteratorINSC_11use_defaultEEESN_EEEEEPS7_SQ_SQ_NSC_11hip_rocprim7__merge17predicate_wrapperIddNSC_4lessIdEEEEEE10hipError_tPvRmT0_T1_T2_T3_T4_T5_mmT6_P12ihipStream_tbEUlT_E_NS1_11comp_targetILNS1_3genE10ELNS1_11target_archE1200ELNS1_3gpuE4ELNS1_3repE0EEENS1_30default_config_static_selectorELNS0_4arch9wavefront6targetE0EEEvS11_ ; -- Begin function _ZN7rocprim17ROCPRIM_400000_NS6detail17trampoline_kernelINS0_14default_configENS1_21merge_config_selectorINS0_5tupleIJddEEENS0_10empty_typeEEEZNS1_10merge_implIS3_NS0_12zip_iteratorINS5_IJN6thrust23THRUST_200600_302600_NS6detail15normal_iteratorINSC_10device_ptrIKdEEEESI_EEEEESK_NSA_INS5_IJNSC_16discard_iteratorINSC_11use_defaultEEESN_EEEEEPS7_SQ_SQ_NSC_11hip_rocprim7__merge17predicate_wrapperIddNSC_4lessIdEEEEEE10hipError_tPvRmT0_T1_T2_T3_T4_T5_mmT6_P12ihipStream_tbEUlT_E_NS1_11comp_targetILNS1_3genE10ELNS1_11target_archE1200ELNS1_3gpuE4ELNS1_3repE0EEENS1_30default_config_static_selectorELNS0_4arch9wavefront6targetE0EEEvS11_
	.globl	_ZN7rocprim17ROCPRIM_400000_NS6detail17trampoline_kernelINS0_14default_configENS1_21merge_config_selectorINS0_5tupleIJddEEENS0_10empty_typeEEEZNS1_10merge_implIS3_NS0_12zip_iteratorINS5_IJN6thrust23THRUST_200600_302600_NS6detail15normal_iteratorINSC_10device_ptrIKdEEEESI_EEEEESK_NSA_INS5_IJNSC_16discard_iteratorINSC_11use_defaultEEESN_EEEEEPS7_SQ_SQ_NSC_11hip_rocprim7__merge17predicate_wrapperIddNSC_4lessIdEEEEEE10hipError_tPvRmT0_T1_T2_T3_T4_T5_mmT6_P12ihipStream_tbEUlT_E_NS1_11comp_targetILNS1_3genE10ELNS1_11target_archE1200ELNS1_3gpuE4ELNS1_3repE0EEENS1_30default_config_static_selectorELNS0_4arch9wavefront6targetE0EEEvS11_
	.p2align	8
	.type	_ZN7rocprim17ROCPRIM_400000_NS6detail17trampoline_kernelINS0_14default_configENS1_21merge_config_selectorINS0_5tupleIJddEEENS0_10empty_typeEEEZNS1_10merge_implIS3_NS0_12zip_iteratorINS5_IJN6thrust23THRUST_200600_302600_NS6detail15normal_iteratorINSC_10device_ptrIKdEEEESI_EEEEESK_NSA_INS5_IJNSC_16discard_iteratorINSC_11use_defaultEEESN_EEEEEPS7_SQ_SQ_NSC_11hip_rocprim7__merge17predicate_wrapperIddNSC_4lessIdEEEEEE10hipError_tPvRmT0_T1_T2_T3_T4_T5_mmT6_P12ihipStream_tbEUlT_E_NS1_11comp_targetILNS1_3genE10ELNS1_11target_archE1200ELNS1_3gpuE4ELNS1_3repE0EEENS1_30default_config_static_selectorELNS0_4arch9wavefront6targetE0EEEvS11_,@function
_ZN7rocprim17ROCPRIM_400000_NS6detail17trampoline_kernelINS0_14default_configENS1_21merge_config_selectorINS0_5tupleIJddEEENS0_10empty_typeEEEZNS1_10merge_implIS3_NS0_12zip_iteratorINS5_IJN6thrust23THRUST_200600_302600_NS6detail15normal_iteratorINSC_10device_ptrIKdEEEESI_EEEEESK_NSA_INS5_IJNSC_16discard_iteratorINSC_11use_defaultEEESN_EEEEEPS7_SQ_SQ_NSC_11hip_rocprim7__merge17predicate_wrapperIddNSC_4lessIdEEEEEE10hipError_tPvRmT0_T1_T2_T3_T4_T5_mmT6_P12ihipStream_tbEUlT_E_NS1_11comp_targetILNS1_3genE10ELNS1_11target_archE1200ELNS1_3gpuE4ELNS1_3repE0EEENS1_30default_config_static_selectorELNS0_4arch9wavefront6targetE0EEEvS11_: ; @_ZN7rocprim17ROCPRIM_400000_NS6detail17trampoline_kernelINS0_14default_configENS1_21merge_config_selectorINS0_5tupleIJddEEENS0_10empty_typeEEEZNS1_10merge_implIS3_NS0_12zip_iteratorINS5_IJN6thrust23THRUST_200600_302600_NS6detail15normal_iteratorINSC_10device_ptrIKdEEEESI_EEEEESK_NSA_INS5_IJNSC_16discard_iteratorINSC_11use_defaultEEESN_EEEEEPS7_SQ_SQ_NSC_11hip_rocprim7__merge17predicate_wrapperIddNSC_4lessIdEEEEEE10hipError_tPvRmT0_T1_T2_T3_T4_T5_mmT6_P12ihipStream_tbEUlT_E_NS1_11comp_targetILNS1_3genE10ELNS1_11target_archE1200ELNS1_3gpuE4ELNS1_3repE0EEENS1_30default_config_static_selectorELNS0_4arch9wavefront6targetE0EEEvS11_
; %bb.0:
	.section	.rodata,"a",@progbits
	.p2align	6, 0x0
	.amdhsa_kernel _ZN7rocprim17ROCPRIM_400000_NS6detail17trampoline_kernelINS0_14default_configENS1_21merge_config_selectorINS0_5tupleIJddEEENS0_10empty_typeEEEZNS1_10merge_implIS3_NS0_12zip_iteratorINS5_IJN6thrust23THRUST_200600_302600_NS6detail15normal_iteratorINSC_10device_ptrIKdEEEESI_EEEEESK_NSA_INS5_IJNSC_16discard_iteratorINSC_11use_defaultEEESN_EEEEEPS7_SQ_SQ_NSC_11hip_rocprim7__merge17predicate_wrapperIddNSC_4lessIdEEEEEE10hipError_tPvRmT0_T1_T2_T3_T4_T5_mmT6_P12ihipStream_tbEUlT_E_NS1_11comp_targetILNS1_3genE10ELNS1_11target_archE1200ELNS1_3gpuE4ELNS1_3repE0EEENS1_30default_config_static_selectorELNS0_4arch9wavefront6targetE0EEEvS11_
		.amdhsa_group_segment_fixed_size 0
		.amdhsa_private_segment_fixed_size 0
		.amdhsa_kernarg_size 64
		.amdhsa_user_sgpr_count 2
		.amdhsa_user_sgpr_dispatch_ptr 0
		.amdhsa_user_sgpr_queue_ptr 0
		.amdhsa_user_sgpr_kernarg_segment_ptr 1
		.amdhsa_user_sgpr_dispatch_id 0
		.amdhsa_user_sgpr_kernarg_preload_length 0
		.amdhsa_user_sgpr_kernarg_preload_offset 0
		.amdhsa_user_sgpr_private_segment_size 0
		.amdhsa_wavefront_size32 1
		.amdhsa_uses_dynamic_stack 0
		.amdhsa_enable_private_segment 0
		.amdhsa_system_sgpr_workgroup_id_x 1
		.amdhsa_system_sgpr_workgroup_id_y 0
		.amdhsa_system_sgpr_workgroup_id_z 0
		.amdhsa_system_sgpr_workgroup_info 0
		.amdhsa_system_vgpr_workitem_id 0
		.amdhsa_next_free_vgpr 1
		.amdhsa_next_free_sgpr 1
		.amdhsa_named_barrier_count 0
		.amdhsa_reserve_vcc 0
		.amdhsa_float_round_mode_32 0
		.amdhsa_float_round_mode_16_64 0
		.amdhsa_float_denorm_mode_32 3
		.amdhsa_float_denorm_mode_16_64 3
		.amdhsa_fp16_overflow 0
		.amdhsa_memory_ordered 1
		.amdhsa_forward_progress 1
		.amdhsa_inst_pref_size 0
		.amdhsa_round_robin_scheduling 0
		.amdhsa_exception_fp_ieee_invalid_op 0
		.amdhsa_exception_fp_denorm_src 0
		.amdhsa_exception_fp_ieee_div_zero 0
		.amdhsa_exception_fp_ieee_overflow 0
		.amdhsa_exception_fp_ieee_underflow 0
		.amdhsa_exception_fp_ieee_inexact 0
		.amdhsa_exception_int_div_zero 0
	.end_amdhsa_kernel
	.section	.text._ZN7rocprim17ROCPRIM_400000_NS6detail17trampoline_kernelINS0_14default_configENS1_21merge_config_selectorINS0_5tupleIJddEEENS0_10empty_typeEEEZNS1_10merge_implIS3_NS0_12zip_iteratorINS5_IJN6thrust23THRUST_200600_302600_NS6detail15normal_iteratorINSC_10device_ptrIKdEEEESI_EEEEESK_NSA_INS5_IJNSC_16discard_iteratorINSC_11use_defaultEEESN_EEEEEPS7_SQ_SQ_NSC_11hip_rocprim7__merge17predicate_wrapperIddNSC_4lessIdEEEEEE10hipError_tPvRmT0_T1_T2_T3_T4_T5_mmT6_P12ihipStream_tbEUlT_E_NS1_11comp_targetILNS1_3genE10ELNS1_11target_archE1200ELNS1_3gpuE4ELNS1_3repE0EEENS1_30default_config_static_selectorELNS0_4arch9wavefront6targetE0EEEvS11_,"axG",@progbits,_ZN7rocprim17ROCPRIM_400000_NS6detail17trampoline_kernelINS0_14default_configENS1_21merge_config_selectorINS0_5tupleIJddEEENS0_10empty_typeEEEZNS1_10merge_implIS3_NS0_12zip_iteratorINS5_IJN6thrust23THRUST_200600_302600_NS6detail15normal_iteratorINSC_10device_ptrIKdEEEESI_EEEEESK_NSA_INS5_IJNSC_16discard_iteratorINSC_11use_defaultEEESN_EEEEEPS7_SQ_SQ_NSC_11hip_rocprim7__merge17predicate_wrapperIddNSC_4lessIdEEEEEE10hipError_tPvRmT0_T1_T2_T3_T4_T5_mmT6_P12ihipStream_tbEUlT_E_NS1_11comp_targetILNS1_3genE10ELNS1_11target_archE1200ELNS1_3gpuE4ELNS1_3repE0EEENS1_30default_config_static_selectorELNS0_4arch9wavefront6targetE0EEEvS11_,comdat
.Lfunc_end485:
	.size	_ZN7rocprim17ROCPRIM_400000_NS6detail17trampoline_kernelINS0_14default_configENS1_21merge_config_selectorINS0_5tupleIJddEEENS0_10empty_typeEEEZNS1_10merge_implIS3_NS0_12zip_iteratorINS5_IJN6thrust23THRUST_200600_302600_NS6detail15normal_iteratorINSC_10device_ptrIKdEEEESI_EEEEESK_NSA_INS5_IJNSC_16discard_iteratorINSC_11use_defaultEEESN_EEEEEPS7_SQ_SQ_NSC_11hip_rocprim7__merge17predicate_wrapperIddNSC_4lessIdEEEEEE10hipError_tPvRmT0_T1_T2_T3_T4_T5_mmT6_P12ihipStream_tbEUlT_E_NS1_11comp_targetILNS1_3genE10ELNS1_11target_archE1200ELNS1_3gpuE4ELNS1_3repE0EEENS1_30default_config_static_selectorELNS0_4arch9wavefront6targetE0EEEvS11_, .Lfunc_end485-_ZN7rocprim17ROCPRIM_400000_NS6detail17trampoline_kernelINS0_14default_configENS1_21merge_config_selectorINS0_5tupleIJddEEENS0_10empty_typeEEEZNS1_10merge_implIS3_NS0_12zip_iteratorINS5_IJN6thrust23THRUST_200600_302600_NS6detail15normal_iteratorINSC_10device_ptrIKdEEEESI_EEEEESK_NSA_INS5_IJNSC_16discard_iteratorINSC_11use_defaultEEESN_EEEEEPS7_SQ_SQ_NSC_11hip_rocprim7__merge17predicate_wrapperIddNSC_4lessIdEEEEEE10hipError_tPvRmT0_T1_T2_T3_T4_T5_mmT6_P12ihipStream_tbEUlT_E_NS1_11comp_targetILNS1_3genE10ELNS1_11target_archE1200ELNS1_3gpuE4ELNS1_3repE0EEENS1_30default_config_static_selectorELNS0_4arch9wavefront6targetE0EEEvS11_
                                        ; -- End function
	.set _ZN7rocprim17ROCPRIM_400000_NS6detail17trampoline_kernelINS0_14default_configENS1_21merge_config_selectorINS0_5tupleIJddEEENS0_10empty_typeEEEZNS1_10merge_implIS3_NS0_12zip_iteratorINS5_IJN6thrust23THRUST_200600_302600_NS6detail15normal_iteratorINSC_10device_ptrIKdEEEESI_EEEEESK_NSA_INS5_IJNSC_16discard_iteratorINSC_11use_defaultEEESN_EEEEEPS7_SQ_SQ_NSC_11hip_rocprim7__merge17predicate_wrapperIddNSC_4lessIdEEEEEE10hipError_tPvRmT0_T1_T2_T3_T4_T5_mmT6_P12ihipStream_tbEUlT_E_NS1_11comp_targetILNS1_3genE10ELNS1_11target_archE1200ELNS1_3gpuE4ELNS1_3repE0EEENS1_30default_config_static_selectorELNS0_4arch9wavefront6targetE0EEEvS11_.num_vgpr, 0
	.set _ZN7rocprim17ROCPRIM_400000_NS6detail17trampoline_kernelINS0_14default_configENS1_21merge_config_selectorINS0_5tupleIJddEEENS0_10empty_typeEEEZNS1_10merge_implIS3_NS0_12zip_iteratorINS5_IJN6thrust23THRUST_200600_302600_NS6detail15normal_iteratorINSC_10device_ptrIKdEEEESI_EEEEESK_NSA_INS5_IJNSC_16discard_iteratorINSC_11use_defaultEEESN_EEEEEPS7_SQ_SQ_NSC_11hip_rocprim7__merge17predicate_wrapperIddNSC_4lessIdEEEEEE10hipError_tPvRmT0_T1_T2_T3_T4_T5_mmT6_P12ihipStream_tbEUlT_E_NS1_11comp_targetILNS1_3genE10ELNS1_11target_archE1200ELNS1_3gpuE4ELNS1_3repE0EEENS1_30default_config_static_selectorELNS0_4arch9wavefront6targetE0EEEvS11_.num_agpr, 0
	.set _ZN7rocprim17ROCPRIM_400000_NS6detail17trampoline_kernelINS0_14default_configENS1_21merge_config_selectorINS0_5tupleIJddEEENS0_10empty_typeEEEZNS1_10merge_implIS3_NS0_12zip_iteratorINS5_IJN6thrust23THRUST_200600_302600_NS6detail15normal_iteratorINSC_10device_ptrIKdEEEESI_EEEEESK_NSA_INS5_IJNSC_16discard_iteratorINSC_11use_defaultEEESN_EEEEEPS7_SQ_SQ_NSC_11hip_rocprim7__merge17predicate_wrapperIddNSC_4lessIdEEEEEE10hipError_tPvRmT0_T1_T2_T3_T4_T5_mmT6_P12ihipStream_tbEUlT_E_NS1_11comp_targetILNS1_3genE10ELNS1_11target_archE1200ELNS1_3gpuE4ELNS1_3repE0EEENS1_30default_config_static_selectorELNS0_4arch9wavefront6targetE0EEEvS11_.numbered_sgpr, 0
	.set _ZN7rocprim17ROCPRIM_400000_NS6detail17trampoline_kernelINS0_14default_configENS1_21merge_config_selectorINS0_5tupleIJddEEENS0_10empty_typeEEEZNS1_10merge_implIS3_NS0_12zip_iteratorINS5_IJN6thrust23THRUST_200600_302600_NS6detail15normal_iteratorINSC_10device_ptrIKdEEEESI_EEEEESK_NSA_INS5_IJNSC_16discard_iteratorINSC_11use_defaultEEESN_EEEEEPS7_SQ_SQ_NSC_11hip_rocprim7__merge17predicate_wrapperIddNSC_4lessIdEEEEEE10hipError_tPvRmT0_T1_T2_T3_T4_T5_mmT6_P12ihipStream_tbEUlT_E_NS1_11comp_targetILNS1_3genE10ELNS1_11target_archE1200ELNS1_3gpuE4ELNS1_3repE0EEENS1_30default_config_static_selectorELNS0_4arch9wavefront6targetE0EEEvS11_.num_named_barrier, 0
	.set _ZN7rocprim17ROCPRIM_400000_NS6detail17trampoline_kernelINS0_14default_configENS1_21merge_config_selectorINS0_5tupleIJddEEENS0_10empty_typeEEEZNS1_10merge_implIS3_NS0_12zip_iteratorINS5_IJN6thrust23THRUST_200600_302600_NS6detail15normal_iteratorINSC_10device_ptrIKdEEEESI_EEEEESK_NSA_INS5_IJNSC_16discard_iteratorINSC_11use_defaultEEESN_EEEEEPS7_SQ_SQ_NSC_11hip_rocprim7__merge17predicate_wrapperIddNSC_4lessIdEEEEEE10hipError_tPvRmT0_T1_T2_T3_T4_T5_mmT6_P12ihipStream_tbEUlT_E_NS1_11comp_targetILNS1_3genE10ELNS1_11target_archE1200ELNS1_3gpuE4ELNS1_3repE0EEENS1_30default_config_static_selectorELNS0_4arch9wavefront6targetE0EEEvS11_.private_seg_size, 0
	.set _ZN7rocprim17ROCPRIM_400000_NS6detail17trampoline_kernelINS0_14default_configENS1_21merge_config_selectorINS0_5tupleIJddEEENS0_10empty_typeEEEZNS1_10merge_implIS3_NS0_12zip_iteratorINS5_IJN6thrust23THRUST_200600_302600_NS6detail15normal_iteratorINSC_10device_ptrIKdEEEESI_EEEEESK_NSA_INS5_IJNSC_16discard_iteratorINSC_11use_defaultEEESN_EEEEEPS7_SQ_SQ_NSC_11hip_rocprim7__merge17predicate_wrapperIddNSC_4lessIdEEEEEE10hipError_tPvRmT0_T1_T2_T3_T4_T5_mmT6_P12ihipStream_tbEUlT_E_NS1_11comp_targetILNS1_3genE10ELNS1_11target_archE1200ELNS1_3gpuE4ELNS1_3repE0EEENS1_30default_config_static_selectorELNS0_4arch9wavefront6targetE0EEEvS11_.uses_vcc, 0
	.set _ZN7rocprim17ROCPRIM_400000_NS6detail17trampoline_kernelINS0_14default_configENS1_21merge_config_selectorINS0_5tupleIJddEEENS0_10empty_typeEEEZNS1_10merge_implIS3_NS0_12zip_iteratorINS5_IJN6thrust23THRUST_200600_302600_NS6detail15normal_iteratorINSC_10device_ptrIKdEEEESI_EEEEESK_NSA_INS5_IJNSC_16discard_iteratorINSC_11use_defaultEEESN_EEEEEPS7_SQ_SQ_NSC_11hip_rocprim7__merge17predicate_wrapperIddNSC_4lessIdEEEEEE10hipError_tPvRmT0_T1_T2_T3_T4_T5_mmT6_P12ihipStream_tbEUlT_E_NS1_11comp_targetILNS1_3genE10ELNS1_11target_archE1200ELNS1_3gpuE4ELNS1_3repE0EEENS1_30default_config_static_selectorELNS0_4arch9wavefront6targetE0EEEvS11_.uses_flat_scratch, 0
	.set _ZN7rocprim17ROCPRIM_400000_NS6detail17trampoline_kernelINS0_14default_configENS1_21merge_config_selectorINS0_5tupleIJddEEENS0_10empty_typeEEEZNS1_10merge_implIS3_NS0_12zip_iteratorINS5_IJN6thrust23THRUST_200600_302600_NS6detail15normal_iteratorINSC_10device_ptrIKdEEEESI_EEEEESK_NSA_INS5_IJNSC_16discard_iteratorINSC_11use_defaultEEESN_EEEEEPS7_SQ_SQ_NSC_11hip_rocprim7__merge17predicate_wrapperIddNSC_4lessIdEEEEEE10hipError_tPvRmT0_T1_T2_T3_T4_T5_mmT6_P12ihipStream_tbEUlT_E_NS1_11comp_targetILNS1_3genE10ELNS1_11target_archE1200ELNS1_3gpuE4ELNS1_3repE0EEENS1_30default_config_static_selectorELNS0_4arch9wavefront6targetE0EEEvS11_.has_dyn_sized_stack, 0
	.set _ZN7rocprim17ROCPRIM_400000_NS6detail17trampoline_kernelINS0_14default_configENS1_21merge_config_selectorINS0_5tupleIJddEEENS0_10empty_typeEEEZNS1_10merge_implIS3_NS0_12zip_iteratorINS5_IJN6thrust23THRUST_200600_302600_NS6detail15normal_iteratorINSC_10device_ptrIKdEEEESI_EEEEESK_NSA_INS5_IJNSC_16discard_iteratorINSC_11use_defaultEEESN_EEEEEPS7_SQ_SQ_NSC_11hip_rocprim7__merge17predicate_wrapperIddNSC_4lessIdEEEEEE10hipError_tPvRmT0_T1_T2_T3_T4_T5_mmT6_P12ihipStream_tbEUlT_E_NS1_11comp_targetILNS1_3genE10ELNS1_11target_archE1200ELNS1_3gpuE4ELNS1_3repE0EEENS1_30default_config_static_selectorELNS0_4arch9wavefront6targetE0EEEvS11_.has_recursion, 0
	.set _ZN7rocprim17ROCPRIM_400000_NS6detail17trampoline_kernelINS0_14default_configENS1_21merge_config_selectorINS0_5tupleIJddEEENS0_10empty_typeEEEZNS1_10merge_implIS3_NS0_12zip_iteratorINS5_IJN6thrust23THRUST_200600_302600_NS6detail15normal_iteratorINSC_10device_ptrIKdEEEESI_EEEEESK_NSA_INS5_IJNSC_16discard_iteratorINSC_11use_defaultEEESN_EEEEEPS7_SQ_SQ_NSC_11hip_rocprim7__merge17predicate_wrapperIddNSC_4lessIdEEEEEE10hipError_tPvRmT0_T1_T2_T3_T4_T5_mmT6_P12ihipStream_tbEUlT_E_NS1_11comp_targetILNS1_3genE10ELNS1_11target_archE1200ELNS1_3gpuE4ELNS1_3repE0EEENS1_30default_config_static_selectorELNS0_4arch9wavefront6targetE0EEEvS11_.has_indirect_call, 0
	.section	.AMDGPU.csdata,"",@progbits
; Kernel info:
; codeLenInByte = 0
; TotalNumSgprs: 0
; NumVgprs: 0
; ScratchSize: 0
; MemoryBound: 0
; FloatMode: 240
; IeeeMode: 1
; LDSByteSize: 0 bytes/workgroup (compile time only)
; SGPRBlocks: 0
; VGPRBlocks: 0
; NumSGPRsForWavesPerEU: 1
; NumVGPRsForWavesPerEU: 1
; NamedBarCnt: 0
; Occupancy: 16
; WaveLimiterHint : 0
; COMPUTE_PGM_RSRC2:SCRATCH_EN: 0
; COMPUTE_PGM_RSRC2:USER_SGPR: 2
; COMPUTE_PGM_RSRC2:TRAP_HANDLER: 0
; COMPUTE_PGM_RSRC2:TGID_X_EN: 1
; COMPUTE_PGM_RSRC2:TGID_Y_EN: 0
; COMPUTE_PGM_RSRC2:TGID_Z_EN: 0
; COMPUTE_PGM_RSRC2:TIDIG_COMP_CNT: 0
	.section	.text._ZN7rocprim17ROCPRIM_400000_NS6detail17trampoline_kernelINS0_14default_configENS1_21merge_config_selectorINS0_5tupleIJddEEENS0_10empty_typeEEEZNS1_10merge_implIS3_NS0_12zip_iteratorINS5_IJN6thrust23THRUST_200600_302600_NS6detail15normal_iteratorINSC_10device_ptrIKdEEEESI_EEEEESK_NSA_INS5_IJNSC_16discard_iteratorINSC_11use_defaultEEESN_EEEEEPS7_SQ_SQ_NSC_11hip_rocprim7__merge17predicate_wrapperIddNSC_4lessIdEEEEEE10hipError_tPvRmT0_T1_T2_T3_T4_T5_mmT6_P12ihipStream_tbEUlT_E_NS1_11comp_targetILNS1_3genE9ELNS1_11target_archE1100ELNS1_3gpuE3ELNS1_3repE0EEENS1_30default_config_static_selectorELNS0_4arch9wavefront6targetE0EEEvS11_,"axG",@progbits,_ZN7rocprim17ROCPRIM_400000_NS6detail17trampoline_kernelINS0_14default_configENS1_21merge_config_selectorINS0_5tupleIJddEEENS0_10empty_typeEEEZNS1_10merge_implIS3_NS0_12zip_iteratorINS5_IJN6thrust23THRUST_200600_302600_NS6detail15normal_iteratorINSC_10device_ptrIKdEEEESI_EEEEESK_NSA_INS5_IJNSC_16discard_iteratorINSC_11use_defaultEEESN_EEEEEPS7_SQ_SQ_NSC_11hip_rocprim7__merge17predicate_wrapperIddNSC_4lessIdEEEEEE10hipError_tPvRmT0_T1_T2_T3_T4_T5_mmT6_P12ihipStream_tbEUlT_E_NS1_11comp_targetILNS1_3genE9ELNS1_11target_archE1100ELNS1_3gpuE3ELNS1_3repE0EEENS1_30default_config_static_selectorELNS0_4arch9wavefront6targetE0EEEvS11_,comdat
	.protected	_ZN7rocprim17ROCPRIM_400000_NS6detail17trampoline_kernelINS0_14default_configENS1_21merge_config_selectorINS0_5tupleIJddEEENS0_10empty_typeEEEZNS1_10merge_implIS3_NS0_12zip_iteratorINS5_IJN6thrust23THRUST_200600_302600_NS6detail15normal_iteratorINSC_10device_ptrIKdEEEESI_EEEEESK_NSA_INS5_IJNSC_16discard_iteratorINSC_11use_defaultEEESN_EEEEEPS7_SQ_SQ_NSC_11hip_rocprim7__merge17predicate_wrapperIddNSC_4lessIdEEEEEE10hipError_tPvRmT0_T1_T2_T3_T4_T5_mmT6_P12ihipStream_tbEUlT_E_NS1_11comp_targetILNS1_3genE9ELNS1_11target_archE1100ELNS1_3gpuE3ELNS1_3repE0EEENS1_30default_config_static_selectorELNS0_4arch9wavefront6targetE0EEEvS11_ ; -- Begin function _ZN7rocprim17ROCPRIM_400000_NS6detail17trampoline_kernelINS0_14default_configENS1_21merge_config_selectorINS0_5tupleIJddEEENS0_10empty_typeEEEZNS1_10merge_implIS3_NS0_12zip_iteratorINS5_IJN6thrust23THRUST_200600_302600_NS6detail15normal_iteratorINSC_10device_ptrIKdEEEESI_EEEEESK_NSA_INS5_IJNSC_16discard_iteratorINSC_11use_defaultEEESN_EEEEEPS7_SQ_SQ_NSC_11hip_rocprim7__merge17predicate_wrapperIddNSC_4lessIdEEEEEE10hipError_tPvRmT0_T1_T2_T3_T4_T5_mmT6_P12ihipStream_tbEUlT_E_NS1_11comp_targetILNS1_3genE9ELNS1_11target_archE1100ELNS1_3gpuE3ELNS1_3repE0EEENS1_30default_config_static_selectorELNS0_4arch9wavefront6targetE0EEEvS11_
	.globl	_ZN7rocprim17ROCPRIM_400000_NS6detail17trampoline_kernelINS0_14default_configENS1_21merge_config_selectorINS0_5tupleIJddEEENS0_10empty_typeEEEZNS1_10merge_implIS3_NS0_12zip_iteratorINS5_IJN6thrust23THRUST_200600_302600_NS6detail15normal_iteratorINSC_10device_ptrIKdEEEESI_EEEEESK_NSA_INS5_IJNSC_16discard_iteratorINSC_11use_defaultEEESN_EEEEEPS7_SQ_SQ_NSC_11hip_rocprim7__merge17predicate_wrapperIddNSC_4lessIdEEEEEE10hipError_tPvRmT0_T1_T2_T3_T4_T5_mmT6_P12ihipStream_tbEUlT_E_NS1_11comp_targetILNS1_3genE9ELNS1_11target_archE1100ELNS1_3gpuE3ELNS1_3repE0EEENS1_30default_config_static_selectorELNS0_4arch9wavefront6targetE0EEEvS11_
	.p2align	8
	.type	_ZN7rocprim17ROCPRIM_400000_NS6detail17trampoline_kernelINS0_14default_configENS1_21merge_config_selectorINS0_5tupleIJddEEENS0_10empty_typeEEEZNS1_10merge_implIS3_NS0_12zip_iteratorINS5_IJN6thrust23THRUST_200600_302600_NS6detail15normal_iteratorINSC_10device_ptrIKdEEEESI_EEEEESK_NSA_INS5_IJNSC_16discard_iteratorINSC_11use_defaultEEESN_EEEEEPS7_SQ_SQ_NSC_11hip_rocprim7__merge17predicate_wrapperIddNSC_4lessIdEEEEEE10hipError_tPvRmT0_T1_T2_T3_T4_T5_mmT6_P12ihipStream_tbEUlT_E_NS1_11comp_targetILNS1_3genE9ELNS1_11target_archE1100ELNS1_3gpuE3ELNS1_3repE0EEENS1_30default_config_static_selectorELNS0_4arch9wavefront6targetE0EEEvS11_,@function
_ZN7rocprim17ROCPRIM_400000_NS6detail17trampoline_kernelINS0_14default_configENS1_21merge_config_selectorINS0_5tupleIJddEEENS0_10empty_typeEEEZNS1_10merge_implIS3_NS0_12zip_iteratorINS5_IJN6thrust23THRUST_200600_302600_NS6detail15normal_iteratorINSC_10device_ptrIKdEEEESI_EEEEESK_NSA_INS5_IJNSC_16discard_iteratorINSC_11use_defaultEEESN_EEEEEPS7_SQ_SQ_NSC_11hip_rocprim7__merge17predicate_wrapperIddNSC_4lessIdEEEEEE10hipError_tPvRmT0_T1_T2_T3_T4_T5_mmT6_P12ihipStream_tbEUlT_E_NS1_11comp_targetILNS1_3genE9ELNS1_11target_archE1100ELNS1_3gpuE3ELNS1_3repE0EEENS1_30default_config_static_selectorELNS0_4arch9wavefront6targetE0EEEvS11_: ; @_ZN7rocprim17ROCPRIM_400000_NS6detail17trampoline_kernelINS0_14default_configENS1_21merge_config_selectorINS0_5tupleIJddEEENS0_10empty_typeEEEZNS1_10merge_implIS3_NS0_12zip_iteratorINS5_IJN6thrust23THRUST_200600_302600_NS6detail15normal_iteratorINSC_10device_ptrIKdEEEESI_EEEEESK_NSA_INS5_IJNSC_16discard_iteratorINSC_11use_defaultEEESN_EEEEEPS7_SQ_SQ_NSC_11hip_rocprim7__merge17predicate_wrapperIddNSC_4lessIdEEEEEE10hipError_tPvRmT0_T1_T2_T3_T4_T5_mmT6_P12ihipStream_tbEUlT_E_NS1_11comp_targetILNS1_3genE9ELNS1_11target_archE1100ELNS1_3gpuE3ELNS1_3repE0EEENS1_30default_config_static_selectorELNS0_4arch9wavefront6targetE0EEEvS11_
; %bb.0:
	.section	.rodata,"a",@progbits
	.p2align	6, 0x0
	.amdhsa_kernel _ZN7rocprim17ROCPRIM_400000_NS6detail17trampoline_kernelINS0_14default_configENS1_21merge_config_selectorINS0_5tupleIJddEEENS0_10empty_typeEEEZNS1_10merge_implIS3_NS0_12zip_iteratorINS5_IJN6thrust23THRUST_200600_302600_NS6detail15normal_iteratorINSC_10device_ptrIKdEEEESI_EEEEESK_NSA_INS5_IJNSC_16discard_iteratorINSC_11use_defaultEEESN_EEEEEPS7_SQ_SQ_NSC_11hip_rocprim7__merge17predicate_wrapperIddNSC_4lessIdEEEEEE10hipError_tPvRmT0_T1_T2_T3_T4_T5_mmT6_P12ihipStream_tbEUlT_E_NS1_11comp_targetILNS1_3genE9ELNS1_11target_archE1100ELNS1_3gpuE3ELNS1_3repE0EEENS1_30default_config_static_selectorELNS0_4arch9wavefront6targetE0EEEvS11_
		.amdhsa_group_segment_fixed_size 0
		.amdhsa_private_segment_fixed_size 0
		.amdhsa_kernarg_size 64
		.amdhsa_user_sgpr_count 2
		.amdhsa_user_sgpr_dispatch_ptr 0
		.amdhsa_user_sgpr_queue_ptr 0
		.amdhsa_user_sgpr_kernarg_segment_ptr 1
		.amdhsa_user_sgpr_dispatch_id 0
		.amdhsa_user_sgpr_kernarg_preload_length 0
		.amdhsa_user_sgpr_kernarg_preload_offset 0
		.amdhsa_user_sgpr_private_segment_size 0
		.amdhsa_wavefront_size32 1
		.amdhsa_uses_dynamic_stack 0
		.amdhsa_enable_private_segment 0
		.amdhsa_system_sgpr_workgroup_id_x 1
		.amdhsa_system_sgpr_workgroup_id_y 0
		.amdhsa_system_sgpr_workgroup_id_z 0
		.amdhsa_system_sgpr_workgroup_info 0
		.amdhsa_system_vgpr_workitem_id 0
		.amdhsa_next_free_vgpr 1
		.amdhsa_next_free_sgpr 1
		.amdhsa_named_barrier_count 0
		.amdhsa_reserve_vcc 0
		.amdhsa_float_round_mode_32 0
		.amdhsa_float_round_mode_16_64 0
		.amdhsa_float_denorm_mode_32 3
		.amdhsa_float_denorm_mode_16_64 3
		.amdhsa_fp16_overflow 0
		.amdhsa_memory_ordered 1
		.amdhsa_forward_progress 1
		.amdhsa_inst_pref_size 0
		.amdhsa_round_robin_scheduling 0
		.amdhsa_exception_fp_ieee_invalid_op 0
		.amdhsa_exception_fp_denorm_src 0
		.amdhsa_exception_fp_ieee_div_zero 0
		.amdhsa_exception_fp_ieee_overflow 0
		.amdhsa_exception_fp_ieee_underflow 0
		.amdhsa_exception_fp_ieee_inexact 0
		.amdhsa_exception_int_div_zero 0
	.end_amdhsa_kernel
	.section	.text._ZN7rocprim17ROCPRIM_400000_NS6detail17trampoline_kernelINS0_14default_configENS1_21merge_config_selectorINS0_5tupleIJddEEENS0_10empty_typeEEEZNS1_10merge_implIS3_NS0_12zip_iteratorINS5_IJN6thrust23THRUST_200600_302600_NS6detail15normal_iteratorINSC_10device_ptrIKdEEEESI_EEEEESK_NSA_INS5_IJNSC_16discard_iteratorINSC_11use_defaultEEESN_EEEEEPS7_SQ_SQ_NSC_11hip_rocprim7__merge17predicate_wrapperIddNSC_4lessIdEEEEEE10hipError_tPvRmT0_T1_T2_T3_T4_T5_mmT6_P12ihipStream_tbEUlT_E_NS1_11comp_targetILNS1_3genE9ELNS1_11target_archE1100ELNS1_3gpuE3ELNS1_3repE0EEENS1_30default_config_static_selectorELNS0_4arch9wavefront6targetE0EEEvS11_,"axG",@progbits,_ZN7rocprim17ROCPRIM_400000_NS6detail17trampoline_kernelINS0_14default_configENS1_21merge_config_selectorINS0_5tupleIJddEEENS0_10empty_typeEEEZNS1_10merge_implIS3_NS0_12zip_iteratorINS5_IJN6thrust23THRUST_200600_302600_NS6detail15normal_iteratorINSC_10device_ptrIKdEEEESI_EEEEESK_NSA_INS5_IJNSC_16discard_iteratorINSC_11use_defaultEEESN_EEEEEPS7_SQ_SQ_NSC_11hip_rocprim7__merge17predicate_wrapperIddNSC_4lessIdEEEEEE10hipError_tPvRmT0_T1_T2_T3_T4_T5_mmT6_P12ihipStream_tbEUlT_E_NS1_11comp_targetILNS1_3genE9ELNS1_11target_archE1100ELNS1_3gpuE3ELNS1_3repE0EEENS1_30default_config_static_selectorELNS0_4arch9wavefront6targetE0EEEvS11_,comdat
.Lfunc_end486:
	.size	_ZN7rocprim17ROCPRIM_400000_NS6detail17trampoline_kernelINS0_14default_configENS1_21merge_config_selectorINS0_5tupleIJddEEENS0_10empty_typeEEEZNS1_10merge_implIS3_NS0_12zip_iteratorINS5_IJN6thrust23THRUST_200600_302600_NS6detail15normal_iteratorINSC_10device_ptrIKdEEEESI_EEEEESK_NSA_INS5_IJNSC_16discard_iteratorINSC_11use_defaultEEESN_EEEEEPS7_SQ_SQ_NSC_11hip_rocprim7__merge17predicate_wrapperIddNSC_4lessIdEEEEEE10hipError_tPvRmT0_T1_T2_T3_T4_T5_mmT6_P12ihipStream_tbEUlT_E_NS1_11comp_targetILNS1_3genE9ELNS1_11target_archE1100ELNS1_3gpuE3ELNS1_3repE0EEENS1_30default_config_static_selectorELNS0_4arch9wavefront6targetE0EEEvS11_, .Lfunc_end486-_ZN7rocprim17ROCPRIM_400000_NS6detail17trampoline_kernelINS0_14default_configENS1_21merge_config_selectorINS0_5tupleIJddEEENS0_10empty_typeEEEZNS1_10merge_implIS3_NS0_12zip_iteratorINS5_IJN6thrust23THRUST_200600_302600_NS6detail15normal_iteratorINSC_10device_ptrIKdEEEESI_EEEEESK_NSA_INS5_IJNSC_16discard_iteratorINSC_11use_defaultEEESN_EEEEEPS7_SQ_SQ_NSC_11hip_rocprim7__merge17predicate_wrapperIddNSC_4lessIdEEEEEE10hipError_tPvRmT0_T1_T2_T3_T4_T5_mmT6_P12ihipStream_tbEUlT_E_NS1_11comp_targetILNS1_3genE9ELNS1_11target_archE1100ELNS1_3gpuE3ELNS1_3repE0EEENS1_30default_config_static_selectorELNS0_4arch9wavefront6targetE0EEEvS11_
                                        ; -- End function
	.set _ZN7rocprim17ROCPRIM_400000_NS6detail17trampoline_kernelINS0_14default_configENS1_21merge_config_selectorINS0_5tupleIJddEEENS0_10empty_typeEEEZNS1_10merge_implIS3_NS0_12zip_iteratorINS5_IJN6thrust23THRUST_200600_302600_NS6detail15normal_iteratorINSC_10device_ptrIKdEEEESI_EEEEESK_NSA_INS5_IJNSC_16discard_iteratorINSC_11use_defaultEEESN_EEEEEPS7_SQ_SQ_NSC_11hip_rocprim7__merge17predicate_wrapperIddNSC_4lessIdEEEEEE10hipError_tPvRmT0_T1_T2_T3_T4_T5_mmT6_P12ihipStream_tbEUlT_E_NS1_11comp_targetILNS1_3genE9ELNS1_11target_archE1100ELNS1_3gpuE3ELNS1_3repE0EEENS1_30default_config_static_selectorELNS0_4arch9wavefront6targetE0EEEvS11_.num_vgpr, 0
	.set _ZN7rocprim17ROCPRIM_400000_NS6detail17trampoline_kernelINS0_14default_configENS1_21merge_config_selectorINS0_5tupleIJddEEENS0_10empty_typeEEEZNS1_10merge_implIS3_NS0_12zip_iteratorINS5_IJN6thrust23THRUST_200600_302600_NS6detail15normal_iteratorINSC_10device_ptrIKdEEEESI_EEEEESK_NSA_INS5_IJNSC_16discard_iteratorINSC_11use_defaultEEESN_EEEEEPS7_SQ_SQ_NSC_11hip_rocprim7__merge17predicate_wrapperIddNSC_4lessIdEEEEEE10hipError_tPvRmT0_T1_T2_T3_T4_T5_mmT6_P12ihipStream_tbEUlT_E_NS1_11comp_targetILNS1_3genE9ELNS1_11target_archE1100ELNS1_3gpuE3ELNS1_3repE0EEENS1_30default_config_static_selectorELNS0_4arch9wavefront6targetE0EEEvS11_.num_agpr, 0
	.set _ZN7rocprim17ROCPRIM_400000_NS6detail17trampoline_kernelINS0_14default_configENS1_21merge_config_selectorINS0_5tupleIJddEEENS0_10empty_typeEEEZNS1_10merge_implIS3_NS0_12zip_iteratorINS5_IJN6thrust23THRUST_200600_302600_NS6detail15normal_iteratorINSC_10device_ptrIKdEEEESI_EEEEESK_NSA_INS5_IJNSC_16discard_iteratorINSC_11use_defaultEEESN_EEEEEPS7_SQ_SQ_NSC_11hip_rocprim7__merge17predicate_wrapperIddNSC_4lessIdEEEEEE10hipError_tPvRmT0_T1_T2_T3_T4_T5_mmT6_P12ihipStream_tbEUlT_E_NS1_11comp_targetILNS1_3genE9ELNS1_11target_archE1100ELNS1_3gpuE3ELNS1_3repE0EEENS1_30default_config_static_selectorELNS0_4arch9wavefront6targetE0EEEvS11_.numbered_sgpr, 0
	.set _ZN7rocprim17ROCPRIM_400000_NS6detail17trampoline_kernelINS0_14default_configENS1_21merge_config_selectorINS0_5tupleIJddEEENS0_10empty_typeEEEZNS1_10merge_implIS3_NS0_12zip_iteratorINS5_IJN6thrust23THRUST_200600_302600_NS6detail15normal_iteratorINSC_10device_ptrIKdEEEESI_EEEEESK_NSA_INS5_IJNSC_16discard_iteratorINSC_11use_defaultEEESN_EEEEEPS7_SQ_SQ_NSC_11hip_rocprim7__merge17predicate_wrapperIddNSC_4lessIdEEEEEE10hipError_tPvRmT0_T1_T2_T3_T4_T5_mmT6_P12ihipStream_tbEUlT_E_NS1_11comp_targetILNS1_3genE9ELNS1_11target_archE1100ELNS1_3gpuE3ELNS1_3repE0EEENS1_30default_config_static_selectorELNS0_4arch9wavefront6targetE0EEEvS11_.num_named_barrier, 0
	.set _ZN7rocprim17ROCPRIM_400000_NS6detail17trampoline_kernelINS0_14default_configENS1_21merge_config_selectorINS0_5tupleIJddEEENS0_10empty_typeEEEZNS1_10merge_implIS3_NS0_12zip_iteratorINS5_IJN6thrust23THRUST_200600_302600_NS6detail15normal_iteratorINSC_10device_ptrIKdEEEESI_EEEEESK_NSA_INS5_IJNSC_16discard_iteratorINSC_11use_defaultEEESN_EEEEEPS7_SQ_SQ_NSC_11hip_rocprim7__merge17predicate_wrapperIddNSC_4lessIdEEEEEE10hipError_tPvRmT0_T1_T2_T3_T4_T5_mmT6_P12ihipStream_tbEUlT_E_NS1_11comp_targetILNS1_3genE9ELNS1_11target_archE1100ELNS1_3gpuE3ELNS1_3repE0EEENS1_30default_config_static_selectorELNS0_4arch9wavefront6targetE0EEEvS11_.private_seg_size, 0
	.set _ZN7rocprim17ROCPRIM_400000_NS6detail17trampoline_kernelINS0_14default_configENS1_21merge_config_selectorINS0_5tupleIJddEEENS0_10empty_typeEEEZNS1_10merge_implIS3_NS0_12zip_iteratorINS5_IJN6thrust23THRUST_200600_302600_NS6detail15normal_iteratorINSC_10device_ptrIKdEEEESI_EEEEESK_NSA_INS5_IJNSC_16discard_iteratorINSC_11use_defaultEEESN_EEEEEPS7_SQ_SQ_NSC_11hip_rocprim7__merge17predicate_wrapperIddNSC_4lessIdEEEEEE10hipError_tPvRmT0_T1_T2_T3_T4_T5_mmT6_P12ihipStream_tbEUlT_E_NS1_11comp_targetILNS1_3genE9ELNS1_11target_archE1100ELNS1_3gpuE3ELNS1_3repE0EEENS1_30default_config_static_selectorELNS0_4arch9wavefront6targetE0EEEvS11_.uses_vcc, 0
	.set _ZN7rocprim17ROCPRIM_400000_NS6detail17trampoline_kernelINS0_14default_configENS1_21merge_config_selectorINS0_5tupleIJddEEENS0_10empty_typeEEEZNS1_10merge_implIS3_NS0_12zip_iteratorINS5_IJN6thrust23THRUST_200600_302600_NS6detail15normal_iteratorINSC_10device_ptrIKdEEEESI_EEEEESK_NSA_INS5_IJNSC_16discard_iteratorINSC_11use_defaultEEESN_EEEEEPS7_SQ_SQ_NSC_11hip_rocprim7__merge17predicate_wrapperIddNSC_4lessIdEEEEEE10hipError_tPvRmT0_T1_T2_T3_T4_T5_mmT6_P12ihipStream_tbEUlT_E_NS1_11comp_targetILNS1_3genE9ELNS1_11target_archE1100ELNS1_3gpuE3ELNS1_3repE0EEENS1_30default_config_static_selectorELNS0_4arch9wavefront6targetE0EEEvS11_.uses_flat_scratch, 0
	.set _ZN7rocprim17ROCPRIM_400000_NS6detail17trampoline_kernelINS0_14default_configENS1_21merge_config_selectorINS0_5tupleIJddEEENS0_10empty_typeEEEZNS1_10merge_implIS3_NS0_12zip_iteratorINS5_IJN6thrust23THRUST_200600_302600_NS6detail15normal_iteratorINSC_10device_ptrIKdEEEESI_EEEEESK_NSA_INS5_IJNSC_16discard_iteratorINSC_11use_defaultEEESN_EEEEEPS7_SQ_SQ_NSC_11hip_rocprim7__merge17predicate_wrapperIddNSC_4lessIdEEEEEE10hipError_tPvRmT0_T1_T2_T3_T4_T5_mmT6_P12ihipStream_tbEUlT_E_NS1_11comp_targetILNS1_3genE9ELNS1_11target_archE1100ELNS1_3gpuE3ELNS1_3repE0EEENS1_30default_config_static_selectorELNS0_4arch9wavefront6targetE0EEEvS11_.has_dyn_sized_stack, 0
	.set _ZN7rocprim17ROCPRIM_400000_NS6detail17trampoline_kernelINS0_14default_configENS1_21merge_config_selectorINS0_5tupleIJddEEENS0_10empty_typeEEEZNS1_10merge_implIS3_NS0_12zip_iteratorINS5_IJN6thrust23THRUST_200600_302600_NS6detail15normal_iteratorINSC_10device_ptrIKdEEEESI_EEEEESK_NSA_INS5_IJNSC_16discard_iteratorINSC_11use_defaultEEESN_EEEEEPS7_SQ_SQ_NSC_11hip_rocprim7__merge17predicate_wrapperIddNSC_4lessIdEEEEEE10hipError_tPvRmT0_T1_T2_T3_T4_T5_mmT6_P12ihipStream_tbEUlT_E_NS1_11comp_targetILNS1_3genE9ELNS1_11target_archE1100ELNS1_3gpuE3ELNS1_3repE0EEENS1_30default_config_static_selectorELNS0_4arch9wavefront6targetE0EEEvS11_.has_recursion, 0
	.set _ZN7rocprim17ROCPRIM_400000_NS6detail17trampoline_kernelINS0_14default_configENS1_21merge_config_selectorINS0_5tupleIJddEEENS0_10empty_typeEEEZNS1_10merge_implIS3_NS0_12zip_iteratorINS5_IJN6thrust23THRUST_200600_302600_NS6detail15normal_iteratorINSC_10device_ptrIKdEEEESI_EEEEESK_NSA_INS5_IJNSC_16discard_iteratorINSC_11use_defaultEEESN_EEEEEPS7_SQ_SQ_NSC_11hip_rocprim7__merge17predicate_wrapperIddNSC_4lessIdEEEEEE10hipError_tPvRmT0_T1_T2_T3_T4_T5_mmT6_P12ihipStream_tbEUlT_E_NS1_11comp_targetILNS1_3genE9ELNS1_11target_archE1100ELNS1_3gpuE3ELNS1_3repE0EEENS1_30default_config_static_selectorELNS0_4arch9wavefront6targetE0EEEvS11_.has_indirect_call, 0
	.section	.AMDGPU.csdata,"",@progbits
; Kernel info:
; codeLenInByte = 0
; TotalNumSgprs: 0
; NumVgprs: 0
; ScratchSize: 0
; MemoryBound: 0
; FloatMode: 240
; IeeeMode: 1
; LDSByteSize: 0 bytes/workgroup (compile time only)
; SGPRBlocks: 0
; VGPRBlocks: 0
; NumSGPRsForWavesPerEU: 1
; NumVGPRsForWavesPerEU: 1
; NamedBarCnt: 0
; Occupancy: 16
; WaveLimiterHint : 0
; COMPUTE_PGM_RSRC2:SCRATCH_EN: 0
; COMPUTE_PGM_RSRC2:USER_SGPR: 2
; COMPUTE_PGM_RSRC2:TRAP_HANDLER: 0
; COMPUTE_PGM_RSRC2:TGID_X_EN: 1
; COMPUTE_PGM_RSRC2:TGID_Y_EN: 0
; COMPUTE_PGM_RSRC2:TGID_Z_EN: 0
; COMPUTE_PGM_RSRC2:TIDIG_COMP_CNT: 0
	.section	.text._ZN7rocprim17ROCPRIM_400000_NS6detail17trampoline_kernelINS0_14default_configENS1_21merge_config_selectorINS0_5tupleIJddEEENS0_10empty_typeEEEZNS1_10merge_implIS3_NS0_12zip_iteratorINS5_IJN6thrust23THRUST_200600_302600_NS6detail15normal_iteratorINSC_10device_ptrIKdEEEESI_EEEEESK_NSA_INS5_IJNSC_16discard_iteratorINSC_11use_defaultEEESN_EEEEEPS7_SQ_SQ_NSC_11hip_rocprim7__merge17predicate_wrapperIddNSC_4lessIdEEEEEE10hipError_tPvRmT0_T1_T2_T3_T4_T5_mmT6_P12ihipStream_tbEUlT_E_NS1_11comp_targetILNS1_3genE8ELNS1_11target_archE1030ELNS1_3gpuE2ELNS1_3repE0EEENS1_30default_config_static_selectorELNS0_4arch9wavefront6targetE0EEEvS11_,"axG",@progbits,_ZN7rocprim17ROCPRIM_400000_NS6detail17trampoline_kernelINS0_14default_configENS1_21merge_config_selectorINS0_5tupleIJddEEENS0_10empty_typeEEEZNS1_10merge_implIS3_NS0_12zip_iteratorINS5_IJN6thrust23THRUST_200600_302600_NS6detail15normal_iteratorINSC_10device_ptrIKdEEEESI_EEEEESK_NSA_INS5_IJNSC_16discard_iteratorINSC_11use_defaultEEESN_EEEEEPS7_SQ_SQ_NSC_11hip_rocprim7__merge17predicate_wrapperIddNSC_4lessIdEEEEEE10hipError_tPvRmT0_T1_T2_T3_T4_T5_mmT6_P12ihipStream_tbEUlT_E_NS1_11comp_targetILNS1_3genE8ELNS1_11target_archE1030ELNS1_3gpuE2ELNS1_3repE0EEENS1_30default_config_static_selectorELNS0_4arch9wavefront6targetE0EEEvS11_,comdat
	.protected	_ZN7rocprim17ROCPRIM_400000_NS6detail17trampoline_kernelINS0_14default_configENS1_21merge_config_selectorINS0_5tupleIJddEEENS0_10empty_typeEEEZNS1_10merge_implIS3_NS0_12zip_iteratorINS5_IJN6thrust23THRUST_200600_302600_NS6detail15normal_iteratorINSC_10device_ptrIKdEEEESI_EEEEESK_NSA_INS5_IJNSC_16discard_iteratorINSC_11use_defaultEEESN_EEEEEPS7_SQ_SQ_NSC_11hip_rocprim7__merge17predicate_wrapperIddNSC_4lessIdEEEEEE10hipError_tPvRmT0_T1_T2_T3_T4_T5_mmT6_P12ihipStream_tbEUlT_E_NS1_11comp_targetILNS1_3genE8ELNS1_11target_archE1030ELNS1_3gpuE2ELNS1_3repE0EEENS1_30default_config_static_selectorELNS0_4arch9wavefront6targetE0EEEvS11_ ; -- Begin function _ZN7rocprim17ROCPRIM_400000_NS6detail17trampoline_kernelINS0_14default_configENS1_21merge_config_selectorINS0_5tupleIJddEEENS0_10empty_typeEEEZNS1_10merge_implIS3_NS0_12zip_iteratorINS5_IJN6thrust23THRUST_200600_302600_NS6detail15normal_iteratorINSC_10device_ptrIKdEEEESI_EEEEESK_NSA_INS5_IJNSC_16discard_iteratorINSC_11use_defaultEEESN_EEEEEPS7_SQ_SQ_NSC_11hip_rocprim7__merge17predicate_wrapperIddNSC_4lessIdEEEEEE10hipError_tPvRmT0_T1_T2_T3_T4_T5_mmT6_P12ihipStream_tbEUlT_E_NS1_11comp_targetILNS1_3genE8ELNS1_11target_archE1030ELNS1_3gpuE2ELNS1_3repE0EEENS1_30default_config_static_selectorELNS0_4arch9wavefront6targetE0EEEvS11_
	.globl	_ZN7rocprim17ROCPRIM_400000_NS6detail17trampoline_kernelINS0_14default_configENS1_21merge_config_selectorINS0_5tupleIJddEEENS0_10empty_typeEEEZNS1_10merge_implIS3_NS0_12zip_iteratorINS5_IJN6thrust23THRUST_200600_302600_NS6detail15normal_iteratorINSC_10device_ptrIKdEEEESI_EEEEESK_NSA_INS5_IJNSC_16discard_iteratorINSC_11use_defaultEEESN_EEEEEPS7_SQ_SQ_NSC_11hip_rocprim7__merge17predicate_wrapperIddNSC_4lessIdEEEEEE10hipError_tPvRmT0_T1_T2_T3_T4_T5_mmT6_P12ihipStream_tbEUlT_E_NS1_11comp_targetILNS1_3genE8ELNS1_11target_archE1030ELNS1_3gpuE2ELNS1_3repE0EEENS1_30default_config_static_selectorELNS0_4arch9wavefront6targetE0EEEvS11_
	.p2align	8
	.type	_ZN7rocprim17ROCPRIM_400000_NS6detail17trampoline_kernelINS0_14default_configENS1_21merge_config_selectorINS0_5tupleIJddEEENS0_10empty_typeEEEZNS1_10merge_implIS3_NS0_12zip_iteratorINS5_IJN6thrust23THRUST_200600_302600_NS6detail15normal_iteratorINSC_10device_ptrIKdEEEESI_EEEEESK_NSA_INS5_IJNSC_16discard_iteratorINSC_11use_defaultEEESN_EEEEEPS7_SQ_SQ_NSC_11hip_rocprim7__merge17predicate_wrapperIddNSC_4lessIdEEEEEE10hipError_tPvRmT0_T1_T2_T3_T4_T5_mmT6_P12ihipStream_tbEUlT_E_NS1_11comp_targetILNS1_3genE8ELNS1_11target_archE1030ELNS1_3gpuE2ELNS1_3repE0EEENS1_30default_config_static_selectorELNS0_4arch9wavefront6targetE0EEEvS11_,@function
_ZN7rocprim17ROCPRIM_400000_NS6detail17trampoline_kernelINS0_14default_configENS1_21merge_config_selectorINS0_5tupleIJddEEENS0_10empty_typeEEEZNS1_10merge_implIS3_NS0_12zip_iteratorINS5_IJN6thrust23THRUST_200600_302600_NS6detail15normal_iteratorINSC_10device_ptrIKdEEEESI_EEEEESK_NSA_INS5_IJNSC_16discard_iteratorINSC_11use_defaultEEESN_EEEEEPS7_SQ_SQ_NSC_11hip_rocprim7__merge17predicate_wrapperIddNSC_4lessIdEEEEEE10hipError_tPvRmT0_T1_T2_T3_T4_T5_mmT6_P12ihipStream_tbEUlT_E_NS1_11comp_targetILNS1_3genE8ELNS1_11target_archE1030ELNS1_3gpuE2ELNS1_3repE0EEENS1_30default_config_static_selectorELNS0_4arch9wavefront6targetE0EEEvS11_: ; @_ZN7rocprim17ROCPRIM_400000_NS6detail17trampoline_kernelINS0_14default_configENS1_21merge_config_selectorINS0_5tupleIJddEEENS0_10empty_typeEEEZNS1_10merge_implIS3_NS0_12zip_iteratorINS5_IJN6thrust23THRUST_200600_302600_NS6detail15normal_iteratorINSC_10device_ptrIKdEEEESI_EEEEESK_NSA_INS5_IJNSC_16discard_iteratorINSC_11use_defaultEEESN_EEEEEPS7_SQ_SQ_NSC_11hip_rocprim7__merge17predicate_wrapperIddNSC_4lessIdEEEEEE10hipError_tPvRmT0_T1_T2_T3_T4_T5_mmT6_P12ihipStream_tbEUlT_E_NS1_11comp_targetILNS1_3genE8ELNS1_11target_archE1030ELNS1_3gpuE2ELNS1_3repE0EEENS1_30default_config_static_selectorELNS0_4arch9wavefront6targetE0EEEvS11_
; %bb.0:
	.section	.rodata,"a",@progbits
	.p2align	6, 0x0
	.amdhsa_kernel _ZN7rocprim17ROCPRIM_400000_NS6detail17trampoline_kernelINS0_14default_configENS1_21merge_config_selectorINS0_5tupleIJddEEENS0_10empty_typeEEEZNS1_10merge_implIS3_NS0_12zip_iteratorINS5_IJN6thrust23THRUST_200600_302600_NS6detail15normal_iteratorINSC_10device_ptrIKdEEEESI_EEEEESK_NSA_INS5_IJNSC_16discard_iteratorINSC_11use_defaultEEESN_EEEEEPS7_SQ_SQ_NSC_11hip_rocprim7__merge17predicate_wrapperIddNSC_4lessIdEEEEEE10hipError_tPvRmT0_T1_T2_T3_T4_T5_mmT6_P12ihipStream_tbEUlT_E_NS1_11comp_targetILNS1_3genE8ELNS1_11target_archE1030ELNS1_3gpuE2ELNS1_3repE0EEENS1_30default_config_static_selectorELNS0_4arch9wavefront6targetE0EEEvS11_
		.amdhsa_group_segment_fixed_size 0
		.amdhsa_private_segment_fixed_size 0
		.amdhsa_kernarg_size 64
		.amdhsa_user_sgpr_count 2
		.amdhsa_user_sgpr_dispatch_ptr 0
		.amdhsa_user_sgpr_queue_ptr 0
		.amdhsa_user_sgpr_kernarg_segment_ptr 1
		.amdhsa_user_sgpr_dispatch_id 0
		.amdhsa_user_sgpr_kernarg_preload_length 0
		.amdhsa_user_sgpr_kernarg_preload_offset 0
		.amdhsa_user_sgpr_private_segment_size 0
		.amdhsa_wavefront_size32 1
		.amdhsa_uses_dynamic_stack 0
		.amdhsa_enable_private_segment 0
		.amdhsa_system_sgpr_workgroup_id_x 1
		.amdhsa_system_sgpr_workgroup_id_y 0
		.amdhsa_system_sgpr_workgroup_id_z 0
		.amdhsa_system_sgpr_workgroup_info 0
		.amdhsa_system_vgpr_workitem_id 0
		.amdhsa_next_free_vgpr 1
		.amdhsa_next_free_sgpr 1
		.amdhsa_named_barrier_count 0
		.amdhsa_reserve_vcc 0
		.amdhsa_float_round_mode_32 0
		.amdhsa_float_round_mode_16_64 0
		.amdhsa_float_denorm_mode_32 3
		.amdhsa_float_denorm_mode_16_64 3
		.amdhsa_fp16_overflow 0
		.amdhsa_memory_ordered 1
		.amdhsa_forward_progress 1
		.amdhsa_inst_pref_size 0
		.amdhsa_round_robin_scheduling 0
		.amdhsa_exception_fp_ieee_invalid_op 0
		.amdhsa_exception_fp_denorm_src 0
		.amdhsa_exception_fp_ieee_div_zero 0
		.amdhsa_exception_fp_ieee_overflow 0
		.amdhsa_exception_fp_ieee_underflow 0
		.amdhsa_exception_fp_ieee_inexact 0
		.amdhsa_exception_int_div_zero 0
	.end_amdhsa_kernel
	.section	.text._ZN7rocprim17ROCPRIM_400000_NS6detail17trampoline_kernelINS0_14default_configENS1_21merge_config_selectorINS0_5tupleIJddEEENS0_10empty_typeEEEZNS1_10merge_implIS3_NS0_12zip_iteratorINS5_IJN6thrust23THRUST_200600_302600_NS6detail15normal_iteratorINSC_10device_ptrIKdEEEESI_EEEEESK_NSA_INS5_IJNSC_16discard_iteratorINSC_11use_defaultEEESN_EEEEEPS7_SQ_SQ_NSC_11hip_rocprim7__merge17predicate_wrapperIddNSC_4lessIdEEEEEE10hipError_tPvRmT0_T1_T2_T3_T4_T5_mmT6_P12ihipStream_tbEUlT_E_NS1_11comp_targetILNS1_3genE8ELNS1_11target_archE1030ELNS1_3gpuE2ELNS1_3repE0EEENS1_30default_config_static_selectorELNS0_4arch9wavefront6targetE0EEEvS11_,"axG",@progbits,_ZN7rocprim17ROCPRIM_400000_NS6detail17trampoline_kernelINS0_14default_configENS1_21merge_config_selectorINS0_5tupleIJddEEENS0_10empty_typeEEEZNS1_10merge_implIS3_NS0_12zip_iteratorINS5_IJN6thrust23THRUST_200600_302600_NS6detail15normal_iteratorINSC_10device_ptrIKdEEEESI_EEEEESK_NSA_INS5_IJNSC_16discard_iteratorINSC_11use_defaultEEESN_EEEEEPS7_SQ_SQ_NSC_11hip_rocprim7__merge17predicate_wrapperIddNSC_4lessIdEEEEEE10hipError_tPvRmT0_T1_T2_T3_T4_T5_mmT6_P12ihipStream_tbEUlT_E_NS1_11comp_targetILNS1_3genE8ELNS1_11target_archE1030ELNS1_3gpuE2ELNS1_3repE0EEENS1_30default_config_static_selectorELNS0_4arch9wavefront6targetE0EEEvS11_,comdat
.Lfunc_end487:
	.size	_ZN7rocprim17ROCPRIM_400000_NS6detail17trampoline_kernelINS0_14default_configENS1_21merge_config_selectorINS0_5tupleIJddEEENS0_10empty_typeEEEZNS1_10merge_implIS3_NS0_12zip_iteratorINS5_IJN6thrust23THRUST_200600_302600_NS6detail15normal_iteratorINSC_10device_ptrIKdEEEESI_EEEEESK_NSA_INS5_IJNSC_16discard_iteratorINSC_11use_defaultEEESN_EEEEEPS7_SQ_SQ_NSC_11hip_rocprim7__merge17predicate_wrapperIddNSC_4lessIdEEEEEE10hipError_tPvRmT0_T1_T2_T3_T4_T5_mmT6_P12ihipStream_tbEUlT_E_NS1_11comp_targetILNS1_3genE8ELNS1_11target_archE1030ELNS1_3gpuE2ELNS1_3repE0EEENS1_30default_config_static_selectorELNS0_4arch9wavefront6targetE0EEEvS11_, .Lfunc_end487-_ZN7rocprim17ROCPRIM_400000_NS6detail17trampoline_kernelINS0_14default_configENS1_21merge_config_selectorINS0_5tupleIJddEEENS0_10empty_typeEEEZNS1_10merge_implIS3_NS0_12zip_iteratorINS5_IJN6thrust23THRUST_200600_302600_NS6detail15normal_iteratorINSC_10device_ptrIKdEEEESI_EEEEESK_NSA_INS5_IJNSC_16discard_iteratorINSC_11use_defaultEEESN_EEEEEPS7_SQ_SQ_NSC_11hip_rocprim7__merge17predicate_wrapperIddNSC_4lessIdEEEEEE10hipError_tPvRmT0_T1_T2_T3_T4_T5_mmT6_P12ihipStream_tbEUlT_E_NS1_11comp_targetILNS1_3genE8ELNS1_11target_archE1030ELNS1_3gpuE2ELNS1_3repE0EEENS1_30default_config_static_selectorELNS0_4arch9wavefront6targetE0EEEvS11_
                                        ; -- End function
	.set _ZN7rocprim17ROCPRIM_400000_NS6detail17trampoline_kernelINS0_14default_configENS1_21merge_config_selectorINS0_5tupleIJddEEENS0_10empty_typeEEEZNS1_10merge_implIS3_NS0_12zip_iteratorINS5_IJN6thrust23THRUST_200600_302600_NS6detail15normal_iteratorINSC_10device_ptrIKdEEEESI_EEEEESK_NSA_INS5_IJNSC_16discard_iteratorINSC_11use_defaultEEESN_EEEEEPS7_SQ_SQ_NSC_11hip_rocprim7__merge17predicate_wrapperIddNSC_4lessIdEEEEEE10hipError_tPvRmT0_T1_T2_T3_T4_T5_mmT6_P12ihipStream_tbEUlT_E_NS1_11comp_targetILNS1_3genE8ELNS1_11target_archE1030ELNS1_3gpuE2ELNS1_3repE0EEENS1_30default_config_static_selectorELNS0_4arch9wavefront6targetE0EEEvS11_.num_vgpr, 0
	.set _ZN7rocprim17ROCPRIM_400000_NS6detail17trampoline_kernelINS0_14default_configENS1_21merge_config_selectorINS0_5tupleIJddEEENS0_10empty_typeEEEZNS1_10merge_implIS3_NS0_12zip_iteratorINS5_IJN6thrust23THRUST_200600_302600_NS6detail15normal_iteratorINSC_10device_ptrIKdEEEESI_EEEEESK_NSA_INS5_IJNSC_16discard_iteratorINSC_11use_defaultEEESN_EEEEEPS7_SQ_SQ_NSC_11hip_rocprim7__merge17predicate_wrapperIddNSC_4lessIdEEEEEE10hipError_tPvRmT0_T1_T2_T3_T4_T5_mmT6_P12ihipStream_tbEUlT_E_NS1_11comp_targetILNS1_3genE8ELNS1_11target_archE1030ELNS1_3gpuE2ELNS1_3repE0EEENS1_30default_config_static_selectorELNS0_4arch9wavefront6targetE0EEEvS11_.num_agpr, 0
	.set _ZN7rocprim17ROCPRIM_400000_NS6detail17trampoline_kernelINS0_14default_configENS1_21merge_config_selectorINS0_5tupleIJddEEENS0_10empty_typeEEEZNS1_10merge_implIS3_NS0_12zip_iteratorINS5_IJN6thrust23THRUST_200600_302600_NS6detail15normal_iteratorINSC_10device_ptrIKdEEEESI_EEEEESK_NSA_INS5_IJNSC_16discard_iteratorINSC_11use_defaultEEESN_EEEEEPS7_SQ_SQ_NSC_11hip_rocprim7__merge17predicate_wrapperIddNSC_4lessIdEEEEEE10hipError_tPvRmT0_T1_T2_T3_T4_T5_mmT6_P12ihipStream_tbEUlT_E_NS1_11comp_targetILNS1_3genE8ELNS1_11target_archE1030ELNS1_3gpuE2ELNS1_3repE0EEENS1_30default_config_static_selectorELNS0_4arch9wavefront6targetE0EEEvS11_.numbered_sgpr, 0
	.set _ZN7rocprim17ROCPRIM_400000_NS6detail17trampoline_kernelINS0_14default_configENS1_21merge_config_selectorINS0_5tupleIJddEEENS0_10empty_typeEEEZNS1_10merge_implIS3_NS0_12zip_iteratorINS5_IJN6thrust23THRUST_200600_302600_NS6detail15normal_iteratorINSC_10device_ptrIKdEEEESI_EEEEESK_NSA_INS5_IJNSC_16discard_iteratorINSC_11use_defaultEEESN_EEEEEPS7_SQ_SQ_NSC_11hip_rocprim7__merge17predicate_wrapperIddNSC_4lessIdEEEEEE10hipError_tPvRmT0_T1_T2_T3_T4_T5_mmT6_P12ihipStream_tbEUlT_E_NS1_11comp_targetILNS1_3genE8ELNS1_11target_archE1030ELNS1_3gpuE2ELNS1_3repE0EEENS1_30default_config_static_selectorELNS0_4arch9wavefront6targetE0EEEvS11_.num_named_barrier, 0
	.set _ZN7rocprim17ROCPRIM_400000_NS6detail17trampoline_kernelINS0_14default_configENS1_21merge_config_selectorINS0_5tupleIJddEEENS0_10empty_typeEEEZNS1_10merge_implIS3_NS0_12zip_iteratorINS5_IJN6thrust23THRUST_200600_302600_NS6detail15normal_iteratorINSC_10device_ptrIKdEEEESI_EEEEESK_NSA_INS5_IJNSC_16discard_iteratorINSC_11use_defaultEEESN_EEEEEPS7_SQ_SQ_NSC_11hip_rocprim7__merge17predicate_wrapperIddNSC_4lessIdEEEEEE10hipError_tPvRmT0_T1_T2_T3_T4_T5_mmT6_P12ihipStream_tbEUlT_E_NS1_11comp_targetILNS1_3genE8ELNS1_11target_archE1030ELNS1_3gpuE2ELNS1_3repE0EEENS1_30default_config_static_selectorELNS0_4arch9wavefront6targetE0EEEvS11_.private_seg_size, 0
	.set _ZN7rocprim17ROCPRIM_400000_NS6detail17trampoline_kernelINS0_14default_configENS1_21merge_config_selectorINS0_5tupleIJddEEENS0_10empty_typeEEEZNS1_10merge_implIS3_NS0_12zip_iteratorINS5_IJN6thrust23THRUST_200600_302600_NS6detail15normal_iteratorINSC_10device_ptrIKdEEEESI_EEEEESK_NSA_INS5_IJNSC_16discard_iteratorINSC_11use_defaultEEESN_EEEEEPS7_SQ_SQ_NSC_11hip_rocprim7__merge17predicate_wrapperIddNSC_4lessIdEEEEEE10hipError_tPvRmT0_T1_T2_T3_T4_T5_mmT6_P12ihipStream_tbEUlT_E_NS1_11comp_targetILNS1_3genE8ELNS1_11target_archE1030ELNS1_3gpuE2ELNS1_3repE0EEENS1_30default_config_static_selectorELNS0_4arch9wavefront6targetE0EEEvS11_.uses_vcc, 0
	.set _ZN7rocprim17ROCPRIM_400000_NS6detail17trampoline_kernelINS0_14default_configENS1_21merge_config_selectorINS0_5tupleIJddEEENS0_10empty_typeEEEZNS1_10merge_implIS3_NS0_12zip_iteratorINS5_IJN6thrust23THRUST_200600_302600_NS6detail15normal_iteratorINSC_10device_ptrIKdEEEESI_EEEEESK_NSA_INS5_IJNSC_16discard_iteratorINSC_11use_defaultEEESN_EEEEEPS7_SQ_SQ_NSC_11hip_rocprim7__merge17predicate_wrapperIddNSC_4lessIdEEEEEE10hipError_tPvRmT0_T1_T2_T3_T4_T5_mmT6_P12ihipStream_tbEUlT_E_NS1_11comp_targetILNS1_3genE8ELNS1_11target_archE1030ELNS1_3gpuE2ELNS1_3repE0EEENS1_30default_config_static_selectorELNS0_4arch9wavefront6targetE0EEEvS11_.uses_flat_scratch, 0
	.set _ZN7rocprim17ROCPRIM_400000_NS6detail17trampoline_kernelINS0_14default_configENS1_21merge_config_selectorINS0_5tupleIJddEEENS0_10empty_typeEEEZNS1_10merge_implIS3_NS0_12zip_iteratorINS5_IJN6thrust23THRUST_200600_302600_NS6detail15normal_iteratorINSC_10device_ptrIKdEEEESI_EEEEESK_NSA_INS5_IJNSC_16discard_iteratorINSC_11use_defaultEEESN_EEEEEPS7_SQ_SQ_NSC_11hip_rocprim7__merge17predicate_wrapperIddNSC_4lessIdEEEEEE10hipError_tPvRmT0_T1_T2_T3_T4_T5_mmT6_P12ihipStream_tbEUlT_E_NS1_11comp_targetILNS1_3genE8ELNS1_11target_archE1030ELNS1_3gpuE2ELNS1_3repE0EEENS1_30default_config_static_selectorELNS0_4arch9wavefront6targetE0EEEvS11_.has_dyn_sized_stack, 0
	.set _ZN7rocprim17ROCPRIM_400000_NS6detail17trampoline_kernelINS0_14default_configENS1_21merge_config_selectorINS0_5tupleIJddEEENS0_10empty_typeEEEZNS1_10merge_implIS3_NS0_12zip_iteratorINS5_IJN6thrust23THRUST_200600_302600_NS6detail15normal_iteratorINSC_10device_ptrIKdEEEESI_EEEEESK_NSA_INS5_IJNSC_16discard_iteratorINSC_11use_defaultEEESN_EEEEEPS7_SQ_SQ_NSC_11hip_rocprim7__merge17predicate_wrapperIddNSC_4lessIdEEEEEE10hipError_tPvRmT0_T1_T2_T3_T4_T5_mmT6_P12ihipStream_tbEUlT_E_NS1_11comp_targetILNS1_3genE8ELNS1_11target_archE1030ELNS1_3gpuE2ELNS1_3repE0EEENS1_30default_config_static_selectorELNS0_4arch9wavefront6targetE0EEEvS11_.has_recursion, 0
	.set _ZN7rocprim17ROCPRIM_400000_NS6detail17trampoline_kernelINS0_14default_configENS1_21merge_config_selectorINS0_5tupleIJddEEENS0_10empty_typeEEEZNS1_10merge_implIS3_NS0_12zip_iteratorINS5_IJN6thrust23THRUST_200600_302600_NS6detail15normal_iteratorINSC_10device_ptrIKdEEEESI_EEEEESK_NSA_INS5_IJNSC_16discard_iteratorINSC_11use_defaultEEESN_EEEEEPS7_SQ_SQ_NSC_11hip_rocprim7__merge17predicate_wrapperIddNSC_4lessIdEEEEEE10hipError_tPvRmT0_T1_T2_T3_T4_T5_mmT6_P12ihipStream_tbEUlT_E_NS1_11comp_targetILNS1_3genE8ELNS1_11target_archE1030ELNS1_3gpuE2ELNS1_3repE0EEENS1_30default_config_static_selectorELNS0_4arch9wavefront6targetE0EEEvS11_.has_indirect_call, 0
	.section	.AMDGPU.csdata,"",@progbits
; Kernel info:
; codeLenInByte = 0
; TotalNumSgprs: 0
; NumVgprs: 0
; ScratchSize: 0
; MemoryBound: 0
; FloatMode: 240
; IeeeMode: 1
; LDSByteSize: 0 bytes/workgroup (compile time only)
; SGPRBlocks: 0
; VGPRBlocks: 0
; NumSGPRsForWavesPerEU: 1
; NumVGPRsForWavesPerEU: 1
; NamedBarCnt: 0
; Occupancy: 16
; WaveLimiterHint : 0
; COMPUTE_PGM_RSRC2:SCRATCH_EN: 0
; COMPUTE_PGM_RSRC2:USER_SGPR: 2
; COMPUTE_PGM_RSRC2:TRAP_HANDLER: 0
; COMPUTE_PGM_RSRC2:TGID_X_EN: 1
; COMPUTE_PGM_RSRC2:TGID_Y_EN: 0
; COMPUTE_PGM_RSRC2:TGID_Z_EN: 0
; COMPUTE_PGM_RSRC2:TIDIG_COMP_CNT: 0
	.section	.text._ZN7rocprim17ROCPRIM_400000_NS6detail17trampoline_kernelINS0_14default_configENS1_21merge_config_selectorINS0_5tupleIJddEEENS0_10empty_typeEEEZNS1_10merge_implIS3_NS0_12zip_iteratorINS5_IJN6thrust23THRUST_200600_302600_NS6detail15normal_iteratorINSC_10device_ptrIKdEEEESI_EEEEESK_NSA_INS5_IJNSC_16discard_iteratorINSC_11use_defaultEEESN_EEEEEPS7_SQ_SQ_NSC_11hip_rocprim7__merge17predicate_wrapperIddNSC_4lessIdEEEEEE10hipError_tPvRmT0_T1_T2_T3_T4_T5_mmT6_P12ihipStream_tbEUlT_E0_NS1_11comp_targetILNS1_3genE0ELNS1_11target_archE4294967295ELNS1_3gpuE0ELNS1_3repE0EEENS1_30default_config_static_selectorELNS0_4arch9wavefront6targetE0EEEvS11_,"axG",@progbits,_ZN7rocprim17ROCPRIM_400000_NS6detail17trampoline_kernelINS0_14default_configENS1_21merge_config_selectorINS0_5tupleIJddEEENS0_10empty_typeEEEZNS1_10merge_implIS3_NS0_12zip_iteratorINS5_IJN6thrust23THRUST_200600_302600_NS6detail15normal_iteratorINSC_10device_ptrIKdEEEESI_EEEEESK_NSA_INS5_IJNSC_16discard_iteratorINSC_11use_defaultEEESN_EEEEEPS7_SQ_SQ_NSC_11hip_rocprim7__merge17predicate_wrapperIddNSC_4lessIdEEEEEE10hipError_tPvRmT0_T1_T2_T3_T4_T5_mmT6_P12ihipStream_tbEUlT_E0_NS1_11comp_targetILNS1_3genE0ELNS1_11target_archE4294967295ELNS1_3gpuE0ELNS1_3repE0EEENS1_30default_config_static_selectorELNS0_4arch9wavefront6targetE0EEEvS11_,comdat
	.protected	_ZN7rocprim17ROCPRIM_400000_NS6detail17trampoline_kernelINS0_14default_configENS1_21merge_config_selectorINS0_5tupleIJddEEENS0_10empty_typeEEEZNS1_10merge_implIS3_NS0_12zip_iteratorINS5_IJN6thrust23THRUST_200600_302600_NS6detail15normal_iteratorINSC_10device_ptrIKdEEEESI_EEEEESK_NSA_INS5_IJNSC_16discard_iteratorINSC_11use_defaultEEESN_EEEEEPS7_SQ_SQ_NSC_11hip_rocprim7__merge17predicate_wrapperIddNSC_4lessIdEEEEEE10hipError_tPvRmT0_T1_T2_T3_T4_T5_mmT6_P12ihipStream_tbEUlT_E0_NS1_11comp_targetILNS1_3genE0ELNS1_11target_archE4294967295ELNS1_3gpuE0ELNS1_3repE0EEENS1_30default_config_static_selectorELNS0_4arch9wavefront6targetE0EEEvS11_ ; -- Begin function _ZN7rocprim17ROCPRIM_400000_NS6detail17trampoline_kernelINS0_14default_configENS1_21merge_config_selectorINS0_5tupleIJddEEENS0_10empty_typeEEEZNS1_10merge_implIS3_NS0_12zip_iteratorINS5_IJN6thrust23THRUST_200600_302600_NS6detail15normal_iteratorINSC_10device_ptrIKdEEEESI_EEEEESK_NSA_INS5_IJNSC_16discard_iteratorINSC_11use_defaultEEESN_EEEEEPS7_SQ_SQ_NSC_11hip_rocprim7__merge17predicate_wrapperIddNSC_4lessIdEEEEEE10hipError_tPvRmT0_T1_T2_T3_T4_T5_mmT6_P12ihipStream_tbEUlT_E0_NS1_11comp_targetILNS1_3genE0ELNS1_11target_archE4294967295ELNS1_3gpuE0ELNS1_3repE0EEENS1_30default_config_static_selectorELNS0_4arch9wavefront6targetE0EEEvS11_
	.globl	_ZN7rocprim17ROCPRIM_400000_NS6detail17trampoline_kernelINS0_14default_configENS1_21merge_config_selectorINS0_5tupleIJddEEENS0_10empty_typeEEEZNS1_10merge_implIS3_NS0_12zip_iteratorINS5_IJN6thrust23THRUST_200600_302600_NS6detail15normal_iteratorINSC_10device_ptrIKdEEEESI_EEEEESK_NSA_INS5_IJNSC_16discard_iteratorINSC_11use_defaultEEESN_EEEEEPS7_SQ_SQ_NSC_11hip_rocprim7__merge17predicate_wrapperIddNSC_4lessIdEEEEEE10hipError_tPvRmT0_T1_T2_T3_T4_T5_mmT6_P12ihipStream_tbEUlT_E0_NS1_11comp_targetILNS1_3genE0ELNS1_11target_archE4294967295ELNS1_3gpuE0ELNS1_3repE0EEENS1_30default_config_static_selectorELNS0_4arch9wavefront6targetE0EEEvS11_
	.p2align	8
	.type	_ZN7rocprim17ROCPRIM_400000_NS6detail17trampoline_kernelINS0_14default_configENS1_21merge_config_selectorINS0_5tupleIJddEEENS0_10empty_typeEEEZNS1_10merge_implIS3_NS0_12zip_iteratorINS5_IJN6thrust23THRUST_200600_302600_NS6detail15normal_iteratorINSC_10device_ptrIKdEEEESI_EEEEESK_NSA_INS5_IJNSC_16discard_iteratorINSC_11use_defaultEEESN_EEEEEPS7_SQ_SQ_NSC_11hip_rocprim7__merge17predicate_wrapperIddNSC_4lessIdEEEEEE10hipError_tPvRmT0_T1_T2_T3_T4_T5_mmT6_P12ihipStream_tbEUlT_E0_NS1_11comp_targetILNS1_3genE0ELNS1_11target_archE4294967295ELNS1_3gpuE0ELNS1_3repE0EEENS1_30default_config_static_selectorELNS0_4arch9wavefront6targetE0EEEvS11_,@function
_ZN7rocprim17ROCPRIM_400000_NS6detail17trampoline_kernelINS0_14default_configENS1_21merge_config_selectorINS0_5tupleIJddEEENS0_10empty_typeEEEZNS1_10merge_implIS3_NS0_12zip_iteratorINS5_IJN6thrust23THRUST_200600_302600_NS6detail15normal_iteratorINSC_10device_ptrIKdEEEESI_EEEEESK_NSA_INS5_IJNSC_16discard_iteratorINSC_11use_defaultEEESN_EEEEEPS7_SQ_SQ_NSC_11hip_rocprim7__merge17predicate_wrapperIddNSC_4lessIdEEEEEE10hipError_tPvRmT0_T1_T2_T3_T4_T5_mmT6_P12ihipStream_tbEUlT_E0_NS1_11comp_targetILNS1_3genE0ELNS1_11target_archE4294967295ELNS1_3gpuE0ELNS1_3repE0EEENS1_30default_config_static_selectorELNS0_4arch9wavefront6targetE0EEEvS11_: ; @_ZN7rocprim17ROCPRIM_400000_NS6detail17trampoline_kernelINS0_14default_configENS1_21merge_config_selectorINS0_5tupleIJddEEENS0_10empty_typeEEEZNS1_10merge_implIS3_NS0_12zip_iteratorINS5_IJN6thrust23THRUST_200600_302600_NS6detail15normal_iteratorINSC_10device_ptrIKdEEEESI_EEEEESK_NSA_INS5_IJNSC_16discard_iteratorINSC_11use_defaultEEESN_EEEEEPS7_SQ_SQ_NSC_11hip_rocprim7__merge17predicate_wrapperIddNSC_4lessIdEEEEEE10hipError_tPvRmT0_T1_T2_T3_T4_T5_mmT6_P12ihipStream_tbEUlT_E0_NS1_11comp_targetILNS1_3genE0ELNS1_11target_archE4294967295ELNS1_3gpuE0ELNS1_3repE0EEENS1_30default_config_static_selectorELNS0_4arch9wavefront6targetE0EEEvS11_
; %bb.0:
	s_clause 0x1
	s_load_b128 s[12:15], s[0:1], 0x68
	s_load_b256 s[4:11], s[0:1], 0x8
	s_bfe_u32 s2, ttmp6, 0x4000c
	s_and_b32 s3, ttmp6, 15
	s_add_co_i32 s2, s2, 1
	s_wait_kmcnt 0x0
	s_getreg_b32 s13, hwreg(HW_REG_IB_STS2, 6, 4)
	s_mul_i32 s2, ttmp9, s2
	v_mov_b32_e32 v1, 0
	s_add_co_i32 s3, s3, s2
	s_cmp_eq_u32 s13, 0
	s_cselect_b32 s15, ttmp9, s3
	s_delay_alu instid0(SALU_CYCLE_1) | instskip(SKIP_2) | instid1(SALU_CYCLE_1)
	s_add_co_i32 s3, s15, 1
	s_lshl_b32 s17, s15, 10
	s_add_co_i32 s16, s14, s12
	s_add_co_i32 s2, s16, 0x3ff
	s_delay_alu instid0(SALU_CYCLE_1) | instskip(NEXT) | instid1(SALU_CYCLE_1)
	s_lshr_b32 s2, s2, 10
	s_min_u32 s14, s15, s2
	s_min_u32 s3, s3, s2
	s_clause 0x1
	s_load_b32 s2, s[4:5], s14 offset:0x0 scale_offset
	s_load_b32 s20, s[4:5], s3 offset:0x0 scale_offset
	s_load_b64 s[12:13], s[0:1], 0x28
	s_wait_xcnt 0x0
	s_mov_b32 s3, 0
	s_add_co_i32 s0, s17, 0x400
	s_mov_b32 s1, s3
	s_min_u32 s21, s16, s0
	s_wait_kmcnt 0x0
	s_sub_co_i32 s0, s17, s2
	s_lshl_b64 s[14:15], s[2:3], 3
	s_lshl_b64 s[18:19], s[0:1], 3
	s_add_co_i32 s0, s0, s20
	s_sub_co_i32 s2, s20, s2
	s_sub_co_i32 s0, s21, s0
	s_add_nc_u64 s[4:5], s[10:11], s[18:19]
	s_add_nc_u64 s[10:11], s[12:13], s[18:19]
	;; [unrolled: 1-line block ×3, first 2 shown]
	s_mov_b32 s1, exec_lo
	v_cmpx_le_u32_e64 s2, v0
	s_xor_b32 s1, exec_lo, s1
	s_cbranch_execz .LBB488_4
; %bb.1:
	s_mov_b32 s18, exec_lo
	v_cmpx_gt_u64_e64 s[12:13], v[0:1]
	s_cbranch_execz .LBB488_3
; %bb.2:
	v_subrev_nc_u32_e32 v6, s2, v0
	s_clause 0x1
	global_load_b64 v[2:3], v6, s[4:5] scale_offset
	global_load_b64 v[4:5], v6, s[10:11] scale_offset
	s_wait_xcnt 0x0
	v_lshlrev_b32_e32 v6, 4, v0
	s_wait_loadcnt 0x0
	ds_store_b128 v6, v[2:5]
.LBB488_3:
	s_or_b32 exec_lo, exec_lo, s18
.LBB488_4:
	s_or_saveexec_b32 s1, s1
	v_lshlrev_b32_e32 v4, 4, v0
	s_add_nc_u64 s[6:7], s[6:7], s[14:15]
	s_add_nc_u64 s[8:9], s[8:9], s[14:15]
	s_xor_b32 exec_lo, exec_lo, s1
	s_cbranch_execz .LBB488_6
; %bb.5:
	s_clause 0x1
	global_load_b64 v[6:7], v0, s[6:7] scale_offset
	global_load_b64 v[8:9], v0, s[8:9] scale_offset
	s_wait_loadcnt 0x0
	ds_store_b128 v4, v[6:9]
.LBB488_6:
	s_or_b32 exec_lo, exec_lo, s1
	v_or_b32_e32 v2, 0x200, v0
	s_mov_b32 s1, exec_lo
	s_delay_alu instid0(VALU_DEP_1)
	v_cmpx_le_u32_e64 s2, v2
	s_xor_b32 s1, exec_lo, s1
	s_cbranch_execz .LBB488_10
; %bb.7:
	v_mov_b32_e32 v3, 0
	s_delay_alu instid0(VALU_DEP_1)
	v_cmp_gt_u64_e32 vcc_lo, s[12:13], v[2:3]
	s_and_saveexec_b32 s12, vcc_lo
	s_cbranch_execz .LBB488_9
; %bb.8:
	v_sub_nc_u64_e64 v[2:3], v[0:1], s[2:3]
	s_delay_alu instid0(VALU_DEP_1) | instskip(NEXT) | instid1(VALU_DEP_1)
	v_lshlrev_b64_e32 v[2:3], 3, v[2:3]
	v_add_nc_u64_e32 v[10:11], s[4:5], v[2:3]
	v_add_nc_u64_e32 v[2:3], s[10:11], v[2:3]
	global_load_b64 v[6:7], v[10:11], off offset:4096
	global_load_b64 v[8:9], v[2:3], off offset:4096
	s_wait_loadcnt 0x0
	ds_store_b128 v4, v[6:9] offset:8192
.LBB488_9:
	s_or_b32 exec_lo, exec_lo, s12
                                        ; implicit-def: $vgpr4
.LBB488_10:
	s_and_not1_saveexec_b32 s1, s1
	s_cbranch_execz .LBB488_12
; %bb.11:
	s_clause 0x1
	global_load_b64 v[6:7], v0, s[6:7] offset:4096 scale_offset
	global_load_b64 v[8:9], v0, s[8:9] offset:4096 scale_offset
	s_wait_loadcnt 0x0
	ds_store_b128 v4, v[6:9] offset:8192
.LBB488_12:
	s_or_b32 exec_lo, exec_lo, s1
	v_lshlrev_b32_e32 v1, 1, v0
	s_mov_b32 s1, exec_lo
	s_wait_dscnt 0x0
	s_barrier_signal -1
	s_barrier_wait -1
	v_sub_nc_u32_e64 v14, v1, s0 clamp
	v_min_u32_e32 v2, s2, v1
	s_delay_alu instid0(VALU_DEP_1)
	v_cmpx_lt_u32_e64 v14, v2
	s_cbranch_execz .LBB488_16
; %bb.13:
	v_lshlrev_b32_e32 v3, 4, v1
	s_delay_alu instid0(VALU_DEP_1)
	v_lshl_add_u32 v3, s2, 4, v3
.LBB488_14:                             ; =>This Inner Loop Header: Depth=1
	v_add_nc_u32_e32 v4, v2, v14
	s_delay_alu instid0(VALU_DEP_1) | instskip(NEXT) | instid1(VALU_DEP_1)
	v_lshrrev_b32_e32 v8, 1, v4
	v_not_b32_e32 v4, v8
	v_lshlrev_b32_e32 v5, 4, v8
	s_delay_alu instid0(VALU_DEP_2)
	v_lshl_add_u32 v6, v4, 4, v3
	ds_load_b64 v[4:5], v5
	ds_load_b64 v[6:7], v6
	s_wait_dscnt 0x0
	v_cmp_lt_f64_e32 vcc_lo, v[6:7], v[4:5]
	v_add_nc_u32_e32 v4, 1, v8
	s_delay_alu instid0(VALU_DEP_1) | instskip(NEXT) | instid1(VALU_DEP_1)
	v_dual_cndmask_b32 v14, v4, v14, vcc_lo :: v_dual_cndmask_b32 v2, v2, v8, vcc_lo
	v_cmp_ge_u32_e32 vcc_lo, v14, v2
	s_or_b32 s3, vcc_lo, s3
	s_delay_alu instid0(SALU_CYCLE_1)
	s_and_not1_b32 exec_lo, exec_lo, s3
	s_cbranch_execnz .LBB488_14
; %bb.15:
	s_or_b32 exec_lo, exec_lo, s3
.LBB488_16:
	s_delay_alu instid0(SALU_CYCLE_1)
	s_or_b32 exec_lo, exec_lo, s1
	v_add_nc_u32_e32 v2, s2, v1
	s_add_co_i32 s4, s0, s2
	v_cmp_ge_u32_e32 vcc_lo, s2, v14
	v_mov_b64_e32 v[12:13], 0
	v_mov_b64_e32 v[4:5], 0
	v_sub_nc_u32_e32 v15, v2, v14
	v_mov_b64_e32 v[2:3], 0
	v_mov_b64_e32 v[10:11], 0
	s_delay_alu instid0(VALU_DEP_3) | instskip(SKIP_1) | instid1(SALU_CYCLE_1)
	v_cmp_ge_u32_e64 s0, s4, v15
	s_or_b32 s0, vcc_lo, s0
	s_and_saveexec_b32 s3, s0
	s_cbranch_execz .LBB488_22
; %bb.17:
	v_mov_b64_e32 v[8:9], 0
	v_mov_b64_e32 v[4:5], 0
	;; [unrolled: 1-line block ×3, first 2 shown]
	v_cmp_gt_u32_e32 vcc_lo, s2, v14
	s_and_saveexec_b32 s0, vcc_lo
; %bb.18:
	v_lshlrev_b32_e32 v2, 4, v14
	ds_load_b128 v[2:5], v2
; %bb.19:
	s_or_b32 exec_lo, exec_lo, s0
	v_mov_b64_e32 v[6:7], 0
	v_cmp_le_u32_e64 s0, s4, v15
	s_mov_b32 s5, exec_lo
	v_cmpx_gt_u32_e64 s4, v15
; %bb.20:
	v_lshlrev_b32_e32 v6, 4, v15
	ds_load_b128 v[6:9], v6
; %bb.21:
	s_or_b32 exec_lo, exec_lo, s5
	s_wait_dscnt 0x0
	v_cmp_nlt_f64_e64 s1, v[6:7], v[2:3]
	s_and_b32 s1, vcc_lo, s1
	s_delay_alu instid0(SALU_CYCLE_1) | instskip(SKIP_2) | instid1(VALU_DEP_2)
	s_or_b32 vcc_lo, s0, s1
	v_dual_mov_b32 v10, s2 :: v_dual_cndmask_b32 v11, v15, v14
	v_cndmask_b32_e32 v13, v9, v5, vcc_lo
	v_dual_cndmask_b32 v10, s4, v10, vcc_lo :: v_dual_add_nc_u32 v12, 1, v11
	v_cndmask_b32_e32 v11, v7, v3, vcc_lo
	s_delay_alu instid0(VALU_DEP_2) | instskip(NEXT) | instid1(VALU_DEP_1)
	v_add_min_u32_e64 v10, v10, -1, v12
	v_lshlrev_b32_e32 v10, 4, v10
	ds_load_b128 v[16:19], v10
	s_wait_dscnt 0x0
	v_dual_cndmask_b32 v10, v6, v2 :: v_dual_cndmask_b32 v21, v17, v7
	v_dual_cndmask_b32 v20, v16, v6 :: v_dual_cndmask_b32 v17, v3, v17
	v_cndmask_b32_e32 v16, v2, v16, vcc_lo
	v_dual_cndmask_b32 v3, v14, v12, vcc_lo :: v_dual_cndmask_b32 v7, v12, v15, vcc_lo
	v_cndmask_b32_e32 v12, v8, v4, vcc_lo
	v_dual_cndmask_b32 v6, v18, v8 :: v_dual_cndmask_b32 v5, v5, v19
	s_delay_alu instid0(VALU_DEP_4) | instskip(NEXT) | instid1(VALU_DEP_4)
	v_cmp_nlt_f64_e64 s0, v[20:21], v[16:17]
	v_cmp_gt_u32_e64 s1, s2, v3
	v_cmp_le_u32_e64 s2, s4, v7
	v_dual_cndmask_b32 v7, v19, v9 :: v_dual_cndmask_b32 v4, v4, v18
	s_and_b32 s0, s1, s0
	s_delay_alu instid0(SALU_CYCLE_1) | instskip(SKIP_1) | instid1(VALU_DEP_2)
	s_or_b32 vcc_lo, s2, s0
	v_dual_cndmask_b32 v3, v21, v17 :: v_dual_cndmask_b32 v2, v20, v16
	v_dual_cndmask_b32 v5, v7, v5 :: v_dual_cndmask_b32 v4, v6, v4
.LBB488_22:
	s_or_b32 exec_lo, exec_lo, s3
	v_and_b32_e32 v0, 0x1f0, v0
	s_sub_co_i32 s1, s16, s17
	s_mov_b32 s0, -1
	s_cmp_gt_u32 s1, 0x3ff
	s_delay_alu instid0(VALU_DEP_1)
	v_lshl_add_u32 v0, v1, 4, v0
	s_barrier_signal -1
	s_barrier_wait -1
	ds_store_b128 v0, v[10:13]
	ds_store_b128 v0, v[2:5] offset:16
	s_wait_dscnt 0x0
	s_cbranch_scc1 .LBB488_25
; %bb.23:
	s_and_not1_b32 vcc_lo, exec_lo, s0
	s_cbranch_vccz .LBB488_26
.LBB488_24:
	s_endpgm
.LBB488_25:
	s_barrier_signal -1
	s_barrier_wait -1
	s_cbranch_execnz .LBB488_24
.LBB488_26:
	s_barrier_signal -1
	s_barrier_wait -1
	s_endpgm
	.section	.rodata,"a",@progbits
	.p2align	6, 0x0
	.amdhsa_kernel _ZN7rocprim17ROCPRIM_400000_NS6detail17trampoline_kernelINS0_14default_configENS1_21merge_config_selectorINS0_5tupleIJddEEENS0_10empty_typeEEEZNS1_10merge_implIS3_NS0_12zip_iteratorINS5_IJN6thrust23THRUST_200600_302600_NS6detail15normal_iteratorINSC_10device_ptrIKdEEEESI_EEEEESK_NSA_INS5_IJNSC_16discard_iteratorINSC_11use_defaultEEESN_EEEEEPS7_SQ_SQ_NSC_11hip_rocprim7__merge17predicate_wrapperIddNSC_4lessIdEEEEEE10hipError_tPvRmT0_T1_T2_T3_T4_T5_mmT6_P12ihipStream_tbEUlT_E0_NS1_11comp_targetILNS1_3genE0ELNS1_11target_archE4294967295ELNS1_3gpuE0ELNS1_3repE0EEENS1_30default_config_static_selectorELNS0_4arch9wavefront6targetE0EEEvS11_
		.amdhsa_group_segment_fixed_size 16896
		.amdhsa_private_segment_fixed_size 0
		.amdhsa_kernarg_size 128
		.amdhsa_user_sgpr_count 2
		.amdhsa_user_sgpr_dispatch_ptr 0
		.amdhsa_user_sgpr_queue_ptr 0
		.amdhsa_user_sgpr_kernarg_segment_ptr 1
		.amdhsa_user_sgpr_dispatch_id 0
		.amdhsa_user_sgpr_kernarg_preload_length 0
		.amdhsa_user_sgpr_kernarg_preload_offset 0
		.amdhsa_user_sgpr_private_segment_size 0
		.amdhsa_wavefront_size32 1
		.amdhsa_uses_dynamic_stack 0
		.amdhsa_enable_private_segment 0
		.amdhsa_system_sgpr_workgroup_id_x 1
		.amdhsa_system_sgpr_workgroup_id_y 0
		.amdhsa_system_sgpr_workgroup_id_z 0
		.amdhsa_system_sgpr_workgroup_info 0
		.amdhsa_system_vgpr_workitem_id 0
		.amdhsa_next_free_vgpr 22
		.amdhsa_next_free_sgpr 22
		.amdhsa_named_barrier_count 0
		.amdhsa_reserve_vcc 1
		.amdhsa_float_round_mode_32 0
		.amdhsa_float_round_mode_16_64 0
		.amdhsa_float_denorm_mode_32 3
		.amdhsa_float_denorm_mode_16_64 3
		.amdhsa_fp16_overflow 0
		.amdhsa_memory_ordered 1
		.amdhsa_forward_progress 1
		.amdhsa_inst_pref_size 9
		.amdhsa_round_robin_scheduling 0
		.amdhsa_exception_fp_ieee_invalid_op 0
		.amdhsa_exception_fp_denorm_src 0
		.amdhsa_exception_fp_ieee_div_zero 0
		.amdhsa_exception_fp_ieee_overflow 0
		.amdhsa_exception_fp_ieee_underflow 0
		.amdhsa_exception_fp_ieee_inexact 0
		.amdhsa_exception_int_div_zero 0
	.end_amdhsa_kernel
	.section	.text._ZN7rocprim17ROCPRIM_400000_NS6detail17trampoline_kernelINS0_14default_configENS1_21merge_config_selectorINS0_5tupleIJddEEENS0_10empty_typeEEEZNS1_10merge_implIS3_NS0_12zip_iteratorINS5_IJN6thrust23THRUST_200600_302600_NS6detail15normal_iteratorINSC_10device_ptrIKdEEEESI_EEEEESK_NSA_INS5_IJNSC_16discard_iteratorINSC_11use_defaultEEESN_EEEEEPS7_SQ_SQ_NSC_11hip_rocprim7__merge17predicate_wrapperIddNSC_4lessIdEEEEEE10hipError_tPvRmT0_T1_T2_T3_T4_T5_mmT6_P12ihipStream_tbEUlT_E0_NS1_11comp_targetILNS1_3genE0ELNS1_11target_archE4294967295ELNS1_3gpuE0ELNS1_3repE0EEENS1_30default_config_static_selectorELNS0_4arch9wavefront6targetE0EEEvS11_,"axG",@progbits,_ZN7rocprim17ROCPRIM_400000_NS6detail17trampoline_kernelINS0_14default_configENS1_21merge_config_selectorINS0_5tupleIJddEEENS0_10empty_typeEEEZNS1_10merge_implIS3_NS0_12zip_iteratorINS5_IJN6thrust23THRUST_200600_302600_NS6detail15normal_iteratorINSC_10device_ptrIKdEEEESI_EEEEESK_NSA_INS5_IJNSC_16discard_iteratorINSC_11use_defaultEEESN_EEEEEPS7_SQ_SQ_NSC_11hip_rocprim7__merge17predicate_wrapperIddNSC_4lessIdEEEEEE10hipError_tPvRmT0_T1_T2_T3_T4_T5_mmT6_P12ihipStream_tbEUlT_E0_NS1_11comp_targetILNS1_3genE0ELNS1_11target_archE4294967295ELNS1_3gpuE0ELNS1_3repE0EEENS1_30default_config_static_selectorELNS0_4arch9wavefront6targetE0EEEvS11_,comdat
.Lfunc_end488:
	.size	_ZN7rocprim17ROCPRIM_400000_NS6detail17trampoline_kernelINS0_14default_configENS1_21merge_config_selectorINS0_5tupleIJddEEENS0_10empty_typeEEEZNS1_10merge_implIS3_NS0_12zip_iteratorINS5_IJN6thrust23THRUST_200600_302600_NS6detail15normal_iteratorINSC_10device_ptrIKdEEEESI_EEEEESK_NSA_INS5_IJNSC_16discard_iteratorINSC_11use_defaultEEESN_EEEEEPS7_SQ_SQ_NSC_11hip_rocprim7__merge17predicate_wrapperIddNSC_4lessIdEEEEEE10hipError_tPvRmT0_T1_T2_T3_T4_T5_mmT6_P12ihipStream_tbEUlT_E0_NS1_11comp_targetILNS1_3genE0ELNS1_11target_archE4294967295ELNS1_3gpuE0ELNS1_3repE0EEENS1_30default_config_static_selectorELNS0_4arch9wavefront6targetE0EEEvS11_, .Lfunc_end488-_ZN7rocprim17ROCPRIM_400000_NS6detail17trampoline_kernelINS0_14default_configENS1_21merge_config_selectorINS0_5tupleIJddEEENS0_10empty_typeEEEZNS1_10merge_implIS3_NS0_12zip_iteratorINS5_IJN6thrust23THRUST_200600_302600_NS6detail15normal_iteratorINSC_10device_ptrIKdEEEESI_EEEEESK_NSA_INS5_IJNSC_16discard_iteratorINSC_11use_defaultEEESN_EEEEEPS7_SQ_SQ_NSC_11hip_rocprim7__merge17predicate_wrapperIddNSC_4lessIdEEEEEE10hipError_tPvRmT0_T1_T2_T3_T4_T5_mmT6_P12ihipStream_tbEUlT_E0_NS1_11comp_targetILNS1_3genE0ELNS1_11target_archE4294967295ELNS1_3gpuE0ELNS1_3repE0EEENS1_30default_config_static_selectorELNS0_4arch9wavefront6targetE0EEEvS11_
                                        ; -- End function
	.set _ZN7rocprim17ROCPRIM_400000_NS6detail17trampoline_kernelINS0_14default_configENS1_21merge_config_selectorINS0_5tupleIJddEEENS0_10empty_typeEEEZNS1_10merge_implIS3_NS0_12zip_iteratorINS5_IJN6thrust23THRUST_200600_302600_NS6detail15normal_iteratorINSC_10device_ptrIKdEEEESI_EEEEESK_NSA_INS5_IJNSC_16discard_iteratorINSC_11use_defaultEEESN_EEEEEPS7_SQ_SQ_NSC_11hip_rocprim7__merge17predicate_wrapperIddNSC_4lessIdEEEEEE10hipError_tPvRmT0_T1_T2_T3_T4_T5_mmT6_P12ihipStream_tbEUlT_E0_NS1_11comp_targetILNS1_3genE0ELNS1_11target_archE4294967295ELNS1_3gpuE0ELNS1_3repE0EEENS1_30default_config_static_selectorELNS0_4arch9wavefront6targetE0EEEvS11_.num_vgpr, 22
	.set _ZN7rocprim17ROCPRIM_400000_NS6detail17trampoline_kernelINS0_14default_configENS1_21merge_config_selectorINS0_5tupleIJddEEENS0_10empty_typeEEEZNS1_10merge_implIS3_NS0_12zip_iteratorINS5_IJN6thrust23THRUST_200600_302600_NS6detail15normal_iteratorINSC_10device_ptrIKdEEEESI_EEEEESK_NSA_INS5_IJNSC_16discard_iteratorINSC_11use_defaultEEESN_EEEEEPS7_SQ_SQ_NSC_11hip_rocprim7__merge17predicate_wrapperIddNSC_4lessIdEEEEEE10hipError_tPvRmT0_T1_T2_T3_T4_T5_mmT6_P12ihipStream_tbEUlT_E0_NS1_11comp_targetILNS1_3genE0ELNS1_11target_archE4294967295ELNS1_3gpuE0ELNS1_3repE0EEENS1_30default_config_static_selectorELNS0_4arch9wavefront6targetE0EEEvS11_.num_agpr, 0
	.set _ZN7rocprim17ROCPRIM_400000_NS6detail17trampoline_kernelINS0_14default_configENS1_21merge_config_selectorINS0_5tupleIJddEEENS0_10empty_typeEEEZNS1_10merge_implIS3_NS0_12zip_iteratorINS5_IJN6thrust23THRUST_200600_302600_NS6detail15normal_iteratorINSC_10device_ptrIKdEEEESI_EEEEESK_NSA_INS5_IJNSC_16discard_iteratorINSC_11use_defaultEEESN_EEEEEPS7_SQ_SQ_NSC_11hip_rocprim7__merge17predicate_wrapperIddNSC_4lessIdEEEEEE10hipError_tPvRmT0_T1_T2_T3_T4_T5_mmT6_P12ihipStream_tbEUlT_E0_NS1_11comp_targetILNS1_3genE0ELNS1_11target_archE4294967295ELNS1_3gpuE0ELNS1_3repE0EEENS1_30default_config_static_selectorELNS0_4arch9wavefront6targetE0EEEvS11_.numbered_sgpr, 22
	.set _ZN7rocprim17ROCPRIM_400000_NS6detail17trampoline_kernelINS0_14default_configENS1_21merge_config_selectorINS0_5tupleIJddEEENS0_10empty_typeEEEZNS1_10merge_implIS3_NS0_12zip_iteratorINS5_IJN6thrust23THRUST_200600_302600_NS6detail15normal_iteratorINSC_10device_ptrIKdEEEESI_EEEEESK_NSA_INS5_IJNSC_16discard_iteratorINSC_11use_defaultEEESN_EEEEEPS7_SQ_SQ_NSC_11hip_rocprim7__merge17predicate_wrapperIddNSC_4lessIdEEEEEE10hipError_tPvRmT0_T1_T2_T3_T4_T5_mmT6_P12ihipStream_tbEUlT_E0_NS1_11comp_targetILNS1_3genE0ELNS1_11target_archE4294967295ELNS1_3gpuE0ELNS1_3repE0EEENS1_30default_config_static_selectorELNS0_4arch9wavefront6targetE0EEEvS11_.num_named_barrier, 0
	.set _ZN7rocprim17ROCPRIM_400000_NS6detail17trampoline_kernelINS0_14default_configENS1_21merge_config_selectorINS0_5tupleIJddEEENS0_10empty_typeEEEZNS1_10merge_implIS3_NS0_12zip_iteratorINS5_IJN6thrust23THRUST_200600_302600_NS6detail15normal_iteratorINSC_10device_ptrIKdEEEESI_EEEEESK_NSA_INS5_IJNSC_16discard_iteratorINSC_11use_defaultEEESN_EEEEEPS7_SQ_SQ_NSC_11hip_rocprim7__merge17predicate_wrapperIddNSC_4lessIdEEEEEE10hipError_tPvRmT0_T1_T2_T3_T4_T5_mmT6_P12ihipStream_tbEUlT_E0_NS1_11comp_targetILNS1_3genE0ELNS1_11target_archE4294967295ELNS1_3gpuE0ELNS1_3repE0EEENS1_30default_config_static_selectorELNS0_4arch9wavefront6targetE0EEEvS11_.private_seg_size, 0
	.set _ZN7rocprim17ROCPRIM_400000_NS6detail17trampoline_kernelINS0_14default_configENS1_21merge_config_selectorINS0_5tupleIJddEEENS0_10empty_typeEEEZNS1_10merge_implIS3_NS0_12zip_iteratorINS5_IJN6thrust23THRUST_200600_302600_NS6detail15normal_iteratorINSC_10device_ptrIKdEEEESI_EEEEESK_NSA_INS5_IJNSC_16discard_iteratorINSC_11use_defaultEEESN_EEEEEPS7_SQ_SQ_NSC_11hip_rocprim7__merge17predicate_wrapperIddNSC_4lessIdEEEEEE10hipError_tPvRmT0_T1_T2_T3_T4_T5_mmT6_P12ihipStream_tbEUlT_E0_NS1_11comp_targetILNS1_3genE0ELNS1_11target_archE4294967295ELNS1_3gpuE0ELNS1_3repE0EEENS1_30default_config_static_selectorELNS0_4arch9wavefront6targetE0EEEvS11_.uses_vcc, 1
	.set _ZN7rocprim17ROCPRIM_400000_NS6detail17trampoline_kernelINS0_14default_configENS1_21merge_config_selectorINS0_5tupleIJddEEENS0_10empty_typeEEEZNS1_10merge_implIS3_NS0_12zip_iteratorINS5_IJN6thrust23THRUST_200600_302600_NS6detail15normal_iteratorINSC_10device_ptrIKdEEEESI_EEEEESK_NSA_INS5_IJNSC_16discard_iteratorINSC_11use_defaultEEESN_EEEEEPS7_SQ_SQ_NSC_11hip_rocprim7__merge17predicate_wrapperIddNSC_4lessIdEEEEEE10hipError_tPvRmT0_T1_T2_T3_T4_T5_mmT6_P12ihipStream_tbEUlT_E0_NS1_11comp_targetILNS1_3genE0ELNS1_11target_archE4294967295ELNS1_3gpuE0ELNS1_3repE0EEENS1_30default_config_static_selectorELNS0_4arch9wavefront6targetE0EEEvS11_.uses_flat_scratch, 0
	.set _ZN7rocprim17ROCPRIM_400000_NS6detail17trampoline_kernelINS0_14default_configENS1_21merge_config_selectorINS0_5tupleIJddEEENS0_10empty_typeEEEZNS1_10merge_implIS3_NS0_12zip_iteratorINS5_IJN6thrust23THRUST_200600_302600_NS6detail15normal_iteratorINSC_10device_ptrIKdEEEESI_EEEEESK_NSA_INS5_IJNSC_16discard_iteratorINSC_11use_defaultEEESN_EEEEEPS7_SQ_SQ_NSC_11hip_rocprim7__merge17predicate_wrapperIddNSC_4lessIdEEEEEE10hipError_tPvRmT0_T1_T2_T3_T4_T5_mmT6_P12ihipStream_tbEUlT_E0_NS1_11comp_targetILNS1_3genE0ELNS1_11target_archE4294967295ELNS1_3gpuE0ELNS1_3repE0EEENS1_30default_config_static_selectorELNS0_4arch9wavefront6targetE0EEEvS11_.has_dyn_sized_stack, 0
	.set _ZN7rocprim17ROCPRIM_400000_NS6detail17trampoline_kernelINS0_14default_configENS1_21merge_config_selectorINS0_5tupleIJddEEENS0_10empty_typeEEEZNS1_10merge_implIS3_NS0_12zip_iteratorINS5_IJN6thrust23THRUST_200600_302600_NS6detail15normal_iteratorINSC_10device_ptrIKdEEEESI_EEEEESK_NSA_INS5_IJNSC_16discard_iteratorINSC_11use_defaultEEESN_EEEEEPS7_SQ_SQ_NSC_11hip_rocprim7__merge17predicate_wrapperIddNSC_4lessIdEEEEEE10hipError_tPvRmT0_T1_T2_T3_T4_T5_mmT6_P12ihipStream_tbEUlT_E0_NS1_11comp_targetILNS1_3genE0ELNS1_11target_archE4294967295ELNS1_3gpuE0ELNS1_3repE0EEENS1_30default_config_static_selectorELNS0_4arch9wavefront6targetE0EEEvS11_.has_recursion, 0
	.set _ZN7rocprim17ROCPRIM_400000_NS6detail17trampoline_kernelINS0_14default_configENS1_21merge_config_selectorINS0_5tupleIJddEEENS0_10empty_typeEEEZNS1_10merge_implIS3_NS0_12zip_iteratorINS5_IJN6thrust23THRUST_200600_302600_NS6detail15normal_iteratorINSC_10device_ptrIKdEEEESI_EEEEESK_NSA_INS5_IJNSC_16discard_iteratorINSC_11use_defaultEEESN_EEEEEPS7_SQ_SQ_NSC_11hip_rocprim7__merge17predicate_wrapperIddNSC_4lessIdEEEEEE10hipError_tPvRmT0_T1_T2_T3_T4_T5_mmT6_P12ihipStream_tbEUlT_E0_NS1_11comp_targetILNS1_3genE0ELNS1_11target_archE4294967295ELNS1_3gpuE0ELNS1_3repE0EEENS1_30default_config_static_selectorELNS0_4arch9wavefront6targetE0EEEvS11_.has_indirect_call, 0
	.section	.AMDGPU.csdata,"",@progbits
; Kernel info:
; codeLenInByte = 1124
; TotalNumSgprs: 24
; NumVgprs: 22
; ScratchSize: 0
; MemoryBound: 0
; FloatMode: 240
; IeeeMode: 1
; LDSByteSize: 16896 bytes/workgroup (compile time only)
; SGPRBlocks: 0
; VGPRBlocks: 1
; NumSGPRsForWavesPerEU: 24
; NumVGPRsForWavesPerEU: 22
; NamedBarCnt: 0
; Occupancy: 16
; WaveLimiterHint : 1
; COMPUTE_PGM_RSRC2:SCRATCH_EN: 0
; COMPUTE_PGM_RSRC2:USER_SGPR: 2
; COMPUTE_PGM_RSRC2:TRAP_HANDLER: 0
; COMPUTE_PGM_RSRC2:TGID_X_EN: 1
; COMPUTE_PGM_RSRC2:TGID_Y_EN: 0
; COMPUTE_PGM_RSRC2:TGID_Z_EN: 0
; COMPUTE_PGM_RSRC2:TIDIG_COMP_CNT: 0
	.section	.text._ZN7rocprim17ROCPRIM_400000_NS6detail17trampoline_kernelINS0_14default_configENS1_21merge_config_selectorINS0_5tupleIJddEEENS0_10empty_typeEEEZNS1_10merge_implIS3_NS0_12zip_iteratorINS5_IJN6thrust23THRUST_200600_302600_NS6detail15normal_iteratorINSC_10device_ptrIKdEEEESI_EEEEESK_NSA_INS5_IJNSC_16discard_iteratorINSC_11use_defaultEEESN_EEEEEPS7_SQ_SQ_NSC_11hip_rocprim7__merge17predicate_wrapperIddNSC_4lessIdEEEEEE10hipError_tPvRmT0_T1_T2_T3_T4_T5_mmT6_P12ihipStream_tbEUlT_E0_NS1_11comp_targetILNS1_3genE5ELNS1_11target_archE942ELNS1_3gpuE9ELNS1_3repE0EEENS1_30default_config_static_selectorELNS0_4arch9wavefront6targetE0EEEvS11_,"axG",@progbits,_ZN7rocprim17ROCPRIM_400000_NS6detail17trampoline_kernelINS0_14default_configENS1_21merge_config_selectorINS0_5tupleIJddEEENS0_10empty_typeEEEZNS1_10merge_implIS3_NS0_12zip_iteratorINS5_IJN6thrust23THRUST_200600_302600_NS6detail15normal_iteratorINSC_10device_ptrIKdEEEESI_EEEEESK_NSA_INS5_IJNSC_16discard_iteratorINSC_11use_defaultEEESN_EEEEEPS7_SQ_SQ_NSC_11hip_rocprim7__merge17predicate_wrapperIddNSC_4lessIdEEEEEE10hipError_tPvRmT0_T1_T2_T3_T4_T5_mmT6_P12ihipStream_tbEUlT_E0_NS1_11comp_targetILNS1_3genE5ELNS1_11target_archE942ELNS1_3gpuE9ELNS1_3repE0EEENS1_30default_config_static_selectorELNS0_4arch9wavefront6targetE0EEEvS11_,comdat
	.protected	_ZN7rocprim17ROCPRIM_400000_NS6detail17trampoline_kernelINS0_14default_configENS1_21merge_config_selectorINS0_5tupleIJddEEENS0_10empty_typeEEEZNS1_10merge_implIS3_NS0_12zip_iteratorINS5_IJN6thrust23THRUST_200600_302600_NS6detail15normal_iteratorINSC_10device_ptrIKdEEEESI_EEEEESK_NSA_INS5_IJNSC_16discard_iteratorINSC_11use_defaultEEESN_EEEEEPS7_SQ_SQ_NSC_11hip_rocprim7__merge17predicate_wrapperIddNSC_4lessIdEEEEEE10hipError_tPvRmT0_T1_T2_T3_T4_T5_mmT6_P12ihipStream_tbEUlT_E0_NS1_11comp_targetILNS1_3genE5ELNS1_11target_archE942ELNS1_3gpuE9ELNS1_3repE0EEENS1_30default_config_static_selectorELNS0_4arch9wavefront6targetE0EEEvS11_ ; -- Begin function _ZN7rocprim17ROCPRIM_400000_NS6detail17trampoline_kernelINS0_14default_configENS1_21merge_config_selectorINS0_5tupleIJddEEENS0_10empty_typeEEEZNS1_10merge_implIS3_NS0_12zip_iteratorINS5_IJN6thrust23THRUST_200600_302600_NS6detail15normal_iteratorINSC_10device_ptrIKdEEEESI_EEEEESK_NSA_INS5_IJNSC_16discard_iteratorINSC_11use_defaultEEESN_EEEEEPS7_SQ_SQ_NSC_11hip_rocprim7__merge17predicate_wrapperIddNSC_4lessIdEEEEEE10hipError_tPvRmT0_T1_T2_T3_T4_T5_mmT6_P12ihipStream_tbEUlT_E0_NS1_11comp_targetILNS1_3genE5ELNS1_11target_archE942ELNS1_3gpuE9ELNS1_3repE0EEENS1_30default_config_static_selectorELNS0_4arch9wavefront6targetE0EEEvS11_
	.globl	_ZN7rocprim17ROCPRIM_400000_NS6detail17trampoline_kernelINS0_14default_configENS1_21merge_config_selectorINS0_5tupleIJddEEENS0_10empty_typeEEEZNS1_10merge_implIS3_NS0_12zip_iteratorINS5_IJN6thrust23THRUST_200600_302600_NS6detail15normal_iteratorINSC_10device_ptrIKdEEEESI_EEEEESK_NSA_INS5_IJNSC_16discard_iteratorINSC_11use_defaultEEESN_EEEEEPS7_SQ_SQ_NSC_11hip_rocprim7__merge17predicate_wrapperIddNSC_4lessIdEEEEEE10hipError_tPvRmT0_T1_T2_T3_T4_T5_mmT6_P12ihipStream_tbEUlT_E0_NS1_11comp_targetILNS1_3genE5ELNS1_11target_archE942ELNS1_3gpuE9ELNS1_3repE0EEENS1_30default_config_static_selectorELNS0_4arch9wavefront6targetE0EEEvS11_
	.p2align	8
	.type	_ZN7rocprim17ROCPRIM_400000_NS6detail17trampoline_kernelINS0_14default_configENS1_21merge_config_selectorINS0_5tupleIJddEEENS0_10empty_typeEEEZNS1_10merge_implIS3_NS0_12zip_iteratorINS5_IJN6thrust23THRUST_200600_302600_NS6detail15normal_iteratorINSC_10device_ptrIKdEEEESI_EEEEESK_NSA_INS5_IJNSC_16discard_iteratorINSC_11use_defaultEEESN_EEEEEPS7_SQ_SQ_NSC_11hip_rocprim7__merge17predicate_wrapperIddNSC_4lessIdEEEEEE10hipError_tPvRmT0_T1_T2_T3_T4_T5_mmT6_P12ihipStream_tbEUlT_E0_NS1_11comp_targetILNS1_3genE5ELNS1_11target_archE942ELNS1_3gpuE9ELNS1_3repE0EEENS1_30default_config_static_selectorELNS0_4arch9wavefront6targetE0EEEvS11_,@function
_ZN7rocprim17ROCPRIM_400000_NS6detail17trampoline_kernelINS0_14default_configENS1_21merge_config_selectorINS0_5tupleIJddEEENS0_10empty_typeEEEZNS1_10merge_implIS3_NS0_12zip_iteratorINS5_IJN6thrust23THRUST_200600_302600_NS6detail15normal_iteratorINSC_10device_ptrIKdEEEESI_EEEEESK_NSA_INS5_IJNSC_16discard_iteratorINSC_11use_defaultEEESN_EEEEEPS7_SQ_SQ_NSC_11hip_rocprim7__merge17predicate_wrapperIddNSC_4lessIdEEEEEE10hipError_tPvRmT0_T1_T2_T3_T4_T5_mmT6_P12ihipStream_tbEUlT_E0_NS1_11comp_targetILNS1_3genE5ELNS1_11target_archE942ELNS1_3gpuE9ELNS1_3repE0EEENS1_30default_config_static_selectorELNS0_4arch9wavefront6targetE0EEEvS11_: ; @_ZN7rocprim17ROCPRIM_400000_NS6detail17trampoline_kernelINS0_14default_configENS1_21merge_config_selectorINS0_5tupleIJddEEENS0_10empty_typeEEEZNS1_10merge_implIS3_NS0_12zip_iteratorINS5_IJN6thrust23THRUST_200600_302600_NS6detail15normal_iteratorINSC_10device_ptrIKdEEEESI_EEEEESK_NSA_INS5_IJNSC_16discard_iteratorINSC_11use_defaultEEESN_EEEEEPS7_SQ_SQ_NSC_11hip_rocprim7__merge17predicate_wrapperIddNSC_4lessIdEEEEEE10hipError_tPvRmT0_T1_T2_T3_T4_T5_mmT6_P12ihipStream_tbEUlT_E0_NS1_11comp_targetILNS1_3genE5ELNS1_11target_archE942ELNS1_3gpuE9ELNS1_3repE0EEENS1_30default_config_static_selectorELNS0_4arch9wavefront6targetE0EEEvS11_
; %bb.0:
	.section	.rodata,"a",@progbits
	.p2align	6, 0x0
	.amdhsa_kernel _ZN7rocprim17ROCPRIM_400000_NS6detail17trampoline_kernelINS0_14default_configENS1_21merge_config_selectorINS0_5tupleIJddEEENS0_10empty_typeEEEZNS1_10merge_implIS3_NS0_12zip_iteratorINS5_IJN6thrust23THRUST_200600_302600_NS6detail15normal_iteratorINSC_10device_ptrIKdEEEESI_EEEEESK_NSA_INS5_IJNSC_16discard_iteratorINSC_11use_defaultEEESN_EEEEEPS7_SQ_SQ_NSC_11hip_rocprim7__merge17predicate_wrapperIddNSC_4lessIdEEEEEE10hipError_tPvRmT0_T1_T2_T3_T4_T5_mmT6_P12ihipStream_tbEUlT_E0_NS1_11comp_targetILNS1_3genE5ELNS1_11target_archE942ELNS1_3gpuE9ELNS1_3repE0EEENS1_30default_config_static_selectorELNS0_4arch9wavefront6targetE0EEEvS11_
		.amdhsa_group_segment_fixed_size 0
		.amdhsa_private_segment_fixed_size 0
		.amdhsa_kernarg_size 128
		.amdhsa_user_sgpr_count 2
		.amdhsa_user_sgpr_dispatch_ptr 0
		.amdhsa_user_sgpr_queue_ptr 0
		.amdhsa_user_sgpr_kernarg_segment_ptr 1
		.amdhsa_user_sgpr_dispatch_id 0
		.amdhsa_user_sgpr_kernarg_preload_length 0
		.amdhsa_user_sgpr_kernarg_preload_offset 0
		.amdhsa_user_sgpr_private_segment_size 0
		.amdhsa_wavefront_size32 1
		.amdhsa_uses_dynamic_stack 0
		.amdhsa_enable_private_segment 0
		.amdhsa_system_sgpr_workgroup_id_x 1
		.amdhsa_system_sgpr_workgroup_id_y 0
		.amdhsa_system_sgpr_workgroup_id_z 0
		.amdhsa_system_sgpr_workgroup_info 0
		.amdhsa_system_vgpr_workitem_id 0
		.amdhsa_next_free_vgpr 1
		.amdhsa_next_free_sgpr 1
		.amdhsa_named_barrier_count 0
		.amdhsa_reserve_vcc 0
		.amdhsa_float_round_mode_32 0
		.amdhsa_float_round_mode_16_64 0
		.amdhsa_float_denorm_mode_32 3
		.amdhsa_float_denorm_mode_16_64 3
		.amdhsa_fp16_overflow 0
		.amdhsa_memory_ordered 1
		.amdhsa_forward_progress 1
		.amdhsa_inst_pref_size 0
		.amdhsa_round_robin_scheduling 0
		.amdhsa_exception_fp_ieee_invalid_op 0
		.amdhsa_exception_fp_denorm_src 0
		.amdhsa_exception_fp_ieee_div_zero 0
		.amdhsa_exception_fp_ieee_overflow 0
		.amdhsa_exception_fp_ieee_underflow 0
		.amdhsa_exception_fp_ieee_inexact 0
		.amdhsa_exception_int_div_zero 0
	.end_amdhsa_kernel
	.section	.text._ZN7rocprim17ROCPRIM_400000_NS6detail17trampoline_kernelINS0_14default_configENS1_21merge_config_selectorINS0_5tupleIJddEEENS0_10empty_typeEEEZNS1_10merge_implIS3_NS0_12zip_iteratorINS5_IJN6thrust23THRUST_200600_302600_NS6detail15normal_iteratorINSC_10device_ptrIKdEEEESI_EEEEESK_NSA_INS5_IJNSC_16discard_iteratorINSC_11use_defaultEEESN_EEEEEPS7_SQ_SQ_NSC_11hip_rocprim7__merge17predicate_wrapperIddNSC_4lessIdEEEEEE10hipError_tPvRmT0_T1_T2_T3_T4_T5_mmT6_P12ihipStream_tbEUlT_E0_NS1_11comp_targetILNS1_3genE5ELNS1_11target_archE942ELNS1_3gpuE9ELNS1_3repE0EEENS1_30default_config_static_selectorELNS0_4arch9wavefront6targetE0EEEvS11_,"axG",@progbits,_ZN7rocprim17ROCPRIM_400000_NS6detail17trampoline_kernelINS0_14default_configENS1_21merge_config_selectorINS0_5tupleIJddEEENS0_10empty_typeEEEZNS1_10merge_implIS3_NS0_12zip_iteratorINS5_IJN6thrust23THRUST_200600_302600_NS6detail15normal_iteratorINSC_10device_ptrIKdEEEESI_EEEEESK_NSA_INS5_IJNSC_16discard_iteratorINSC_11use_defaultEEESN_EEEEEPS7_SQ_SQ_NSC_11hip_rocprim7__merge17predicate_wrapperIddNSC_4lessIdEEEEEE10hipError_tPvRmT0_T1_T2_T3_T4_T5_mmT6_P12ihipStream_tbEUlT_E0_NS1_11comp_targetILNS1_3genE5ELNS1_11target_archE942ELNS1_3gpuE9ELNS1_3repE0EEENS1_30default_config_static_selectorELNS0_4arch9wavefront6targetE0EEEvS11_,comdat
.Lfunc_end489:
	.size	_ZN7rocprim17ROCPRIM_400000_NS6detail17trampoline_kernelINS0_14default_configENS1_21merge_config_selectorINS0_5tupleIJddEEENS0_10empty_typeEEEZNS1_10merge_implIS3_NS0_12zip_iteratorINS5_IJN6thrust23THRUST_200600_302600_NS6detail15normal_iteratorINSC_10device_ptrIKdEEEESI_EEEEESK_NSA_INS5_IJNSC_16discard_iteratorINSC_11use_defaultEEESN_EEEEEPS7_SQ_SQ_NSC_11hip_rocprim7__merge17predicate_wrapperIddNSC_4lessIdEEEEEE10hipError_tPvRmT0_T1_T2_T3_T4_T5_mmT6_P12ihipStream_tbEUlT_E0_NS1_11comp_targetILNS1_3genE5ELNS1_11target_archE942ELNS1_3gpuE9ELNS1_3repE0EEENS1_30default_config_static_selectorELNS0_4arch9wavefront6targetE0EEEvS11_, .Lfunc_end489-_ZN7rocprim17ROCPRIM_400000_NS6detail17trampoline_kernelINS0_14default_configENS1_21merge_config_selectorINS0_5tupleIJddEEENS0_10empty_typeEEEZNS1_10merge_implIS3_NS0_12zip_iteratorINS5_IJN6thrust23THRUST_200600_302600_NS6detail15normal_iteratorINSC_10device_ptrIKdEEEESI_EEEEESK_NSA_INS5_IJNSC_16discard_iteratorINSC_11use_defaultEEESN_EEEEEPS7_SQ_SQ_NSC_11hip_rocprim7__merge17predicate_wrapperIddNSC_4lessIdEEEEEE10hipError_tPvRmT0_T1_T2_T3_T4_T5_mmT6_P12ihipStream_tbEUlT_E0_NS1_11comp_targetILNS1_3genE5ELNS1_11target_archE942ELNS1_3gpuE9ELNS1_3repE0EEENS1_30default_config_static_selectorELNS0_4arch9wavefront6targetE0EEEvS11_
                                        ; -- End function
	.set _ZN7rocprim17ROCPRIM_400000_NS6detail17trampoline_kernelINS0_14default_configENS1_21merge_config_selectorINS0_5tupleIJddEEENS0_10empty_typeEEEZNS1_10merge_implIS3_NS0_12zip_iteratorINS5_IJN6thrust23THRUST_200600_302600_NS6detail15normal_iteratorINSC_10device_ptrIKdEEEESI_EEEEESK_NSA_INS5_IJNSC_16discard_iteratorINSC_11use_defaultEEESN_EEEEEPS7_SQ_SQ_NSC_11hip_rocprim7__merge17predicate_wrapperIddNSC_4lessIdEEEEEE10hipError_tPvRmT0_T1_T2_T3_T4_T5_mmT6_P12ihipStream_tbEUlT_E0_NS1_11comp_targetILNS1_3genE5ELNS1_11target_archE942ELNS1_3gpuE9ELNS1_3repE0EEENS1_30default_config_static_selectorELNS0_4arch9wavefront6targetE0EEEvS11_.num_vgpr, 0
	.set _ZN7rocprim17ROCPRIM_400000_NS6detail17trampoline_kernelINS0_14default_configENS1_21merge_config_selectorINS0_5tupleIJddEEENS0_10empty_typeEEEZNS1_10merge_implIS3_NS0_12zip_iteratorINS5_IJN6thrust23THRUST_200600_302600_NS6detail15normal_iteratorINSC_10device_ptrIKdEEEESI_EEEEESK_NSA_INS5_IJNSC_16discard_iteratorINSC_11use_defaultEEESN_EEEEEPS7_SQ_SQ_NSC_11hip_rocprim7__merge17predicate_wrapperIddNSC_4lessIdEEEEEE10hipError_tPvRmT0_T1_T2_T3_T4_T5_mmT6_P12ihipStream_tbEUlT_E0_NS1_11comp_targetILNS1_3genE5ELNS1_11target_archE942ELNS1_3gpuE9ELNS1_3repE0EEENS1_30default_config_static_selectorELNS0_4arch9wavefront6targetE0EEEvS11_.num_agpr, 0
	.set _ZN7rocprim17ROCPRIM_400000_NS6detail17trampoline_kernelINS0_14default_configENS1_21merge_config_selectorINS0_5tupleIJddEEENS0_10empty_typeEEEZNS1_10merge_implIS3_NS0_12zip_iteratorINS5_IJN6thrust23THRUST_200600_302600_NS6detail15normal_iteratorINSC_10device_ptrIKdEEEESI_EEEEESK_NSA_INS5_IJNSC_16discard_iteratorINSC_11use_defaultEEESN_EEEEEPS7_SQ_SQ_NSC_11hip_rocprim7__merge17predicate_wrapperIddNSC_4lessIdEEEEEE10hipError_tPvRmT0_T1_T2_T3_T4_T5_mmT6_P12ihipStream_tbEUlT_E0_NS1_11comp_targetILNS1_3genE5ELNS1_11target_archE942ELNS1_3gpuE9ELNS1_3repE0EEENS1_30default_config_static_selectorELNS0_4arch9wavefront6targetE0EEEvS11_.numbered_sgpr, 0
	.set _ZN7rocprim17ROCPRIM_400000_NS6detail17trampoline_kernelINS0_14default_configENS1_21merge_config_selectorINS0_5tupleIJddEEENS0_10empty_typeEEEZNS1_10merge_implIS3_NS0_12zip_iteratorINS5_IJN6thrust23THRUST_200600_302600_NS6detail15normal_iteratorINSC_10device_ptrIKdEEEESI_EEEEESK_NSA_INS5_IJNSC_16discard_iteratorINSC_11use_defaultEEESN_EEEEEPS7_SQ_SQ_NSC_11hip_rocprim7__merge17predicate_wrapperIddNSC_4lessIdEEEEEE10hipError_tPvRmT0_T1_T2_T3_T4_T5_mmT6_P12ihipStream_tbEUlT_E0_NS1_11comp_targetILNS1_3genE5ELNS1_11target_archE942ELNS1_3gpuE9ELNS1_3repE0EEENS1_30default_config_static_selectorELNS0_4arch9wavefront6targetE0EEEvS11_.num_named_barrier, 0
	.set _ZN7rocprim17ROCPRIM_400000_NS6detail17trampoline_kernelINS0_14default_configENS1_21merge_config_selectorINS0_5tupleIJddEEENS0_10empty_typeEEEZNS1_10merge_implIS3_NS0_12zip_iteratorINS5_IJN6thrust23THRUST_200600_302600_NS6detail15normal_iteratorINSC_10device_ptrIKdEEEESI_EEEEESK_NSA_INS5_IJNSC_16discard_iteratorINSC_11use_defaultEEESN_EEEEEPS7_SQ_SQ_NSC_11hip_rocprim7__merge17predicate_wrapperIddNSC_4lessIdEEEEEE10hipError_tPvRmT0_T1_T2_T3_T4_T5_mmT6_P12ihipStream_tbEUlT_E0_NS1_11comp_targetILNS1_3genE5ELNS1_11target_archE942ELNS1_3gpuE9ELNS1_3repE0EEENS1_30default_config_static_selectorELNS0_4arch9wavefront6targetE0EEEvS11_.private_seg_size, 0
	.set _ZN7rocprim17ROCPRIM_400000_NS6detail17trampoline_kernelINS0_14default_configENS1_21merge_config_selectorINS0_5tupleIJddEEENS0_10empty_typeEEEZNS1_10merge_implIS3_NS0_12zip_iteratorINS5_IJN6thrust23THRUST_200600_302600_NS6detail15normal_iteratorINSC_10device_ptrIKdEEEESI_EEEEESK_NSA_INS5_IJNSC_16discard_iteratorINSC_11use_defaultEEESN_EEEEEPS7_SQ_SQ_NSC_11hip_rocprim7__merge17predicate_wrapperIddNSC_4lessIdEEEEEE10hipError_tPvRmT0_T1_T2_T3_T4_T5_mmT6_P12ihipStream_tbEUlT_E0_NS1_11comp_targetILNS1_3genE5ELNS1_11target_archE942ELNS1_3gpuE9ELNS1_3repE0EEENS1_30default_config_static_selectorELNS0_4arch9wavefront6targetE0EEEvS11_.uses_vcc, 0
	.set _ZN7rocprim17ROCPRIM_400000_NS6detail17trampoline_kernelINS0_14default_configENS1_21merge_config_selectorINS0_5tupleIJddEEENS0_10empty_typeEEEZNS1_10merge_implIS3_NS0_12zip_iteratorINS5_IJN6thrust23THRUST_200600_302600_NS6detail15normal_iteratorINSC_10device_ptrIKdEEEESI_EEEEESK_NSA_INS5_IJNSC_16discard_iteratorINSC_11use_defaultEEESN_EEEEEPS7_SQ_SQ_NSC_11hip_rocprim7__merge17predicate_wrapperIddNSC_4lessIdEEEEEE10hipError_tPvRmT0_T1_T2_T3_T4_T5_mmT6_P12ihipStream_tbEUlT_E0_NS1_11comp_targetILNS1_3genE5ELNS1_11target_archE942ELNS1_3gpuE9ELNS1_3repE0EEENS1_30default_config_static_selectorELNS0_4arch9wavefront6targetE0EEEvS11_.uses_flat_scratch, 0
	.set _ZN7rocprim17ROCPRIM_400000_NS6detail17trampoline_kernelINS0_14default_configENS1_21merge_config_selectorINS0_5tupleIJddEEENS0_10empty_typeEEEZNS1_10merge_implIS3_NS0_12zip_iteratorINS5_IJN6thrust23THRUST_200600_302600_NS6detail15normal_iteratorINSC_10device_ptrIKdEEEESI_EEEEESK_NSA_INS5_IJNSC_16discard_iteratorINSC_11use_defaultEEESN_EEEEEPS7_SQ_SQ_NSC_11hip_rocprim7__merge17predicate_wrapperIddNSC_4lessIdEEEEEE10hipError_tPvRmT0_T1_T2_T3_T4_T5_mmT6_P12ihipStream_tbEUlT_E0_NS1_11comp_targetILNS1_3genE5ELNS1_11target_archE942ELNS1_3gpuE9ELNS1_3repE0EEENS1_30default_config_static_selectorELNS0_4arch9wavefront6targetE0EEEvS11_.has_dyn_sized_stack, 0
	.set _ZN7rocprim17ROCPRIM_400000_NS6detail17trampoline_kernelINS0_14default_configENS1_21merge_config_selectorINS0_5tupleIJddEEENS0_10empty_typeEEEZNS1_10merge_implIS3_NS0_12zip_iteratorINS5_IJN6thrust23THRUST_200600_302600_NS6detail15normal_iteratorINSC_10device_ptrIKdEEEESI_EEEEESK_NSA_INS5_IJNSC_16discard_iteratorINSC_11use_defaultEEESN_EEEEEPS7_SQ_SQ_NSC_11hip_rocprim7__merge17predicate_wrapperIddNSC_4lessIdEEEEEE10hipError_tPvRmT0_T1_T2_T3_T4_T5_mmT6_P12ihipStream_tbEUlT_E0_NS1_11comp_targetILNS1_3genE5ELNS1_11target_archE942ELNS1_3gpuE9ELNS1_3repE0EEENS1_30default_config_static_selectorELNS0_4arch9wavefront6targetE0EEEvS11_.has_recursion, 0
	.set _ZN7rocprim17ROCPRIM_400000_NS6detail17trampoline_kernelINS0_14default_configENS1_21merge_config_selectorINS0_5tupleIJddEEENS0_10empty_typeEEEZNS1_10merge_implIS3_NS0_12zip_iteratorINS5_IJN6thrust23THRUST_200600_302600_NS6detail15normal_iteratorINSC_10device_ptrIKdEEEESI_EEEEESK_NSA_INS5_IJNSC_16discard_iteratorINSC_11use_defaultEEESN_EEEEEPS7_SQ_SQ_NSC_11hip_rocprim7__merge17predicate_wrapperIddNSC_4lessIdEEEEEE10hipError_tPvRmT0_T1_T2_T3_T4_T5_mmT6_P12ihipStream_tbEUlT_E0_NS1_11comp_targetILNS1_3genE5ELNS1_11target_archE942ELNS1_3gpuE9ELNS1_3repE0EEENS1_30default_config_static_selectorELNS0_4arch9wavefront6targetE0EEEvS11_.has_indirect_call, 0
	.section	.AMDGPU.csdata,"",@progbits
; Kernel info:
; codeLenInByte = 0
; TotalNumSgprs: 0
; NumVgprs: 0
; ScratchSize: 0
; MemoryBound: 0
; FloatMode: 240
; IeeeMode: 1
; LDSByteSize: 0 bytes/workgroup (compile time only)
; SGPRBlocks: 0
; VGPRBlocks: 0
; NumSGPRsForWavesPerEU: 1
; NumVGPRsForWavesPerEU: 1
; NamedBarCnt: 0
; Occupancy: 16
; WaveLimiterHint : 0
; COMPUTE_PGM_RSRC2:SCRATCH_EN: 0
; COMPUTE_PGM_RSRC2:USER_SGPR: 2
; COMPUTE_PGM_RSRC2:TRAP_HANDLER: 0
; COMPUTE_PGM_RSRC2:TGID_X_EN: 1
; COMPUTE_PGM_RSRC2:TGID_Y_EN: 0
; COMPUTE_PGM_RSRC2:TGID_Z_EN: 0
; COMPUTE_PGM_RSRC2:TIDIG_COMP_CNT: 0
	.section	.text._ZN7rocprim17ROCPRIM_400000_NS6detail17trampoline_kernelINS0_14default_configENS1_21merge_config_selectorINS0_5tupleIJddEEENS0_10empty_typeEEEZNS1_10merge_implIS3_NS0_12zip_iteratorINS5_IJN6thrust23THRUST_200600_302600_NS6detail15normal_iteratorINSC_10device_ptrIKdEEEESI_EEEEESK_NSA_INS5_IJNSC_16discard_iteratorINSC_11use_defaultEEESN_EEEEEPS7_SQ_SQ_NSC_11hip_rocprim7__merge17predicate_wrapperIddNSC_4lessIdEEEEEE10hipError_tPvRmT0_T1_T2_T3_T4_T5_mmT6_P12ihipStream_tbEUlT_E0_NS1_11comp_targetILNS1_3genE4ELNS1_11target_archE910ELNS1_3gpuE8ELNS1_3repE0EEENS1_30default_config_static_selectorELNS0_4arch9wavefront6targetE0EEEvS11_,"axG",@progbits,_ZN7rocprim17ROCPRIM_400000_NS6detail17trampoline_kernelINS0_14default_configENS1_21merge_config_selectorINS0_5tupleIJddEEENS0_10empty_typeEEEZNS1_10merge_implIS3_NS0_12zip_iteratorINS5_IJN6thrust23THRUST_200600_302600_NS6detail15normal_iteratorINSC_10device_ptrIKdEEEESI_EEEEESK_NSA_INS5_IJNSC_16discard_iteratorINSC_11use_defaultEEESN_EEEEEPS7_SQ_SQ_NSC_11hip_rocprim7__merge17predicate_wrapperIddNSC_4lessIdEEEEEE10hipError_tPvRmT0_T1_T2_T3_T4_T5_mmT6_P12ihipStream_tbEUlT_E0_NS1_11comp_targetILNS1_3genE4ELNS1_11target_archE910ELNS1_3gpuE8ELNS1_3repE0EEENS1_30default_config_static_selectorELNS0_4arch9wavefront6targetE0EEEvS11_,comdat
	.protected	_ZN7rocprim17ROCPRIM_400000_NS6detail17trampoline_kernelINS0_14default_configENS1_21merge_config_selectorINS0_5tupleIJddEEENS0_10empty_typeEEEZNS1_10merge_implIS3_NS0_12zip_iteratorINS5_IJN6thrust23THRUST_200600_302600_NS6detail15normal_iteratorINSC_10device_ptrIKdEEEESI_EEEEESK_NSA_INS5_IJNSC_16discard_iteratorINSC_11use_defaultEEESN_EEEEEPS7_SQ_SQ_NSC_11hip_rocprim7__merge17predicate_wrapperIddNSC_4lessIdEEEEEE10hipError_tPvRmT0_T1_T2_T3_T4_T5_mmT6_P12ihipStream_tbEUlT_E0_NS1_11comp_targetILNS1_3genE4ELNS1_11target_archE910ELNS1_3gpuE8ELNS1_3repE0EEENS1_30default_config_static_selectorELNS0_4arch9wavefront6targetE0EEEvS11_ ; -- Begin function _ZN7rocprim17ROCPRIM_400000_NS6detail17trampoline_kernelINS0_14default_configENS1_21merge_config_selectorINS0_5tupleIJddEEENS0_10empty_typeEEEZNS1_10merge_implIS3_NS0_12zip_iteratorINS5_IJN6thrust23THRUST_200600_302600_NS6detail15normal_iteratorINSC_10device_ptrIKdEEEESI_EEEEESK_NSA_INS5_IJNSC_16discard_iteratorINSC_11use_defaultEEESN_EEEEEPS7_SQ_SQ_NSC_11hip_rocprim7__merge17predicate_wrapperIddNSC_4lessIdEEEEEE10hipError_tPvRmT0_T1_T2_T3_T4_T5_mmT6_P12ihipStream_tbEUlT_E0_NS1_11comp_targetILNS1_3genE4ELNS1_11target_archE910ELNS1_3gpuE8ELNS1_3repE0EEENS1_30default_config_static_selectorELNS0_4arch9wavefront6targetE0EEEvS11_
	.globl	_ZN7rocprim17ROCPRIM_400000_NS6detail17trampoline_kernelINS0_14default_configENS1_21merge_config_selectorINS0_5tupleIJddEEENS0_10empty_typeEEEZNS1_10merge_implIS3_NS0_12zip_iteratorINS5_IJN6thrust23THRUST_200600_302600_NS6detail15normal_iteratorINSC_10device_ptrIKdEEEESI_EEEEESK_NSA_INS5_IJNSC_16discard_iteratorINSC_11use_defaultEEESN_EEEEEPS7_SQ_SQ_NSC_11hip_rocprim7__merge17predicate_wrapperIddNSC_4lessIdEEEEEE10hipError_tPvRmT0_T1_T2_T3_T4_T5_mmT6_P12ihipStream_tbEUlT_E0_NS1_11comp_targetILNS1_3genE4ELNS1_11target_archE910ELNS1_3gpuE8ELNS1_3repE0EEENS1_30default_config_static_selectorELNS0_4arch9wavefront6targetE0EEEvS11_
	.p2align	8
	.type	_ZN7rocprim17ROCPRIM_400000_NS6detail17trampoline_kernelINS0_14default_configENS1_21merge_config_selectorINS0_5tupleIJddEEENS0_10empty_typeEEEZNS1_10merge_implIS3_NS0_12zip_iteratorINS5_IJN6thrust23THRUST_200600_302600_NS6detail15normal_iteratorINSC_10device_ptrIKdEEEESI_EEEEESK_NSA_INS5_IJNSC_16discard_iteratorINSC_11use_defaultEEESN_EEEEEPS7_SQ_SQ_NSC_11hip_rocprim7__merge17predicate_wrapperIddNSC_4lessIdEEEEEE10hipError_tPvRmT0_T1_T2_T3_T4_T5_mmT6_P12ihipStream_tbEUlT_E0_NS1_11comp_targetILNS1_3genE4ELNS1_11target_archE910ELNS1_3gpuE8ELNS1_3repE0EEENS1_30default_config_static_selectorELNS0_4arch9wavefront6targetE0EEEvS11_,@function
_ZN7rocprim17ROCPRIM_400000_NS6detail17trampoline_kernelINS0_14default_configENS1_21merge_config_selectorINS0_5tupleIJddEEENS0_10empty_typeEEEZNS1_10merge_implIS3_NS0_12zip_iteratorINS5_IJN6thrust23THRUST_200600_302600_NS6detail15normal_iteratorINSC_10device_ptrIKdEEEESI_EEEEESK_NSA_INS5_IJNSC_16discard_iteratorINSC_11use_defaultEEESN_EEEEEPS7_SQ_SQ_NSC_11hip_rocprim7__merge17predicate_wrapperIddNSC_4lessIdEEEEEE10hipError_tPvRmT0_T1_T2_T3_T4_T5_mmT6_P12ihipStream_tbEUlT_E0_NS1_11comp_targetILNS1_3genE4ELNS1_11target_archE910ELNS1_3gpuE8ELNS1_3repE0EEENS1_30default_config_static_selectorELNS0_4arch9wavefront6targetE0EEEvS11_: ; @_ZN7rocprim17ROCPRIM_400000_NS6detail17trampoline_kernelINS0_14default_configENS1_21merge_config_selectorINS0_5tupleIJddEEENS0_10empty_typeEEEZNS1_10merge_implIS3_NS0_12zip_iteratorINS5_IJN6thrust23THRUST_200600_302600_NS6detail15normal_iteratorINSC_10device_ptrIKdEEEESI_EEEEESK_NSA_INS5_IJNSC_16discard_iteratorINSC_11use_defaultEEESN_EEEEEPS7_SQ_SQ_NSC_11hip_rocprim7__merge17predicate_wrapperIddNSC_4lessIdEEEEEE10hipError_tPvRmT0_T1_T2_T3_T4_T5_mmT6_P12ihipStream_tbEUlT_E0_NS1_11comp_targetILNS1_3genE4ELNS1_11target_archE910ELNS1_3gpuE8ELNS1_3repE0EEENS1_30default_config_static_selectorELNS0_4arch9wavefront6targetE0EEEvS11_
; %bb.0:
	.section	.rodata,"a",@progbits
	.p2align	6, 0x0
	.amdhsa_kernel _ZN7rocprim17ROCPRIM_400000_NS6detail17trampoline_kernelINS0_14default_configENS1_21merge_config_selectorINS0_5tupleIJddEEENS0_10empty_typeEEEZNS1_10merge_implIS3_NS0_12zip_iteratorINS5_IJN6thrust23THRUST_200600_302600_NS6detail15normal_iteratorINSC_10device_ptrIKdEEEESI_EEEEESK_NSA_INS5_IJNSC_16discard_iteratorINSC_11use_defaultEEESN_EEEEEPS7_SQ_SQ_NSC_11hip_rocprim7__merge17predicate_wrapperIddNSC_4lessIdEEEEEE10hipError_tPvRmT0_T1_T2_T3_T4_T5_mmT6_P12ihipStream_tbEUlT_E0_NS1_11comp_targetILNS1_3genE4ELNS1_11target_archE910ELNS1_3gpuE8ELNS1_3repE0EEENS1_30default_config_static_selectorELNS0_4arch9wavefront6targetE0EEEvS11_
		.amdhsa_group_segment_fixed_size 0
		.amdhsa_private_segment_fixed_size 0
		.amdhsa_kernarg_size 128
		.amdhsa_user_sgpr_count 2
		.amdhsa_user_sgpr_dispatch_ptr 0
		.amdhsa_user_sgpr_queue_ptr 0
		.amdhsa_user_sgpr_kernarg_segment_ptr 1
		.amdhsa_user_sgpr_dispatch_id 0
		.amdhsa_user_sgpr_kernarg_preload_length 0
		.amdhsa_user_sgpr_kernarg_preload_offset 0
		.amdhsa_user_sgpr_private_segment_size 0
		.amdhsa_wavefront_size32 1
		.amdhsa_uses_dynamic_stack 0
		.amdhsa_enable_private_segment 0
		.amdhsa_system_sgpr_workgroup_id_x 1
		.amdhsa_system_sgpr_workgroup_id_y 0
		.amdhsa_system_sgpr_workgroup_id_z 0
		.amdhsa_system_sgpr_workgroup_info 0
		.amdhsa_system_vgpr_workitem_id 0
		.amdhsa_next_free_vgpr 1
		.amdhsa_next_free_sgpr 1
		.amdhsa_named_barrier_count 0
		.amdhsa_reserve_vcc 0
		.amdhsa_float_round_mode_32 0
		.amdhsa_float_round_mode_16_64 0
		.amdhsa_float_denorm_mode_32 3
		.amdhsa_float_denorm_mode_16_64 3
		.amdhsa_fp16_overflow 0
		.amdhsa_memory_ordered 1
		.amdhsa_forward_progress 1
		.amdhsa_inst_pref_size 0
		.amdhsa_round_robin_scheduling 0
		.amdhsa_exception_fp_ieee_invalid_op 0
		.amdhsa_exception_fp_denorm_src 0
		.amdhsa_exception_fp_ieee_div_zero 0
		.amdhsa_exception_fp_ieee_overflow 0
		.amdhsa_exception_fp_ieee_underflow 0
		.amdhsa_exception_fp_ieee_inexact 0
		.amdhsa_exception_int_div_zero 0
	.end_amdhsa_kernel
	.section	.text._ZN7rocprim17ROCPRIM_400000_NS6detail17trampoline_kernelINS0_14default_configENS1_21merge_config_selectorINS0_5tupleIJddEEENS0_10empty_typeEEEZNS1_10merge_implIS3_NS0_12zip_iteratorINS5_IJN6thrust23THRUST_200600_302600_NS6detail15normal_iteratorINSC_10device_ptrIKdEEEESI_EEEEESK_NSA_INS5_IJNSC_16discard_iteratorINSC_11use_defaultEEESN_EEEEEPS7_SQ_SQ_NSC_11hip_rocprim7__merge17predicate_wrapperIddNSC_4lessIdEEEEEE10hipError_tPvRmT0_T1_T2_T3_T4_T5_mmT6_P12ihipStream_tbEUlT_E0_NS1_11comp_targetILNS1_3genE4ELNS1_11target_archE910ELNS1_3gpuE8ELNS1_3repE0EEENS1_30default_config_static_selectorELNS0_4arch9wavefront6targetE0EEEvS11_,"axG",@progbits,_ZN7rocprim17ROCPRIM_400000_NS6detail17trampoline_kernelINS0_14default_configENS1_21merge_config_selectorINS0_5tupleIJddEEENS0_10empty_typeEEEZNS1_10merge_implIS3_NS0_12zip_iteratorINS5_IJN6thrust23THRUST_200600_302600_NS6detail15normal_iteratorINSC_10device_ptrIKdEEEESI_EEEEESK_NSA_INS5_IJNSC_16discard_iteratorINSC_11use_defaultEEESN_EEEEEPS7_SQ_SQ_NSC_11hip_rocprim7__merge17predicate_wrapperIddNSC_4lessIdEEEEEE10hipError_tPvRmT0_T1_T2_T3_T4_T5_mmT6_P12ihipStream_tbEUlT_E0_NS1_11comp_targetILNS1_3genE4ELNS1_11target_archE910ELNS1_3gpuE8ELNS1_3repE0EEENS1_30default_config_static_selectorELNS0_4arch9wavefront6targetE0EEEvS11_,comdat
.Lfunc_end490:
	.size	_ZN7rocprim17ROCPRIM_400000_NS6detail17trampoline_kernelINS0_14default_configENS1_21merge_config_selectorINS0_5tupleIJddEEENS0_10empty_typeEEEZNS1_10merge_implIS3_NS0_12zip_iteratorINS5_IJN6thrust23THRUST_200600_302600_NS6detail15normal_iteratorINSC_10device_ptrIKdEEEESI_EEEEESK_NSA_INS5_IJNSC_16discard_iteratorINSC_11use_defaultEEESN_EEEEEPS7_SQ_SQ_NSC_11hip_rocprim7__merge17predicate_wrapperIddNSC_4lessIdEEEEEE10hipError_tPvRmT0_T1_T2_T3_T4_T5_mmT6_P12ihipStream_tbEUlT_E0_NS1_11comp_targetILNS1_3genE4ELNS1_11target_archE910ELNS1_3gpuE8ELNS1_3repE0EEENS1_30default_config_static_selectorELNS0_4arch9wavefront6targetE0EEEvS11_, .Lfunc_end490-_ZN7rocprim17ROCPRIM_400000_NS6detail17trampoline_kernelINS0_14default_configENS1_21merge_config_selectorINS0_5tupleIJddEEENS0_10empty_typeEEEZNS1_10merge_implIS3_NS0_12zip_iteratorINS5_IJN6thrust23THRUST_200600_302600_NS6detail15normal_iteratorINSC_10device_ptrIKdEEEESI_EEEEESK_NSA_INS5_IJNSC_16discard_iteratorINSC_11use_defaultEEESN_EEEEEPS7_SQ_SQ_NSC_11hip_rocprim7__merge17predicate_wrapperIddNSC_4lessIdEEEEEE10hipError_tPvRmT0_T1_T2_T3_T4_T5_mmT6_P12ihipStream_tbEUlT_E0_NS1_11comp_targetILNS1_3genE4ELNS1_11target_archE910ELNS1_3gpuE8ELNS1_3repE0EEENS1_30default_config_static_selectorELNS0_4arch9wavefront6targetE0EEEvS11_
                                        ; -- End function
	.set _ZN7rocprim17ROCPRIM_400000_NS6detail17trampoline_kernelINS0_14default_configENS1_21merge_config_selectorINS0_5tupleIJddEEENS0_10empty_typeEEEZNS1_10merge_implIS3_NS0_12zip_iteratorINS5_IJN6thrust23THRUST_200600_302600_NS6detail15normal_iteratorINSC_10device_ptrIKdEEEESI_EEEEESK_NSA_INS5_IJNSC_16discard_iteratorINSC_11use_defaultEEESN_EEEEEPS7_SQ_SQ_NSC_11hip_rocprim7__merge17predicate_wrapperIddNSC_4lessIdEEEEEE10hipError_tPvRmT0_T1_T2_T3_T4_T5_mmT6_P12ihipStream_tbEUlT_E0_NS1_11comp_targetILNS1_3genE4ELNS1_11target_archE910ELNS1_3gpuE8ELNS1_3repE0EEENS1_30default_config_static_selectorELNS0_4arch9wavefront6targetE0EEEvS11_.num_vgpr, 0
	.set _ZN7rocprim17ROCPRIM_400000_NS6detail17trampoline_kernelINS0_14default_configENS1_21merge_config_selectorINS0_5tupleIJddEEENS0_10empty_typeEEEZNS1_10merge_implIS3_NS0_12zip_iteratorINS5_IJN6thrust23THRUST_200600_302600_NS6detail15normal_iteratorINSC_10device_ptrIKdEEEESI_EEEEESK_NSA_INS5_IJNSC_16discard_iteratorINSC_11use_defaultEEESN_EEEEEPS7_SQ_SQ_NSC_11hip_rocprim7__merge17predicate_wrapperIddNSC_4lessIdEEEEEE10hipError_tPvRmT0_T1_T2_T3_T4_T5_mmT6_P12ihipStream_tbEUlT_E0_NS1_11comp_targetILNS1_3genE4ELNS1_11target_archE910ELNS1_3gpuE8ELNS1_3repE0EEENS1_30default_config_static_selectorELNS0_4arch9wavefront6targetE0EEEvS11_.num_agpr, 0
	.set _ZN7rocprim17ROCPRIM_400000_NS6detail17trampoline_kernelINS0_14default_configENS1_21merge_config_selectorINS0_5tupleIJddEEENS0_10empty_typeEEEZNS1_10merge_implIS3_NS0_12zip_iteratorINS5_IJN6thrust23THRUST_200600_302600_NS6detail15normal_iteratorINSC_10device_ptrIKdEEEESI_EEEEESK_NSA_INS5_IJNSC_16discard_iteratorINSC_11use_defaultEEESN_EEEEEPS7_SQ_SQ_NSC_11hip_rocprim7__merge17predicate_wrapperIddNSC_4lessIdEEEEEE10hipError_tPvRmT0_T1_T2_T3_T4_T5_mmT6_P12ihipStream_tbEUlT_E0_NS1_11comp_targetILNS1_3genE4ELNS1_11target_archE910ELNS1_3gpuE8ELNS1_3repE0EEENS1_30default_config_static_selectorELNS0_4arch9wavefront6targetE0EEEvS11_.numbered_sgpr, 0
	.set _ZN7rocprim17ROCPRIM_400000_NS6detail17trampoline_kernelINS0_14default_configENS1_21merge_config_selectorINS0_5tupleIJddEEENS0_10empty_typeEEEZNS1_10merge_implIS3_NS0_12zip_iteratorINS5_IJN6thrust23THRUST_200600_302600_NS6detail15normal_iteratorINSC_10device_ptrIKdEEEESI_EEEEESK_NSA_INS5_IJNSC_16discard_iteratorINSC_11use_defaultEEESN_EEEEEPS7_SQ_SQ_NSC_11hip_rocprim7__merge17predicate_wrapperIddNSC_4lessIdEEEEEE10hipError_tPvRmT0_T1_T2_T3_T4_T5_mmT6_P12ihipStream_tbEUlT_E0_NS1_11comp_targetILNS1_3genE4ELNS1_11target_archE910ELNS1_3gpuE8ELNS1_3repE0EEENS1_30default_config_static_selectorELNS0_4arch9wavefront6targetE0EEEvS11_.num_named_barrier, 0
	.set _ZN7rocprim17ROCPRIM_400000_NS6detail17trampoline_kernelINS0_14default_configENS1_21merge_config_selectorINS0_5tupleIJddEEENS0_10empty_typeEEEZNS1_10merge_implIS3_NS0_12zip_iteratorINS5_IJN6thrust23THRUST_200600_302600_NS6detail15normal_iteratorINSC_10device_ptrIKdEEEESI_EEEEESK_NSA_INS5_IJNSC_16discard_iteratorINSC_11use_defaultEEESN_EEEEEPS7_SQ_SQ_NSC_11hip_rocprim7__merge17predicate_wrapperIddNSC_4lessIdEEEEEE10hipError_tPvRmT0_T1_T2_T3_T4_T5_mmT6_P12ihipStream_tbEUlT_E0_NS1_11comp_targetILNS1_3genE4ELNS1_11target_archE910ELNS1_3gpuE8ELNS1_3repE0EEENS1_30default_config_static_selectorELNS0_4arch9wavefront6targetE0EEEvS11_.private_seg_size, 0
	.set _ZN7rocprim17ROCPRIM_400000_NS6detail17trampoline_kernelINS0_14default_configENS1_21merge_config_selectorINS0_5tupleIJddEEENS0_10empty_typeEEEZNS1_10merge_implIS3_NS0_12zip_iteratorINS5_IJN6thrust23THRUST_200600_302600_NS6detail15normal_iteratorINSC_10device_ptrIKdEEEESI_EEEEESK_NSA_INS5_IJNSC_16discard_iteratorINSC_11use_defaultEEESN_EEEEEPS7_SQ_SQ_NSC_11hip_rocprim7__merge17predicate_wrapperIddNSC_4lessIdEEEEEE10hipError_tPvRmT0_T1_T2_T3_T4_T5_mmT6_P12ihipStream_tbEUlT_E0_NS1_11comp_targetILNS1_3genE4ELNS1_11target_archE910ELNS1_3gpuE8ELNS1_3repE0EEENS1_30default_config_static_selectorELNS0_4arch9wavefront6targetE0EEEvS11_.uses_vcc, 0
	.set _ZN7rocprim17ROCPRIM_400000_NS6detail17trampoline_kernelINS0_14default_configENS1_21merge_config_selectorINS0_5tupleIJddEEENS0_10empty_typeEEEZNS1_10merge_implIS3_NS0_12zip_iteratorINS5_IJN6thrust23THRUST_200600_302600_NS6detail15normal_iteratorINSC_10device_ptrIKdEEEESI_EEEEESK_NSA_INS5_IJNSC_16discard_iteratorINSC_11use_defaultEEESN_EEEEEPS7_SQ_SQ_NSC_11hip_rocprim7__merge17predicate_wrapperIddNSC_4lessIdEEEEEE10hipError_tPvRmT0_T1_T2_T3_T4_T5_mmT6_P12ihipStream_tbEUlT_E0_NS1_11comp_targetILNS1_3genE4ELNS1_11target_archE910ELNS1_3gpuE8ELNS1_3repE0EEENS1_30default_config_static_selectorELNS0_4arch9wavefront6targetE0EEEvS11_.uses_flat_scratch, 0
	.set _ZN7rocprim17ROCPRIM_400000_NS6detail17trampoline_kernelINS0_14default_configENS1_21merge_config_selectorINS0_5tupleIJddEEENS0_10empty_typeEEEZNS1_10merge_implIS3_NS0_12zip_iteratorINS5_IJN6thrust23THRUST_200600_302600_NS6detail15normal_iteratorINSC_10device_ptrIKdEEEESI_EEEEESK_NSA_INS5_IJNSC_16discard_iteratorINSC_11use_defaultEEESN_EEEEEPS7_SQ_SQ_NSC_11hip_rocprim7__merge17predicate_wrapperIddNSC_4lessIdEEEEEE10hipError_tPvRmT0_T1_T2_T3_T4_T5_mmT6_P12ihipStream_tbEUlT_E0_NS1_11comp_targetILNS1_3genE4ELNS1_11target_archE910ELNS1_3gpuE8ELNS1_3repE0EEENS1_30default_config_static_selectorELNS0_4arch9wavefront6targetE0EEEvS11_.has_dyn_sized_stack, 0
	.set _ZN7rocprim17ROCPRIM_400000_NS6detail17trampoline_kernelINS0_14default_configENS1_21merge_config_selectorINS0_5tupleIJddEEENS0_10empty_typeEEEZNS1_10merge_implIS3_NS0_12zip_iteratorINS5_IJN6thrust23THRUST_200600_302600_NS6detail15normal_iteratorINSC_10device_ptrIKdEEEESI_EEEEESK_NSA_INS5_IJNSC_16discard_iteratorINSC_11use_defaultEEESN_EEEEEPS7_SQ_SQ_NSC_11hip_rocprim7__merge17predicate_wrapperIddNSC_4lessIdEEEEEE10hipError_tPvRmT0_T1_T2_T3_T4_T5_mmT6_P12ihipStream_tbEUlT_E0_NS1_11comp_targetILNS1_3genE4ELNS1_11target_archE910ELNS1_3gpuE8ELNS1_3repE0EEENS1_30default_config_static_selectorELNS0_4arch9wavefront6targetE0EEEvS11_.has_recursion, 0
	.set _ZN7rocprim17ROCPRIM_400000_NS6detail17trampoline_kernelINS0_14default_configENS1_21merge_config_selectorINS0_5tupleIJddEEENS0_10empty_typeEEEZNS1_10merge_implIS3_NS0_12zip_iteratorINS5_IJN6thrust23THRUST_200600_302600_NS6detail15normal_iteratorINSC_10device_ptrIKdEEEESI_EEEEESK_NSA_INS5_IJNSC_16discard_iteratorINSC_11use_defaultEEESN_EEEEEPS7_SQ_SQ_NSC_11hip_rocprim7__merge17predicate_wrapperIddNSC_4lessIdEEEEEE10hipError_tPvRmT0_T1_T2_T3_T4_T5_mmT6_P12ihipStream_tbEUlT_E0_NS1_11comp_targetILNS1_3genE4ELNS1_11target_archE910ELNS1_3gpuE8ELNS1_3repE0EEENS1_30default_config_static_selectorELNS0_4arch9wavefront6targetE0EEEvS11_.has_indirect_call, 0
	.section	.AMDGPU.csdata,"",@progbits
; Kernel info:
; codeLenInByte = 0
; TotalNumSgprs: 0
; NumVgprs: 0
; ScratchSize: 0
; MemoryBound: 0
; FloatMode: 240
; IeeeMode: 1
; LDSByteSize: 0 bytes/workgroup (compile time only)
; SGPRBlocks: 0
; VGPRBlocks: 0
; NumSGPRsForWavesPerEU: 1
; NumVGPRsForWavesPerEU: 1
; NamedBarCnt: 0
; Occupancy: 16
; WaveLimiterHint : 0
; COMPUTE_PGM_RSRC2:SCRATCH_EN: 0
; COMPUTE_PGM_RSRC2:USER_SGPR: 2
; COMPUTE_PGM_RSRC2:TRAP_HANDLER: 0
; COMPUTE_PGM_RSRC2:TGID_X_EN: 1
; COMPUTE_PGM_RSRC2:TGID_Y_EN: 0
; COMPUTE_PGM_RSRC2:TGID_Z_EN: 0
; COMPUTE_PGM_RSRC2:TIDIG_COMP_CNT: 0
	.section	.text._ZN7rocprim17ROCPRIM_400000_NS6detail17trampoline_kernelINS0_14default_configENS1_21merge_config_selectorINS0_5tupleIJddEEENS0_10empty_typeEEEZNS1_10merge_implIS3_NS0_12zip_iteratorINS5_IJN6thrust23THRUST_200600_302600_NS6detail15normal_iteratorINSC_10device_ptrIKdEEEESI_EEEEESK_NSA_INS5_IJNSC_16discard_iteratorINSC_11use_defaultEEESN_EEEEEPS7_SQ_SQ_NSC_11hip_rocprim7__merge17predicate_wrapperIddNSC_4lessIdEEEEEE10hipError_tPvRmT0_T1_T2_T3_T4_T5_mmT6_P12ihipStream_tbEUlT_E0_NS1_11comp_targetILNS1_3genE3ELNS1_11target_archE908ELNS1_3gpuE7ELNS1_3repE0EEENS1_30default_config_static_selectorELNS0_4arch9wavefront6targetE0EEEvS11_,"axG",@progbits,_ZN7rocprim17ROCPRIM_400000_NS6detail17trampoline_kernelINS0_14default_configENS1_21merge_config_selectorINS0_5tupleIJddEEENS0_10empty_typeEEEZNS1_10merge_implIS3_NS0_12zip_iteratorINS5_IJN6thrust23THRUST_200600_302600_NS6detail15normal_iteratorINSC_10device_ptrIKdEEEESI_EEEEESK_NSA_INS5_IJNSC_16discard_iteratorINSC_11use_defaultEEESN_EEEEEPS7_SQ_SQ_NSC_11hip_rocprim7__merge17predicate_wrapperIddNSC_4lessIdEEEEEE10hipError_tPvRmT0_T1_T2_T3_T4_T5_mmT6_P12ihipStream_tbEUlT_E0_NS1_11comp_targetILNS1_3genE3ELNS1_11target_archE908ELNS1_3gpuE7ELNS1_3repE0EEENS1_30default_config_static_selectorELNS0_4arch9wavefront6targetE0EEEvS11_,comdat
	.protected	_ZN7rocprim17ROCPRIM_400000_NS6detail17trampoline_kernelINS0_14default_configENS1_21merge_config_selectorINS0_5tupleIJddEEENS0_10empty_typeEEEZNS1_10merge_implIS3_NS0_12zip_iteratorINS5_IJN6thrust23THRUST_200600_302600_NS6detail15normal_iteratorINSC_10device_ptrIKdEEEESI_EEEEESK_NSA_INS5_IJNSC_16discard_iteratorINSC_11use_defaultEEESN_EEEEEPS7_SQ_SQ_NSC_11hip_rocprim7__merge17predicate_wrapperIddNSC_4lessIdEEEEEE10hipError_tPvRmT0_T1_T2_T3_T4_T5_mmT6_P12ihipStream_tbEUlT_E0_NS1_11comp_targetILNS1_3genE3ELNS1_11target_archE908ELNS1_3gpuE7ELNS1_3repE0EEENS1_30default_config_static_selectorELNS0_4arch9wavefront6targetE0EEEvS11_ ; -- Begin function _ZN7rocprim17ROCPRIM_400000_NS6detail17trampoline_kernelINS0_14default_configENS1_21merge_config_selectorINS0_5tupleIJddEEENS0_10empty_typeEEEZNS1_10merge_implIS3_NS0_12zip_iteratorINS5_IJN6thrust23THRUST_200600_302600_NS6detail15normal_iteratorINSC_10device_ptrIKdEEEESI_EEEEESK_NSA_INS5_IJNSC_16discard_iteratorINSC_11use_defaultEEESN_EEEEEPS7_SQ_SQ_NSC_11hip_rocprim7__merge17predicate_wrapperIddNSC_4lessIdEEEEEE10hipError_tPvRmT0_T1_T2_T3_T4_T5_mmT6_P12ihipStream_tbEUlT_E0_NS1_11comp_targetILNS1_3genE3ELNS1_11target_archE908ELNS1_3gpuE7ELNS1_3repE0EEENS1_30default_config_static_selectorELNS0_4arch9wavefront6targetE0EEEvS11_
	.globl	_ZN7rocprim17ROCPRIM_400000_NS6detail17trampoline_kernelINS0_14default_configENS1_21merge_config_selectorINS0_5tupleIJddEEENS0_10empty_typeEEEZNS1_10merge_implIS3_NS0_12zip_iteratorINS5_IJN6thrust23THRUST_200600_302600_NS6detail15normal_iteratorINSC_10device_ptrIKdEEEESI_EEEEESK_NSA_INS5_IJNSC_16discard_iteratorINSC_11use_defaultEEESN_EEEEEPS7_SQ_SQ_NSC_11hip_rocprim7__merge17predicate_wrapperIddNSC_4lessIdEEEEEE10hipError_tPvRmT0_T1_T2_T3_T4_T5_mmT6_P12ihipStream_tbEUlT_E0_NS1_11comp_targetILNS1_3genE3ELNS1_11target_archE908ELNS1_3gpuE7ELNS1_3repE0EEENS1_30default_config_static_selectorELNS0_4arch9wavefront6targetE0EEEvS11_
	.p2align	8
	.type	_ZN7rocprim17ROCPRIM_400000_NS6detail17trampoline_kernelINS0_14default_configENS1_21merge_config_selectorINS0_5tupleIJddEEENS0_10empty_typeEEEZNS1_10merge_implIS3_NS0_12zip_iteratorINS5_IJN6thrust23THRUST_200600_302600_NS6detail15normal_iteratorINSC_10device_ptrIKdEEEESI_EEEEESK_NSA_INS5_IJNSC_16discard_iteratorINSC_11use_defaultEEESN_EEEEEPS7_SQ_SQ_NSC_11hip_rocprim7__merge17predicate_wrapperIddNSC_4lessIdEEEEEE10hipError_tPvRmT0_T1_T2_T3_T4_T5_mmT6_P12ihipStream_tbEUlT_E0_NS1_11comp_targetILNS1_3genE3ELNS1_11target_archE908ELNS1_3gpuE7ELNS1_3repE0EEENS1_30default_config_static_selectorELNS0_4arch9wavefront6targetE0EEEvS11_,@function
_ZN7rocprim17ROCPRIM_400000_NS6detail17trampoline_kernelINS0_14default_configENS1_21merge_config_selectorINS0_5tupleIJddEEENS0_10empty_typeEEEZNS1_10merge_implIS3_NS0_12zip_iteratorINS5_IJN6thrust23THRUST_200600_302600_NS6detail15normal_iteratorINSC_10device_ptrIKdEEEESI_EEEEESK_NSA_INS5_IJNSC_16discard_iteratorINSC_11use_defaultEEESN_EEEEEPS7_SQ_SQ_NSC_11hip_rocprim7__merge17predicate_wrapperIddNSC_4lessIdEEEEEE10hipError_tPvRmT0_T1_T2_T3_T4_T5_mmT6_P12ihipStream_tbEUlT_E0_NS1_11comp_targetILNS1_3genE3ELNS1_11target_archE908ELNS1_3gpuE7ELNS1_3repE0EEENS1_30default_config_static_selectorELNS0_4arch9wavefront6targetE0EEEvS11_: ; @_ZN7rocprim17ROCPRIM_400000_NS6detail17trampoline_kernelINS0_14default_configENS1_21merge_config_selectorINS0_5tupleIJddEEENS0_10empty_typeEEEZNS1_10merge_implIS3_NS0_12zip_iteratorINS5_IJN6thrust23THRUST_200600_302600_NS6detail15normal_iteratorINSC_10device_ptrIKdEEEESI_EEEEESK_NSA_INS5_IJNSC_16discard_iteratorINSC_11use_defaultEEESN_EEEEEPS7_SQ_SQ_NSC_11hip_rocprim7__merge17predicate_wrapperIddNSC_4lessIdEEEEEE10hipError_tPvRmT0_T1_T2_T3_T4_T5_mmT6_P12ihipStream_tbEUlT_E0_NS1_11comp_targetILNS1_3genE3ELNS1_11target_archE908ELNS1_3gpuE7ELNS1_3repE0EEENS1_30default_config_static_selectorELNS0_4arch9wavefront6targetE0EEEvS11_
; %bb.0:
	.section	.rodata,"a",@progbits
	.p2align	6, 0x0
	.amdhsa_kernel _ZN7rocprim17ROCPRIM_400000_NS6detail17trampoline_kernelINS0_14default_configENS1_21merge_config_selectorINS0_5tupleIJddEEENS0_10empty_typeEEEZNS1_10merge_implIS3_NS0_12zip_iteratorINS5_IJN6thrust23THRUST_200600_302600_NS6detail15normal_iteratorINSC_10device_ptrIKdEEEESI_EEEEESK_NSA_INS5_IJNSC_16discard_iteratorINSC_11use_defaultEEESN_EEEEEPS7_SQ_SQ_NSC_11hip_rocprim7__merge17predicate_wrapperIddNSC_4lessIdEEEEEE10hipError_tPvRmT0_T1_T2_T3_T4_T5_mmT6_P12ihipStream_tbEUlT_E0_NS1_11comp_targetILNS1_3genE3ELNS1_11target_archE908ELNS1_3gpuE7ELNS1_3repE0EEENS1_30default_config_static_selectorELNS0_4arch9wavefront6targetE0EEEvS11_
		.amdhsa_group_segment_fixed_size 0
		.amdhsa_private_segment_fixed_size 0
		.amdhsa_kernarg_size 128
		.amdhsa_user_sgpr_count 2
		.amdhsa_user_sgpr_dispatch_ptr 0
		.amdhsa_user_sgpr_queue_ptr 0
		.amdhsa_user_sgpr_kernarg_segment_ptr 1
		.amdhsa_user_sgpr_dispatch_id 0
		.amdhsa_user_sgpr_kernarg_preload_length 0
		.amdhsa_user_sgpr_kernarg_preload_offset 0
		.amdhsa_user_sgpr_private_segment_size 0
		.amdhsa_wavefront_size32 1
		.amdhsa_uses_dynamic_stack 0
		.amdhsa_enable_private_segment 0
		.amdhsa_system_sgpr_workgroup_id_x 1
		.amdhsa_system_sgpr_workgroup_id_y 0
		.amdhsa_system_sgpr_workgroup_id_z 0
		.amdhsa_system_sgpr_workgroup_info 0
		.amdhsa_system_vgpr_workitem_id 0
		.amdhsa_next_free_vgpr 1
		.amdhsa_next_free_sgpr 1
		.amdhsa_named_barrier_count 0
		.amdhsa_reserve_vcc 0
		.amdhsa_float_round_mode_32 0
		.amdhsa_float_round_mode_16_64 0
		.amdhsa_float_denorm_mode_32 3
		.amdhsa_float_denorm_mode_16_64 3
		.amdhsa_fp16_overflow 0
		.amdhsa_memory_ordered 1
		.amdhsa_forward_progress 1
		.amdhsa_inst_pref_size 0
		.amdhsa_round_robin_scheduling 0
		.amdhsa_exception_fp_ieee_invalid_op 0
		.amdhsa_exception_fp_denorm_src 0
		.amdhsa_exception_fp_ieee_div_zero 0
		.amdhsa_exception_fp_ieee_overflow 0
		.amdhsa_exception_fp_ieee_underflow 0
		.amdhsa_exception_fp_ieee_inexact 0
		.amdhsa_exception_int_div_zero 0
	.end_amdhsa_kernel
	.section	.text._ZN7rocprim17ROCPRIM_400000_NS6detail17trampoline_kernelINS0_14default_configENS1_21merge_config_selectorINS0_5tupleIJddEEENS0_10empty_typeEEEZNS1_10merge_implIS3_NS0_12zip_iteratorINS5_IJN6thrust23THRUST_200600_302600_NS6detail15normal_iteratorINSC_10device_ptrIKdEEEESI_EEEEESK_NSA_INS5_IJNSC_16discard_iteratorINSC_11use_defaultEEESN_EEEEEPS7_SQ_SQ_NSC_11hip_rocprim7__merge17predicate_wrapperIddNSC_4lessIdEEEEEE10hipError_tPvRmT0_T1_T2_T3_T4_T5_mmT6_P12ihipStream_tbEUlT_E0_NS1_11comp_targetILNS1_3genE3ELNS1_11target_archE908ELNS1_3gpuE7ELNS1_3repE0EEENS1_30default_config_static_selectorELNS0_4arch9wavefront6targetE0EEEvS11_,"axG",@progbits,_ZN7rocprim17ROCPRIM_400000_NS6detail17trampoline_kernelINS0_14default_configENS1_21merge_config_selectorINS0_5tupleIJddEEENS0_10empty_typeEEEZNS1_10merge_implIS3_NS0_12zip_iteratorINS5_IJN6thrust23THRUST_200600_302600_NS6detail15normal_iteratorINSC_10device_ptrIKdEEEESI_EEEEESK_NSA_INS5_IJNSC_16discard_iteratorINSC_11use_defaultEEESN_EEEEEPS7_SQ_SQ_NSC_11hip_rocprim7__merge17predicate_wrapperIddNSC_4lessIdEEEEEE10hipError_tPvRmT0_T1_T2_T3_T4_T5_mmT6_P12ihipStream_tbEUlT_E0_NS1_11comp_targetILNS1_3genE3ELNS1_11target_archE908ELNS1_3gpuE7ELNS1_3repE0EEENS1_30default_config_static_selectorELNS0_4arch9wavefront6targetE0EEEvS11_,comdat
.Lfunc_end491:
	.size	_ZN7rocprim17ROCPRIM_400000_NS6detail17trampoline_kernelINS0_14default_configENS1_21merge_config_selectorINS0_5tupleIJddEEENS0_10empty_typeEEEZNS1_10merge_implIS3_NS0_12zip_iteratorINS5_IJN6thrust23THRUST_200600_302600_NS6detail15normal_iteratorINSC_10device_ptrIKdEEEESI_EEEEESK_NSA_INS5_IJNSC_16discard_iteratorINSC_11use_defaultEEESN_EEEEEPS7_SQ_SQ_NSC_11hip_rocprim7__merge17predicate_wrapperIddNSC_4lessIdEEEEEE10hipError_tPvRmT0_T1_T2_T3_T4_T5_mmT6_P12ihipStream_tbEUlT_E0_NS1_11comp_targetILNS1_3genE3ELNS1_11target_archE908ELNS1_3gpuE7ELNS1_3repE0EEENS1_30default_config_static_selectorELNS0_4arch9wavefront6targetE0EEEvS11_, .Lfunc_end491-_ZN7rocprim17ROCPRIM_400000_NS6detail17trampoline_kernelINS0_14default_configENS1_21merge_config_selectorINS0_5tupleIJddEEENS0_10empty_typeEEEZNS1_10merge_implIS3_NS0_12zip_iteratorINS5_IJN6thrust23THRUST_200600_302600_NS6detail15normal_iteratorINSC_10device_ptrIKdEEEESI_EEEEESK_NSA_INS5_IJNSC_16discard_iteratorINSC_11use_defaultEEESN_EEEEEPS7_SQ_SQ_NSC_11hip_rocprim7__merge17predicate_wrapperIddNSC_4lessIdEEEEEE10hipError_tPvRmT0_T1_T2_T3_T4_T5_mmT6_P12ihipStream_tbEUlT_E0_NS1_11comp_targetILNS1_3genE3ELNS1_11target_archE908ELNS1_3gpuE7ELNS1_3repE0EEENS1_30default_config_static_selectorELNS0_4arch9wavefront6targetE0EEEvS11_
                                        ; -- End function
	.set _ZN7rocprim17ROCPRIM_400000_NS6detail17trampoline_kernelINS0_14default_configENS1_21merge_config_selectorINS0_5tupleIJddEEENS0_10empty_typeEEEZNS1_10merge_implIS3_NS0_12zip_iteratorINS5_IJN6thrust23THRUST_200600_302600_NS6detail15normal_iteratorINSC_10device_ptrIKdEEEESI_EEEEESK_NSA_INS5_IJNSC_16discard_iteratorINSC_11use_defaultEEESN_EEEEEPS7_SQ_SQ_NSC_11hip_rocprim7__merge17predicate_wrapperIddNSC_4lessIdEEEEEE10hipError_tPvRmT0_T1_T2_T3_T4_T5_mmT6_P12ihipStream_tbEUlT_E0_NS1_11comp_targetILNS1_3genE3ELNS1_11target_archE908ELNS1_3gpuE7ELNS1_3repE0EEENS1_30default_config_static_selectorELNS0_4arch9wavefront6targetE0EEEvS11_.num_vgpr, 0
	.set _ZN7rocprim17ROCPRIM_400000_NS6detail17trampoline_kernelINS0_14default_configENS1_21merge_config_selectorINS0_5tupleIJddEEENS0_10empty_typeEEEZNS1_10merge_implIS3_NS0_12zip_iteratorINS5_IJN6thrust23THRUST_200600_302600_NS6detail15normal_iteratorINSC_10device_ptrIKdEEEESI_EEEEESK_NSA_INS5_IJNSC_16discard_iteratorINSC_11use_defaultEEESN_EEEEEPS7_SQ_SQ_NSC_11hip_rocprim7__merge17predicate_wrapperIddNSC_4lessIdEEEEEE10hipError_tPvRmT0_T1_T2_T3_T4_T5_mmT6_P12ihipStream_tbEUlT_E0_NS1_11comp_targetILNS1_3genE3ELNS1_11target_archE908ELNS1_3gpuE7ELNS1_3repE0EEENS1_30default_config_static_selectorELNS0_4arch9wavefront6targetE0EEEvS11_.num_agpr, 0
	.set _ZN7rocprim17ROCPRIM_400000_NS6detail17trampoline_kernelINS0_14default_configENS1_21merge_config_selectorINS0_5tupleIJddEEENS0_10empty_typeEEEZNS1_10merge_implIS3_NS0_12zip_iteratorINS5_IJN6thrust23THRUST_200600_302600_NS6detail15normal_iteratorINSC_10device_ptrIKdEEEESI_EEEEESK_NSA_INS5_IJNSC_16discard_iteratorINSC_11use_defaultEEESN_EEEEEPS7_SQ_SQ_NSC_11hip_rocprim7__merge17predicate_wrapperIddNSC_4lessIdEEEEEE10hipError_tPvRmT0_T1_T2_T3_T4_T5_mmT6_P12ihipStream_tbEUlT_E0_NS1_11comp_targetILNS1_3genE3ELNS1_11target_archE908ELNS1_3gpuE7ELNS1_3repE0EEENS1_30default_config_static_selectorELNS0_4arch9wavefront6targetE0EEEvS11_.numbered_sgpr, 0
	.set _ZN7rocprim17ROCPRIM_400000_NS6detail17trampoline_kernelINS0_14default_configENS1_21merge_config_selectorINS0_5tupleIJddEEENS0_10empty_typeEEEZNS1_10merge_implIS3_NS0_12zip_iteratorINS5_IJN6thrust23THRUST_200600_302600_NS6detail15normal_iteratorINSC_10device_ptrIKdEEEESI_EEEEESK_NSA_INS5_IJNSC_16discard_iteratorINSC_11use_defaultEEESN_EEEEEPS7_SQ_SQ_NSC_11hip_rocprim7__merge17predicate_wrapperIddNSC_4lessIdEEEEEE10hipError_tPvRmT0_T1_T2_T3_T4_T5_mmT6_P12ihipStream_tbEUlT_E0_NS1_11comp_targetILNS1_3genE3ELNS1_11target_archE908ELNS1_3gpuE7ELNS1_3repE0EEENS1_30default_config_static_selectorELNS0_4arch9wavefront6targetE0EEEvS11_.num_named_barrier, 0
	.set _ZN7rocprim17ROCPRIM_400000_NS6detail17trampoline_kernelINS0_14default_configENS1_21merge_config_selectorINS0_5tupleIJddEEENS0_10empty_typeEEEZNS1_10merge_implIS3_NS0_12zip_iteratorINS5_IJN6thrust23THRUST_200600_302600_NS6detail15normal_iteratorINSC_10device_ptrIKdEEEESI_EEEEESK_NSA_INS5_IJNSC_16discard_iteratorINSC_11use_defaultEEESN_EEEEEPS7_SQ_SQ_NSC_11hip_rocprim7__merge17predicate_wrapperIddNSC_4lessIdEEEEEE10hipError_tPvRmT0_T1_T2_T3_T4_T5_mmT6_P12ihipStream_tbEUlT_E0_NS1_11comp_targetILNS1_3genE3ELNS1_11target_archE908ELNS1_3gpuE7ELNS1_3repE0EEENS1_30default_config_static_selectorELNS0_4arch9wavefront6targetE0EEEvS11_.private_seg_size, 0
	.set _ZN7rocprim17ROCPRIM_400000_NS6detail17trampoline_kernelINS0_14default_configENS1_21merge_config_selectorINS0_5tupleIJddEEENS0_10empty_typeEEEZNS1_10merge_implIS3_NS0_12zip_iteratorINS5_IJN6thrust23THRUST_200600_302600_NS6detail15normal_iteratorINSC_10device_ptrIKdEEEESI_EEEEESK_NSA_INS5_IJNSC_16discard_iteratorINSC_11use_defaultEEESN_EEEEEPS7_SQ_SQ_NSC_11hip_rocprim7__merge17predicate_wrapperIddNSC_4lessIdEEEEEE10hipError_tPvRmT0_T1_T2_T3_T4_T5_mmT6_P12ihipStream_tbEUlT_E0_NS1_11comp_targetILNS1_3genE3ELNS1_11target_archE908ELNS1_3gpuE7ELNS1_3repE0EEENS1_30default_config_static_selectorELNS0_4arch9wavefront6targetE0EEEvS11_.uses_vcc, 0
	.set _ZN7rocprim17ROCPRIM_400000_NS6detail17trampoline_kernelINS0_14default_configENS1_21merge_config_selectorINS0_5tupleIJddEEENS0_10empty_typeEEEZNS1_10merge_implIS3_NS0_12zip_iteratorINS5_IJN6thrust23THRUST_200600_302600_NS6detail15normal_iteratorINSC_10device_ptrIKdEEEESI_EEEEESK_NSA_INS5_IJNSC_16discard_iteratorINSC_11use_defaultEEESN_EEEEEPS7_SQ_SQ_NSC_11hip_rocprim7__merge17predicate_wrapperIddNSC_4lessIdEEEEEE10hipError_tPvRmT0_T1_T2_T3_T4_T5_mmT6_P12ihipStream_tbEUlT_E0_NS1_11comp_targetILNS1_3genE3ELNS1_11target_archE908ELNS1_3gpuE7ELNS1_3repE0EEENS1_30default_config_static_selectorELNS0_4arch9wavefront6targetE0EEEvS11_.uses_flat_scratch, 0
	.set _ZN7rocprim17ROCPRIM_400000_NS6detail17trampoline_kernelINS0_14default_configENS1_21merge_config_selectorINS0_5tupleIJddEEENS0_10empty_typeEEEZNS1_10merge_implIS3_NS0_12zip_iteratorINS5_IJN6thrust23THRUST_200600_302600_NS6detail15normal_iteratorINSC_10device_ptrIKdEEEESI_EEEEESK_NSA_INS5_IJNSC_16discard_iteratorINSC_11use_defaultEEESN_EEEEEPS7_SQ_SQ_NSC_11hip_rocprim7__merge17predicate_wrapperIddNSC_4lessIdEEEEEE10hipError_tPvRmT0_T1_T2_T3_T4_T5_mmT6_P12ihipStream_tbEUlT_E0_NS1_11comp_targetILNS1_3genE3ELNS1_11target_archE908ELNS1_3gpuE7ELNS1_3repE0EEENS1_30default_config_static_selectorELNS0_4arch9wavefront6targetE0EEEvS11_.has_dyn_sized_stack, 0
	.set _ZN7rocprim17ROCPRIM_400000_NS6detail17trampoline_kernelINS0_14default_configENS1_21merge_config_selectorINS0_5tupleIJddEEENS0_10empty_typeEEEZNS1_10merge_implIS3_NS0_12zip_iteratorINS5_IJN6thrust23THRUST_200600_302600_NS6detail15normal_iteratorINSC_10device_ptrIKdEEEESI_EEEEESK_NSA_INS5_IJNSC_16discard_iteratorINSC_11use_defaultEEESN_EEEEEPS7_SQ_SQ_NSC_11hip_rocprim7__merge17predicate_wrapperIddNSC_4lessIdEEEEEE10hipError_tPvRmT0_T1_T2_T3_T4_T5_mmT6_P12ihipStream_tbEUlT_E0_NS1_11comp_targetILNS1_3genE3ELNS1_11target_archE908ELNS1_3gpuE7ELNS1_3repE0EEENS1_30default_config_static_selectorELNS0_4arch9wavefront6targetE0EEEvS11_.has_recursion, 0
	.set _ZN7rocprim17ROCPRIM_400000_NS6detail17trampoline_kernelINS0_14default_configENS1_21merge_config_selectorINS0_5tupleIJddEEENS0_10empty_typeEEEZNS1_10merge_implIS3_NS0_12zip_iteratorINS5_IJN6thrust23THRUST_200600_302600_NS6detail15normal_iteratorINSC_10device_ptrIKdEEEESI_EEEEESK_NSA_INS5_IJNSC_16discard_iteratorINSC_11use_defaultEEESN_EEEEEPS7_SQ_SQ_NSC_11hip_rocprim7__merge17predicate_wrapperIddNSC_4lessIdEEEEEE10hipError_tPvRmT0_T1_T2_T3_T4_T5_mmT6_P12ihipStream_tbEUlT_E0_NS1_11comp_targetILNS1_3genE3ELNS1_11target_archE908ELNS1_3gpuE7ELNS1_3repE0EEENS1_30default_config_static_selectorELNS0_4arch9wavefront6targetE0EEEvS11_.has_indirect_call, 0
	.section	.AMDGPU.csdata,"",@progbits
; Kernel info:
; codeLenInByte = 0
; TotalNumSgprs: 0
; NumVgprs: 0
; ScratchSize: 0
; MemoryBound: 0
; FloatMode: 240
; IeeeMode: 1
; LDSByteSize: 0 bytes/workgroup (compile time only)
; SGPRBlocks: 0
; VGPRBlocks: 0
; NumSGPRsForWavesPerEU: 1
; NumVGPRsForWavesPerEU: 1
; NamedBarCnt: 0
; Occupancy: 16
; WaveLimiterHint : 0
; COMPUTE_PGM_RSRC2:SCRATCH_EN: 0
; COMPUTE_PGM_RSRC2:USER_SGPR: 2
; COMPUTE_PGM_RSRC2:TRAP_HANDLER: 0
; COMPUTE_PGM_RSRC2:TGID_X_EN: 1
; COMPUTE_PGM_RSRC2:TGID_Y_EN: 0
; COMPUTE_PGM_RSRC2:TGID_Z_EN: 0
; COMPUTE_PGM_RSRC2:TIDIG_COMP_CNT: 0
	.section	.text._ZN7rocprim17ROCPRIM_400000_NS6detail17trampoline_kernelINS0_14default_configENS1_21merge_config_selectorINS0_5tupleIJddEEENS0_10empty_typeEEEZNS1_10merge_implIS3_NS0_12zip_iteratorINS5_IJN6thrust23THRUST_200600_302600_NS6detail15normal_iteratorINSC_10device_ptrIKdEEEESI_EEEEESK_NSA_INS5_IJNSC_16discard_iteratorINSC_11use_defaultEEESN_EEEEEPS7_SQ_SQ_NSC_11hip_rocprim7__merge17predicate_wrapperIddNSC_4lessIdEEEEEE10hipError_tPvRmT0_T1_T2_T3_T4_T5_mmT6_P12ihipStream_tbEUlT_E0_NS1_11comp_targetILNS1_3genE2ELNS1_11target_archE906ELNS1_3gpuE6ELNS1_3repE0EEENS1_30default_config_static_selectorELNS0_4arch9wavefront6targetE0EEEvS11_,"axG",@progbits,_ZN7rocprim17ROCPRIM_400000_NS6detail17trampoline_kernelINS0_14default_configENS1_21merge_config_selectorINS0_5tupleIJddEEENS0_10empty_typeEEEZNS1_10merge_implIS3_NS0_12zip_iteratorINS5_IJN6thrust23THRUST_200600_302600_NS6detail15normal_iteratorINSC_10device_ptrIKdEEEESI_EEEEESK_NSA_INS5_IJNSC_16discard_iteratorINSC_11use_defaultEEESN_EEEEEPS7_SQ_SQ_NSC_11hip_rocprim7__merge17predicate_wrapperIddNSC_4lessIdEEEEEE10hipError_tPvRmT0_T1_T2_T3_T4_T5_mmT6_P12ihipStream_tbEUlT_E0_NS1_11comp_targetILNS1_3genE2ELNS1_11target_archE906ELNS1_3gpuE6ELNS1_3repE0EEENS1_30default_config_static_selectorELNS0_4arch9wavefront6targetE0EEEvS11_,comdat
	.protected	_ZN7rocprim17ROCPRIM_400000_NS6detail17trampoline_kernelINS0_14default_configENS1_21merge_config_selectorINS0_5tupleIJddEEENS0_10empty_typeEEEZNS1_10merge_implIS3_NS0_12zip_iteratorINS5_IJN6thrust23THRUST_200600_302600_NS6detail15normal_iteratorINSC_10device_ptrIKdEEEESI_EEEEESK_NSA_INS5_IJNSC_16discard_iteratorINSC_11use_defaultEEESN_EEEEEPS7_SQ_SQ_NSC_11hip_rocprim7__merge17predicate_wrapperIddNSC_4lessIdEEEEEE10hipError_tPvRmT0_T1_T2_T3_T4_T5_mmT6_P12ihipStream_tbEUlT_E0_NS1_11comp_targetILNS1_3genE2ELNS1_11target_archE906ELNS1_3gpuE6ELNS1_3repE0EEENS1_30default_config_static_selectorELNS0_4arch9wavefront6targetE0EEEvS11_ ; -- Begin function _ZN7rocprim17ROCPRIM_400000_NS6detail17trampoline_kernelINS0_14default_configENS1_21merge_config_selectorINS0_5tupleIJddEEENS0_10empty_typeEEEZNS1_10merge_implIS3_NS0_12zip_iteratorINS5_IJN6thrust23THRUST_200600_302600_NS6detail15normal_iteratorINSC_10device_ptrIKdEEEESI_EEEEESK_NSA_INS5_IJNSC_16discard_iteratorINSC_11use_defaultEEESN_EEEEEPS7_SQ_SQ_NSC_11hip_rocprim7__merge17predicate_wrapperIddNSC_4lessIdEEEEEE10hipError_tPvRmT0_T1_T2_T3_T4_T5_mmT6_P12ihipStream_tbEUlT_E0_NS1_11comp_targetILNS1_3genE2ELNS1_11target_archE906ELNS1_3gpuE6ELNS1_3repE0EEENS1_30default_config_static_selectorELNS0_4arch9wavefront6targetE0EEEvS11_
	.globl	_ZN7rocprim17ROCPRIM_400000_NS6detail17trampoline_kernelINS0_14default_configENS1_21merge_config_selectorINS0_5tupleIJddEEENS0_10empty_typeEEEZNS1_10merge_implIS3_NS0_12zip_iteratorINS5_IJN6thrust23THRUST_200600_302600_NS6detail15normal_iteratorINSC_10device_ptrIKdEEEESI_EEEEESK_NSA_INS5_IJNSC_16discard_iteratorINSC_11use_defaultEEESN_EEEEEPS7_SQ_SQ_NSC_11hip_rocprim7__merge17predicate_wrapperIddNSC_4lessIdEEEEEE10hipError_tPvRmT0_T1_T2_T3_T4_T5_mmT6_P12ihipStream_tbEUlT_E0_NS1_11comp_targetILNS1_3genE2ELNS1_11target_archE906ELNS1_3gpuE6ELNS1_3repE0EEENS1_30default_config_static_selectorELNS0_4arch9wavefront6targetE0EEEvS11_
	.p2align	8
	.type	_ZN7rocprim17ROCPRIM_400000_NS6detail17trampoline_kernelINS0_14default_configENS1_21merge_config_selectorINS0_5tupleIJddEEENS0_10empty_typeEEEZNS1_10merge_implIS3_NS0_12zip_iteratorINS5_IJN6thrust23THRUST_200600_302600_NS6detail15normal_iteratorINSC_10device_ptrIKdEEEESI_EEEEESK_NSA_INS5_IJNSC_16discard_iteratorINSC_11use_defaultEEESN_EEEEEPS7_SQ_SQ_NSC_11hip_rocprim7__merge17predicate_wrapperIddNSC_4lessIdEEEEEE10hipError_tPvRmT0_T1_T2_T3_T4_T5_mmT6_P12ihipStream_tbEUlT_E0_NS1_11comp_targetILNS1_3genE2ELNS1_11target_archE906ELNS1_3gpuE6ELNS1_3repE0EEENS1_30default_config_static_selectorELNS0_4arch9wavefront6targetE0EEEvS11_,@function
_ZN7rocprim17ROCPRIM_400000_NS6detail17trampoline_kernelINS0_14default_configENS1_21merge_config_selectorINS0_5tupleIJddEEENS0_10empty_typeEEEZNS1_10merge_implIS3_NS0_12zip_iteratorINS5_IJN6thrust23THRUST_200600_302600_NS6detail15normal_iteratorINSC_10device_ptrIKdEEEESI_EEEEESK_NSA_INS5_IJNSC_16discard_iteratorINSC_11use_defaultEEESN_EEEEEPS7_SQ_SQ_NSC_11hip_rocprim7__merge17predicate_wrapperIddNSC_4lessIdEEEEEE10hipError_tPvRmT0_T1_T2_T3_T4_T5_mmT6_P12ihipStream_tbEUlT_E0_NS1_11comp_targetILNS1_3genE2ELNS1_11target_archE906ELNS1_3gpuE6ELNS1_3repE0EEENS1_30default_config_static_selectorELNS0_4arch9wavefront6targetE0EEEvS11_: ; @_ZN7rocprim17ROCPRIM_400000_NS6detail17trampoline_kernelINS0_14default_configENS1_21merge_config_selectorINS0_5tupleIJddEEENS0_10empty_typeEEEZNS1_10merge_implIS3_NS0_12zip_iteratorINS5_IJN6thrust23THRUST_200600_302600_NS6detail15normal_iteratorINSC_10device_ptrIKdEEEESI_EEEEESK_NSA_INS5_IJNSC_16discard_iteratorINSC_11use_defaultEEESN_EEEEEPS7_SQ_SQ_NSC_11hip_rocprim7__merge17predicate_wrapperIddNSC_4lessIdEEEEEE10hipError_tPvRmT0_T1_T2_T3_T4_T5_mmT6_P12ihipStream_tbEUlT_E0_NS1_11comp_targetILNS1_3genE2ELNS1_11target_archE906ELNS1_3gpuE6ELNS1_3repE0EEENS1_30default_config_static_selectorELNS0_4arch9wavefront6targetE0EEEvS11_
; %bb.0:
	.section	.rodata,"a",@progbits
	.p2align	6, 0x0
	.amdhsa_kernel _ZN7rocprim17ROCPRIM_400000_NS6detail17trampoline_kernelINS0_14default_configENS1_21merge_config_selectorINS0_5tupleIJddEEENS0_10empty_typeEEEZNS1_10merge_implIS3_NS0_12zip_iteratorINS5_IJN6thrust23THRUST_200600_302600_NS6detail15normal_iteratorINSC_10device_ptrIKdEEEESI_EEEEESK_NSA_INS5_IJNSC_16discard_iteratorINSC_11use_defaultEEESN_EEEEEPS7_SQ_SQ_NSC_11hip_rocprim7__merge17predicate_wrapperIddNSC_4lessIdEEEEEE10hipError_tPvRmT0_T1_T2_T3_T4_T5_mmT6_P12ihipStream_tbEUlT_E0_NS1_11comp_targetILNS1_3genE2ELNS1_11target_archE906ELNS1_3gpuE6ELNS1_3repE0EEENS1_30default_config_static_selectorELNS0_4arch9wavefront6targetE0EEEvS11_
		.amdhsa_group_segment_fixed_size 0
		.amdhsa_private_segment_fixed_size 0
		.amdhsa_kernarg_size 128
		.amdhsa_user_sgpr_count 2
		.amdhsa_user_sgpr_dispatch_ptr 0
		.amdhsa_user_sgpr_queue_ptr 0
		.amdhsa_user_sgpr_kernarg_segment_ptr 1
		.amdhsa_user_sgpr_dispatch_id 0
		.amdhsa_user_sgpr_kernarg_preload_length 0
		.amdhsa_user_sgpr_kernarg_preload_offset 0
		.amdhsa_user_sgpr_private_segment_size 0
		.amdhsa_wavefront_size32 1
		.amdhsa_uses_dynamic_stack 0
		.amdhsa_enable_private_segment 0
		.amdhsa_system_sgpr_workgroup_id_x 1
		.amdhsa_system_sgpr_workgroup_id_y 0
		.amdhsa_system_sgpr_workgroup_id_z 0
		.amdhsa_system_sgpr_workgroup_info 0
		.amdhsa_system_vgpr_workitem_id 0
		.amdhsa_next_free_vgpr 1
		.amdhsa_next_free_sgpr 1
		.amdhsa_named_barrier_count 0
		.amdhsa_reserve_vcc 0
		.amdhsa_float_round_mode_32 0
		.amdhsa_float_round_mode_16_64 0
		.amdhsa_float_denorm_mode_32 3
		.amdhsa_float_denorm_mode_16_64 3
		.amdhsa_fp16_overflow 0
		.amdhsa_memory_ordered 1
		.amdhsa_forward_progress 1
		.amdhsa_inst_pref_size 0
		.amdhsa_round_robin_scheduling 0
		.amdhsa_exception_fp_ieee_invalid_op 0
		.amdhsa_exception_fp_denorm_src 0
		.amdhsa_exception_fp_ieee_div_zero 0
		.amdhsa_exception_fp_ieee_overflow 0
		.amdhsa_exception_fp_ieee_underflow 0
		.amdhsa_exception_fp_ieee_inexact 0
		.amdhsa_exception_int_div_zero 0
	.end_amdhsa_kernel
	.section	.text._ZN7rocprim17ROCPRIM_400000_NS6detail17trampoline_kernelINS0_14default_configENS1_21merge_config_selectorINS0_5tupleIJddEEENS0_10empty_typeEEEZNS1_10merge_implIS3_NS0_12zip_iteratorINS5_IJN6thrust23THRUST_200600_302600_NS6detail15normal_iteratorINSC_10device_ptrIKdEEEESI_EEEEESK_NSA_INS5_IJNSC_16discard_iteratorINSC_11use_defaultEEESN_EEEEEPS7_SQ_SQ_NSC_11hip_rocprim7__merge17predicate_wrapperIddNSC_4lessIdEEEEEE10hipError_tPvRmT0_T1_T2_T3_T4_T5_mmT6_P12ihipStream_tbEUlT_E0_NS1_11comp_targetILNS1_3genE2ELNS1_11target_archE906ELNS1_3gpuE6ELNS1_3repE0EEENS1_30default_config_static_selectorELNS0_4arch9wavefront6targetE0EEEvS11_,"axG",@progbits,_ZN7rocprim17ROCPRIM_400000_NS6detail17trampoline_kernelINS0_14default_configENS1_21merge_config_selectorINS0_5tupleIJddEEENS0_10empty_typeEEEZNS1_10merge_implIS3_NS0_12zip_iteratorINS5_IJN6thrust23THRUST_200600_302600_NS6detail15normal_iteratorINSC_10device_ptrIKdEEEESI_EEEEESK_NSA_INS5_IJNSC_16discard_iteratorINSC_11use_defaultEEESN_EEEEEPS7_SQ_SQ_NSC_11hip_rocprim7__merge17predicate_wrapperIddNSC_4lessIdEEEEEE10hipError_tPvRmT0_T1_T2_T3_T4_T5_mmT6_P12ihipStream_tbEUlT_E0_NS1_11comp_targetILNS1_3genE2ELNS1_11target_archE906ELNS1_3gpuE6ELNS1_3repE0EEENS1_30default_config_static_selectorELNS0_4arch9wavefront6targetE0EEEvS11_,comdat
.Lfunc_end492:
	.size	_ZN7rocprim17ROCPRIM_400000_NS6detail17trampoline_kernelINS0_14default_configENS1_21merge_config_selectorINS0_5tupleIJddEEENS0_10empty_typeEEEZNS1_10merge_implIS3_NS0_12zip_iteratorINS5_IJN6thrust23THRUST_200600_302600_NS6detail15normal_iteratorINSC_10device_ptrIKdEEEESI_EEEEESK_NSA_INS5_IJNSC_16discard_iteratorINSC_11use_defaultEEESN_EEEEEPS7_SQ_SQ_NSC_11hip_rocprim7__merge17predicate_wrapperIddNSC_4lessIdEEEEEE10hipError_tPvRmT0_T1_T2_T3_T4_T5_mmT6_P12ihipStream_tbEUlT_E0_NS1_11comp_targetILNS1_3genE2ELNS1_11target_archE906ELNS1_3gpuE6ELNS1_3repE0EEENS1_30default_config_static_selectorELNS0_4arch9wavefront6targetE0EEEvS11_, .Lfunc_end492-_ZN7rocprim17ROCPRIM_400000_NS6detail17trampoline_kernelINS0_14default_configENS1_21merge_config_selectorINS0_5tupleIJddEEENS0_10empty_typeEEEZNS1_10merge_implIS3_NS0_12zip_iteratorINS5_IJN6thrust23THRUST_200600_302600_NS6detail15normal_iteratorINSC_10device_ptrIKdEEEESI_EEEEESK_NSA_INS5_IJNSC_16discard_iteratorINSC_11use_defaultEEESN_EEEEEPS7_SQ_SQ_NSC_11hip_rocprim7__merge17predicate_wrapperIddNSC_4lessIdEEEEEE10hipError_tPvRmT0_T1_T2_T3_T4_T5_mmT6_P12ihipStream_tbEUlT_E0_NS1_11comp_targetILNS1_3genE2ELNS1_11target_archE906ELNS1_3gpuE6ELNS1_3repE0EEENS1_30default_config_static_selectorELNS0_4arch9wavefront6targetE0EEEvS11_
                                        ; -- End function
	.set _ZN7rocprim17ROCPRIM_400000_NS6detail17trampoline_kernelINS0_14default_configENS1_21merge_config_selectorINS0_5tupleIJddEEENS0_10empty_typeEEEZNS1_10merge_implIS3_NS0_12zip_iteratorINS5_IJN6thrust23THRUST_200600_302600_NS6detail15normal_iteratorINSC_10device_ptrIKdEEEESI_EEEEESK_NSA_INS5_IJNSC_16discard_iteratorINSC_11use_defaultEEESN_EEEEEPS7_SQ_SQ_NSC_11hip_rocprim7__merge17predicate_wrapperIddNSC_4lessIdEEEEEE10hipError_tPvRmT0_T1_T2_T3_T4_T5_mmT6_P12ihipStream_tbEUlT_E0_NS1_11comp_targetILNS1_3genE2ELNS1_11target_archE906ELNS1_3gpuE6ELNS1_3repE0EEENS1_30default_config_static_selectorELNS0_4arch9wavefront6targetE0EEEvS11_.num_vgpr, 0
	.set _ZN7rocprim17ROCPRIM_400000_NS6detail17trampoline_kernelINS0_14default_configENS1_21merge_config_selectorINS0_5tupleIJddEEENS0_10empty_typeEEEZNS1_10merge_implIS3_NS0_12zip_iteratorINS5_IJN6thrust23THRUST_200600_302600_NS6detail15normal_iteratorINSC_10device_ptrIKdEEEESI_EEEEESK_NSA_INS5_IJNSC_16discard_iteratorINSC_11use_defaultEEESN_EEEEEPS7_SQ_SQ_NSC_11hip_rocprim7__merge17predicate_wrapperIddNSC_4lessIdEEEEEE10hipError_tPvRmT0_T1_T2_T3_T4_T5_mmT6_P12ihipStream_tbEUlT_E0_NS1_11comp_targetILNS1_3genE2ELNS1_11target_archE906ELNS1_3gpuE6ELNS1_3repE0EEENS1_30default_config_static_selectorELNS0_4arch9wavefront6targetE0EEEvS11_.num_agpr, 0
	.set _ZN7rocprim17ROCPRIM_400000_NS6detail17trampoline_kernelINS0_14default_configENS1_21merge_config_selectorINS0_5tupleIJddEEENS0_10empty_typeEEEZNS1_10merge_implIS3_NS0_12zip_iteratorINS5_IJN6thrust23THRUST_200600_302600_NS6detail15normal_iteratorINSC_10device_ptrIKdEEEESI_EEEEESK_NSA_INS5_IJNSC_16discard_iteratorINSC_11use_defaultEEESN_EEEEEPS7_SQ_SQ_NSC_11hip_rocprim7__merge17predicate_wrapperIddNSC_4lessIdEEEEEE10hipError_tPvRmT0_T1_T2_T3_T4_T5_mmT6_P12ihipStream_tbEUlT_E0_NS1_11comp_targetILNS1_3genE2ELNS1_11target_archE906ELNS1_3gpuE6ELNS1_3repE0EEENS1_30default_config_static_selectorELNS0_4arch9wavefront6targetE0EEEvS11_.numbered_sgpr, 0
	.set _ZN7rocprim17ROCPRIM_400000_NS6detail17trampoline_kernelINS0_14default_configENS1_21merge_config_selectorINS0_5tupleIJddEEENS0_10empty_typeEEEZNS1_10merge_implIS3_NS0_12zip_iteratorINS5_IJN6thrust23THRUST_200600_302600_NS6detail15normal_iteratorINSC_10device_ptrIKdEEEESI_EEEEESK_NSA_INS5_IJNSC_16discard_iteratorINSC_11use_defaultEEESN_EEEEEPS7_SQ_SQ_NSC_11hip_rocprim7__merge17predicate_wrapperIddNSC_4lessIdEEEEEE10hipError_tPvRmT0_T1_T2_T3_T4_T5_mmT6_P12ihipStream_tbEUlT_E0_NS1_11comp_targetILNS1_3genE2ELNS1_11target_archE906ELNS1_3gpuE6ELNS1_3repE0EEENS1_30default_config_static_selectorELNS0_4arch9wavefront6targetE0EEEvS11_.num_named_barrier, 0
	.set _ZN7rocprim17ROCPRIM_400000_NS6detail17trampoline_kernelINS0_14default_configENS1_21merge_config_selectorINS0_5tupleIJddEEENS0_10empty_typeEEEZNS1_10merge_implIS3_NS0_12zip_iteratorINS5_IJN6thrust23THRUST_200600_302600_NS6detail15normal_iteratorINSC_10device_ptrIKdEEEESI_EEEEESK_NSA_INS5_IJNSC_16discard_iteratorINSC_11use_defaultEEESN_EEEEEPS7_SQ_SQ_NSC_11hip_rocprim7__merge17predicate_wrapperIddNSC_4lessIdEEEEEE10hipError_tPvRmT0_T1_T2_T3_T4_T5_mmT6_P12ihipStream_tbEUlT_E0_NS1_11comp_targetILNS1_3genE2ELNS1_11target_archE906ELNS1_3gpuE6ELNS1_3repE0EEENS1_30default_config_static_selectorELNS0_4arch9wavefront6targetE0EEEvS11_.private_seg_size, 0
	.set _ZN7rocprim17ROCPRIM_400000_NS6detail17trampoline_kernelINS0_14default_configENS1_21merge_config_selectorINS0_5tupleIJddEEENS0_10empty_typeEEEZNS1_10merge_implIS3_NS0_12zip_iteratorINS5_IJN6thrust23THRUST_200600_302600_NS6detail15normal_iteratorINSC_10device_ptrIKdEEEESI_EEEEESK_NSA_INS5_IJNSC_16discard_iteratorINSC_11use_defaultEEESN_EEEEEPS7_SQ_SQ_NSC_11hip_rocprim7__merge17predicate_wrapperIddNSC_4lessIdEEEEEE10hipError_tPvRmT0_T1_T2_T3_T4_T5_mmT6_P12ihipStream_tbEUlT_E0_NS1_11comp_targetILNS1_3genE2ELNS1_11target_archE906ELNS1_3gpuE6ELNS1_3repE0EEENS1_30default_config_static_selectorELNS0_4arch9wavefront6targetE0EEEvS11_.uses_vcc, 0
	.set _ZN7rocprim17ROCPRIM_400000_NS6detail17trampoline_kernelINS0_14default_configENS1_21merge_config_selectorINS0_5tupleIJddEEENS0_10empty_typeEEEZNS1_10merge_implIS3_NS0_12zip_iteratorINS5_IJN6thrust23THRUST_200600_302600_NS6detail15normal_iteratorINSC_10device_ptrIKdEEEESI_EEEEESK_NSA_INS5_IJNSC_16discard_iteratorINSC_11use_defaultEEESN_EEEEEPS7_SQ_SQ_NSC_11hip_rocprim7__merge17predicate_wrapperIddNSC_4lessIdEEEEEE10hipError_tPvRmT0_T1_T2_T3_T4_T5_mmT6_P12ihipStream_tbEUlT_E0_NS1_11comp_targetILNS1_3genE2ELNS1_11target_archE906ELNS1_3gpuE6ELNS1_3repE0EEENS1_30default_config_static_selectorELNS0_4arch9wavefront6targetE0EEEvS11_.uses_flat_scratch, 0
	.set _ZN7rocprim17ROCPRIM_400000_NS6detail17trampoline_kernelINS0_14default_configENS1_21merge_config_selectorINS0_5tupleIJddEEENS0_10empty_typeEEEZNS1_10merge_implIS3_NS0_12zip_iteratorINS5_IJN6thrust23THRUST_200600_302600_NS6detail15normal_iteratorINSC_10device_ptrIKdEEEESI_EEEEESK_NSA_INS5_IJNSC_16discard_iteratorINSC_11use_defaultEEESN_EEEEEPS7_SQ_SQ_NSC_11hip_rocprim7__merge17predicate_wrapperIddNSC_4lessIdEEEEEE10hipError_tPvRmT0_T1_T2_T3_T4_T5_mmT6_P12ihipStream_tbEUlT_E0_NS1_11comp_targetILNS1_3genE2ELNS1_11target_archE906ELNS1_3gpuE6ELNS1_3repE0EEENS1_30default_config_static_selectorELNS0_4arch9wavefront6targetE0EEEvS11_.has_dyn_sized_stack, 0
	.set _ZN7rocprim17ROCPRIM_400000_NS6detail17trampoline_kernelINS0_14default_configENS1_21merge_config_selectorINS0_5tupleIJddEEENS0_10empty_typeEEEZNS1_10merge_implIS3_NS0_12zip_iteratorINS5_IJN6thrust23THRUST_200600_302600_NS6detail15normal_iteratorINSC_10device_ptrIKdEEEESI_EEEEESK_NSA_INS5_IJNSC_16discard_iteratorINSC_11use_defaultEEESN_EEEEEPS7_SQ_SQ_NSC_11hip_rocprim7__merge17predicate_wrapperIddNSC_4lessIdEEEEEE10hipError_tPvRmT0_T1_T2_T3_T4_T5_mmT6_P12ihipStream_tbEUlT_E0_NS1_11comp_targetILNS1_3genE2ELNS1_11target_archE906ELNS1_3gpuE6ELNS1_3repE0EEENS1_30default_config_static_selectorELNS0_4arch9wavefront6targetE0EEEvS11_.has_recursion, 0
	.set _ZN7rocprim17ROCPRIM_400000_NS6detail17trampoline_kernelINS0_14default_configENS1_21merge_config_selectorINS0_5tupleIJddEEENS0_10empty_typeEEEZNS1_10merge_implIS3_NS0_12zip_iteratorINS5_IJN6thrust23THRUST_200600_302600_NS6detail15normal_iteratorINSC_10device_ptrIKdEEEESI_EEEEESK_NSA_INS5_IJNSC_16discard_iteratorINSC_11use_defaultEEESN_EEEEEPS7_SQ_SQ_NSC_11hip_rocprim7__merge17predicate_wrapperIddNSC_4lessIdEEEEEE10hipError_tPvRmT0_T1_T2_T3_T4_T5_mmT6_P12ihipStream_tbEUlT_E0_NS1_11comp_targetILNS1_3genE2ELNS1_11target_archE906ELNS1_3gpuE6ELNS1_3repE0EEENS1_30default_config_static_selectorELNS0_4arch9wavefront6targetE0EEEvS11_.has_indirect_call, 0
	.section	.AMDGPU.csdata,"",@progbits
; Kernel info:
; codeLenInByte = 0
; TotalNumSgprs: 0
; NumVgprs: 0
; ScratchSize: 0
; MemoryBound: 0
; FloatMode: 240
; IeeeMode: 1
; LDSByteSize: 0 bytes/workgroup (compile time only)
; SGPRBlocks: 0
; VGPRBlocks: 0
; NumSGPRsForWavesPerEU: 1
; NumVGPRsForWavesPerEU: 1
; NamedBarCnt: 0
; Occupancy: 16
; WaveLimiterHint : 0
; COMPUTE_PGM_RSRC2:SCRATCH_EN: 0
; COMPUTE_PGM_RSRC2:USER_SGPR: 2
; COMPUTE_PGM_RSRC2:TRAP_HANDLER: 0
; COMPUTE_PGM_RSRC2:TGID_X_EN: 1
; COMPUTE_PGM_RSRC2:TGID_Y_EN: 0
; COMPUTE_PGM_RSRC2:TGID_Z_EN: 0
; COMPUTE_PGM_RSRC2:TIDIG_COMP_CNT: 0
	.section	.text._ZN7rocprim17ROCPRIM_400000_NS6detail17trampoline_kernelINS0_14default_configENS1_21merge_config_selectorINS0_5tupleIJddEEENS0_10empty_typeEEEZNS1_10merge_implIS3_NS0_12zip_iteratorINS5_IJN6thrust23THRUST_200600_302600_NS6detail15normal_iteratorINSC_10device_ptrIKdEEEESI_EEEEESK_NSA_INS5_IJNSC_16discard_iteratorINSC_11use_defaultEEESN_EEEEEPS7_SQ_SQ_NSC_11hip_rocprim7__merge17predicate_wrapperIddNSC_4lessIdEEEEEE10hipError_tPvRmT0_T1_T2_T3_T4_T5_mmT6_P12ihipStream_tbEUlT_E0_NS1_11comp_targetILNS1_3genE10ELNS1_11target_archE1201ELNS1_3gpuE5ELNS1_3repE0EEENS1_30default_config_static_selectorELNS0_4arch9wavefront6targetE0EEEvS11_,"axG",@progbits,_ZN7rocprim17ROCPRIM_400000_NS6detail17trampoline_kernelINS0_14default_configENS1_21merge_config_selectorINS0_5tupleIJddEEENS0_10empty_typeEEEZNS1_10merge_implIS3_NS0_12zip_iteratorINS5_IJN6thrust23THRUST_200600_302600_NS6detail15normal_iteratorINSC_10device_ptrIKdEEEESI_EEEEESK_NSA_INS5_IJNSC_16discard_iteratorINSC_11use_defaultEEESN_EEEEEPS7_SQ_SQ_NSC_11hip_rocprim7__merge17predicate_wrapperIddNSC_4lessIdEEEEEE10hipError_tPvRmT0_T1_T2_T3_T4_T5_mmT6_P12ihipStream_tbEUlT_E0_NS1_11comp_targetILNS1_3genE10ELNS1_11target_archE1201ELNS1_3gpuE5ELNS1_3repE0EEENS1_30default_config_static_selectorELNS0_4arch9wavefront6targetE0EEEvS11_,comdat
	.protected	_ZN7rocprim17ROCPRIM_400000_NS6detail17trampoline_kernelINS0_14default_configENS1_21merge_config_selectorINS0_5tupleIJddEEENS0_10empty_typeEEEZNS1_10merge_implIS3_NS0_12zip_iteratorINS5_IJN6thrust23THRUST_200600_302600_NS6detail15normal_iteratorINSC_10device_ptrIKdEEEESI_EEEEESK_NSA_INS5_IJNSC_16discard_iteratorINSC_11use_defaultEEESN_EEEEEPS7_SQ_SQ_NSC_11hip_rocprim7__merge17predicate_wrapperIddNSC_4lessIdEEEEEE10hipError_tPvRmT0_T1_T2_T3_T4_T5_mmT6_P12ihipStream_tbEUlT_E0_NS1_11comp_targetILNS1_3genE10ELNS1_11target_archE1201ELNS1_3gpuE5ELNS1_3repE0EEENS1_30default_config_static_selectorELNS0_4arch9wavefront6targetE0EEEvS11_ ; -- Begin function _ZN7rocprim17ROCPRIM_400000_NS6detail17trampoline_kernelINS0_14default_configENS1_21merge_config_selectorINS0_5tupleIJddEEENS0_10empty_typeEEEZNS1_10merge_implIS3_NS0_12zip_iteratorINS5_IJN6thrust23THRUST_200600_302600_NS6detail15normal_iteratorINSC_10device_ptrIKdEEEESI_EEEEESK_NSA_INS5_IJNSC_16discard_iteratorINSC_11use_defaultEEESN_EEEEEPS7_SQ_SQ_NSC_11hip_rocprim7__merge17predicate_wrapperIddNSC_4lessIdEEEEEE10hipError_tPvRmT0_T1_T2_T3_T4_T5_mmT6_P12ihipStream_tbEUlT_E0_NS1_11comp_targetILNS1_3genE10ELNS1_11target_archE1201ELNS1_3gpuE5ELNS1_3repE0EEENS1_30default_config_static_selectorELNS0_4arch9wavefront6targetE0EEEvS11_
	.globl	_ZN7rocprim17ROCPRIM_400000_NS6detail17trampoline_kernelINS0_14default_configENS1_21merge_config_selectorINS0_5tupleIJddEEENS0_10empty_typeEEEZNS1_10merge_implIS3_NS0_12zip_iteratorINS5_IJN6thrust23THRUST_200600_302600_NS6detail15normal_iteratorINSC_10device_ptrIKdEEEESI_EEEEESK_NSA_INS5_IJNSC_16discard_iteratorINSC_11use_defaultEEESN_EEEEEPS7_SQ_SQ_NSC_11hip_rocprim7__merge17predicate_wrapperIddNSC_4lessIdEEEEEE10hipError_tPvRmT0_T1_T2_T3_T4_T5_mmT6_P12ihipStream_tbEUlT_E0_NS1_11comp_targetILNS1_3genE10ELNS1_11target_archE1201ELNS1_3gpuE5ELNS1_3repE0EEENS1_30default_config_static_selectorELNS0_4arch9wavefront6targetE0EEEvS11_
	.p2align	8
	.type	_ZN7rocprim17ROCPRIM_400000_NS6detail17trampoline_kernelINS0_14default_configENS1_21merge_config_selectorINS0_5tupleIJddEEENS0_10empty_typeEEEZNS1_10merge_implIS3_NS0_12zip_iteratorINS5_IJN6thrust23THRUST_200600_302600_NS6detail15normal_iteratorINSC_10device_ptrIKdEEEESI_EEEEESK_NSA_INS5_IJNSC_16discard_iteratorINSC_11use_defaultEEESN_EEEEEPS7_SQ_SQ_NSC_11hip_rocprim7__merge17predicate_wrapperIddNSC_4lessIdEEEEEE10hipError_tPvRmT0_T1_T2_T3_T4_T5_mmT6_P12ihipStream_tbEUlT_E0_NS1_11comp_targetILNS1_3genE10ELNS1_11target_archE1201ELNS1_3gpuE5ELNS1_3repE0EEENS1_30default_config_static_selectorELNS0_4arch9wavefront6targetE0EEEvS11_,@function
_ZN7rocprim17ROCPRIM_400000_NS6detail17trampoline_kernelINS0_14default_configENS1_21merge_config_selectorINS0_5tupleIJddEEENS0_10empty_typeEEEZNS1_10merge_implIS3_NS0_12zip_iteratorINS5_IJN6thrust23THRUST_200600_302600_NS6detail15normal_iteratorINSC_10device_ptrIKdEEEESI_EEEEESK_NSA_INS5_IJNSC_16discard_iteratorINSC_11use_defaultEEESN_EEEEEPS7_SQ_SQ_NSC_11hip_rocprim7__merge17predicate_wrapperIddNSC_4lessIdEEEEEE10hipError_tPvRmT0_T1_T2_T3_T4_T5_mmT6_P12ihipStream_tbEUlT_E0_NS1_11comp_targetILNS1_3genE10ELNS1_11target_archE1201ELNS1_3gpuE5ELNS1_3repE0EEENS1_30default_config_static_selectorELNS0_4arch9wavefront6targetE0EEEvS11_: ; @_ZN7rocprim17ROCPRIM_400000_NS6detail17trampoline_kernelINS0_14default_configENS1_21merge_config_selectorINS0_5tupleIJddEEENS0_10empty_typeEEEZNS1_10merge_implIS3_NS0_12zip_iteratorINS5_IJN6thrust23THRUST_200600_302600_NS6detail15normal_iteratorINSC_10device_ptrIKdEEEESI_EEEEESK_NSA_INS5_IJNSC_16discard_iteratorINSC_11use_defaultEEESN_EEEEEPS7_SQ_SQ_NSC_11hip_rocprim7__merge17predicate_wrapperIddNSC_4lessIdEEEEEE10hipError_tPvRmT0_T1_T2_T3_T4_T5_mmT6_P12ihipStream_tbEUlT_E0_NS1_11comp_targetILNS1_3genE10ELNS1_11target_archE1201ELNS1_3gpuE5ELNS1_3repE0EEENS1_30default_config_static_selectorELNS0_4arch9wavefront6targetE0EEEvS11_
; %bb.0:
	.section	.rodata,"a",@progbits
	.p2align	6, 0x0
	.amdhsa_kernel _ZN7rocprim17ROCPRIM_400000_NS6detail17trampoline_kernelINS0_14default_configENS1_21merge_config_selectorINS0_5tupleIJddEEENS0_10empty_typeEEEZNS1_10merge_implIS3_NS0_12zip_iteratorINS5_IJN6thrust23THRUST_200600_302600_NS6detail15normal_iteratorINSC_10device_ptrIKdEEEESI_EEEEESK_NSA_INS5_IJNSC_16discard_iteratorINSC_11use_defaultEEESN_EEEEEPS7_SQ_SQ_NSC_11hip_rocprim7__merge17predicate_wrapperIddNSC_4lessIdEEEEEE10hipError_tPvRmT0_T1_T2_T3_T4_T5_mmT6_P12ihipStream_tbEUlT_E0_NS1_11comp_targetILNS1_3genE10ELNS1_11target_archE1201ELNS1_3gpuE5ELNS1_3repE0EEENS1_30default_config_static_selectorELNS0_4arch9wavefront6targetE0EEEvS11_
		.amdhsa_group_segment_fixed_size 0
		.amdhsa_private_segment_fixed_size 0
		.amdhsa_kernarg_size 128
		.amdhsa_user_sgpr_count 2
		.amdhsa_user_sgpr_dispatch_ptr 0
		.amdhsa_user_sgpr_queue_ptr 0
		.amdhsa_user_sgpr_kernarg_segment_ptr 1
		.amdhsa_user_sgpr_dispatch_id 0
		.amdhsa_user_sgpr_kernarg_preload_length 0
		.amdhsa_user_sgpr_kernarg_preload_offset 0
		.amdhsa_user_sgpr_private_segment_size 0
		.amdhsa_wavefront_size32 1
		.amdhsa_uses_dynamic_stack 0
		.amdhsa_enable_private_segment 0
		.amdhsa_system_sgpr_workgroup_id_x 1
		.amdhsa_system_sgpr_workgroup_id_y 0
		.amdhsa_system_sgpr_workgroup_id_z 0
		.amdhsa_system_sgpr_workgroup_info 0
		.amdhsa_system_vgpr_workitem_id 0
		.amdhsa_next_free_vgpr 1
		.amdhsa_next_free_sgpr 1
		.amdhsa_named_barrier_count 0
		.amdhsa_reserve_vcc 0
		.amdhsa_float_round_mode_32 0
		.amdhsa_float_round_mode_16_64 0
		.amdhsa_float_denorm_mode_32 3
		.amdhsa_float_denorm_mode_16_64 3
		.amdhsa_fp16_overflow 0
		.amdhsa_memory_ordered 1
		.amdhsa_forward_progress 1
		.amdhsa_inst_pref_size 0
		.amdhsa_round_robin_scheduling 0
		.amdhsa_exception_fp_ieee_invalid_op 0
		.amdhsa_exception_fp_denorm_src 0
		.amdhsa_exception_fp_ieee_div_zero 0
		.amdhsa_exception_fp_ieee_overflow 0
		.amdhsa_exception_fp_ieee_underflow 0
		.amdhsa_exception_fp_ieee_inexact 0
		.amdhsa_exception_int_div_zero 0
	.end_amdhsa_kernel
	.section	.text._ZN7rocprim17ROCPRIM_400000_NS6detail17trampoline_kernelINS0_14default_configENS1_21merge_config_selectorINS0_5tupleIJddEEENS0_10empty_typeEEEZNS1_10merge_implIS3_NS0_12zip_iteratorINS5_IJN6thrust23THRUST_200600_302600_NS6detail15normal_iteratorINSC_10device_ptrIKdEEEESI_EEEEESK_NSA_INS5_IJNSC_16discard_iteratorINSC_11use_defaultEEESN_EEEEEPS7_SQ_SQ_NSC_11hip_rocprim7__merge17predicate_wrapperIddNSC_4lessIdEEEEEE10hipError_tPvRmT0_T1_T2_T3_T4_T5_mmT6_P12ihipStream_tbEUlT_E0_NS1_11comp_targetILNS1_3genE10ELNS1_11target_archE1201ELNS1_3gpuE5ELNS1_3repE0EEENS1_30default_config_static_selectorELNS0_4arch9wavefront6targetE0EEEvS11_,"axG",@progbits,_ZN7rocprim17ROCPRIM_400000_NS6detail17trampoline_kernelINS0_14default_configENS1_21merge_config_selectorINS0_5tupleIJddEEENS0_10empty_typeEEEZNS1_10merge_implIS3_NS0_12zip_iteratorINS5_IJN6thrust23THRUST_200600_302600_NS6detail15normal_iteratorINSC_10device_ptrIKdEEEESI_EEEEESK_NSA_INS5_IJNSC_16discard_iteratorINSC_11use_defaultEEESN_EEEEEPS7_SQ_SQ_NSC_11hip_rocprim7__merge17predicate_wrapperIddNSC_4lessIdEEEEEE10hipError_tPvRmT0_T1_T2_T3_T4_T5_mmT6_P12ihipStream_tbEUlT_E0_NS1_11comp_targetILNS1_3genE10ELNS1_11target_archE1201ELNS1_3gpuE5ELNS1_3repE0EEENS1_30default_config_static_selectorELNS0_4arch9wavefront6targetE0EEEvS11_,comdat
.Lfunc_end493:
	.size	_ZN7rocprim17ROCPRIM_400000_NS6detail17trampoline_kernelINS0_14default_configENS1_21merge_config_selectorINS0_5tupleIJddEEENS0_10empty_typeEEEZNS1_10merge_implIS3_NS0_12zip_iteratorINS5_IJN6thrust23THRUST_200600_302600_NS6detail15normal_iteratorINSC_10device_ptrIKdEEEESI_EEEEESK_NSA_INS5_IJNSC_16discard_iteratorINSC_11use_defaultEEESN_EEEEEPS7_SQ_SQ_NSC_11hip_rocprim7__merge17predicate_wrapperIddNSC_4lessIdEEEEEE10hipError_tPvRmT0_T1_T2_T3_T4_T5_mmT6_P12ihipStream_tbEUlT_E0_NS1_11comp_targetILNS1_3genE10ELNS1_11target_archE1201ELNS1_3gpuE5ELNS1_3repE0EEENS1_30default_config_static_selectorELNS0_4arch9wavefront6targetE0EEEvS11_, .Lfunc_end493-_ZN7rocprim17ROCPRIM_400000_NS6detail17trampoline_kernelINS0_14default_configENS1_21merge_config_selectorINS0_5tupleIJddEEENS0_10empty_typeEEEZNS1_10merge_implIS3_NS0_12zip_iteratorINS5_IJN6thrust23THRUST_200600_302600_NS6detail15normal_iteratorINSC_10device_ptrIKdEEEESI_EEEEESK_NSA_INS5_IJNSC_16discard_iteratorINSC_11use_defaultEEESN_EEEEEPS7_SQ_SQ_NSC_11hip_rocprim7__merge17predicate_wrapperIddNSC_4lessIdEEEEEE10hipError_tPvRmT0_T1_T2_T3_T4_T5_mmT6_P12ihipStream_tbEUlT_E0_NS1_11comp_targetILNS1_3genE10ELNS1_11target_archE1201ELNS1_3gpuE5ELNS1_3repE0EEENS1_30default_config_static_selectorELNS0_4arch9wavefront6targetE0EEEvS11_
                                        ; -- End function
	.set _ZN7rocprim17ROCPRIM_400000_NS6detail17trampoline_kernelINS0_14default_configENS1_21merge_config_selectorINS0_5tupleIJddEEENS0_10empty_typeEEEZNS1_10merge_implIS3_NS0_12zip_iteratorINS5_IJN6thrust23THRUST_200600_302600_NS6detail15normal_iteratorINSC_10device_ptrIKdEEEESI_EEEEESK_NSA_INS5_IJNSC_16discard_iteratorINSC_11use_defaultEEESN_EEEEEPS7_SQ_SQ_NSC_11hip_rocprim7__merge17predicate_wrapperIddNSC_4lessIdEEEEEE10hipError_tPvRmT0_T1_T2_T3_T4_T5_mmT6_P12ihipStream_tbEUlT_E0_NS1_11comp_targetILNS1_3genE10ELNS1_11target_archE1201ELNS1_3gpuE5ELNS1_3repE0EEENS1_30default_config_static_selectorELNS0_4arch9wavefront6targetE0EEEvS11_.num_vgpr, 0
	.set _ZN7rocprim17ROCPRIM_400000_NS6detail17trampoline_kernelINS0_14default_configENS1_21merge_config_selectorINS0_5tupleIJddEEENS0_10empty_typeEEEZNS1_10merge_implIS3_NS0_12zip_iteratorINS5_IJN6thrust23THRUST_200600_302600_NS6detail15normal_iteratorINSC_10device_ptrIKdEEEESI_EEEEESK_NSA_INS5_IJNSC_16discard_iteratorINSC_11use_defaultEEESN_EEEEEPS7_SQ_SQ_NSC_11hip_rocprim7__merge17predicate_wrapperIddNSC_4lessIdEEEEEE10hipError_tPvRmT0_T1_T2_T3_T4_T5_mmT6_P12ihipStream_tbEUlT_E0_NS1_11comp_targetILNS1_3genE10ELNS1_11target_archE1201ELNS1_3gpuE5ELNS1_3repE0EEENS1_30default_config_static_selectorELNS0_4arch9wavefront6targetE0EEEvS11_.num_agpr, 0
	.set _ZN7rocprim17ROCPRIM_400000_NS6detail17trampoline_kernelINS0_14default_configENS1_21merge_config_selectorINS0_5tupleIJddEEENS0_10empty_typeEEEZNS1_10merge_implIS3_NS0_12zip_iteratorINS5_IJN6thrust23THRUST_200600_302600_NS6detail15normal_iteratorINSC_10device_ptrIKdEEEESI_EEEEESK_NSA_INS5_IJNSC_16discard_iteratorINSC_11use_defaultEEESN_EEEEEPS7_SQ_SQ_NSC_11hip_rocprim7__merge17predicate_wrapperIddNSC_4lessIdEEEEEE10hipError_tPvRmT0_T1_T2_T3_T4_T5_mmT6_P12ihipStream_tbEUlT_E0_NS1_11comp_targetILNS1_3genE10ELNS1_11target_archE1201ELNS1_3gpuE5ELNS1_3repE0EEENS1_30default_config_static_selectorELNS0_4arch9wavefront6targetE0EEEvS11_.numbered_sgpr, 0
	.set _ZN7rocprim17ROCPRIM_400000_NS6detail17trampoline_kernelINS0_14default_configENS1_21merge_config_selectorINS0_5tupleIJddEEENS0_10empty_typeEEEZNS1_10merge_implIS3_NS0_12zip_iteratorINS5_IJN6thrust23THRUST_200600_302600_NS6detail15normal_iteratorINSC_10device_ptrIKdEEEESI_EEEEESK_NSA_INS5_IJNSC_16discard_iteratorINSC_11use_defaultEEESN_EEEEEPS7_SQ_SQ_NSC_11hip_rocprim7__merge17predicate_wrapperIddNSC_4lessIdEEEEEE10hipError_tPvRmT0_T1_T2_T3_T4_T5_mmT6_P12ihipStream_tbEUlT_E0_NS1_11comp_targetILNS1_3genE10ELNS1_11target_archE1201ELNS1_3gpuE5ELNS1_3repE0EEENS1_30default_config_static_selectorELNS0_4arch9wavefront6targetE0EEEvS11_.num_named_barrier, 0
	.set _ZN7rocprim17ROCPRIM_400000_NS6detail17trampoline_kernelINS0_14default_configENS1_21merge_config_selectorINS0_5tupleIJddEEENS0_10empty_typeEEEZNS1_10merge_implIS3_NS0_12zip_iteratorINS5_IJN6thrust23THRUST_200600_302600_NS6detail15normal_iteratorINSC_10device_ptrIKdEEEESI_EEEEESK_NSA_INS5_IJNSC_16discard_iteratorINSC_11use_defaultEEESN_EEEEEPS7_SQ_SQ_NSC_11hip_rocprim7__merge17predicate_wrapperIddNSC_4lessIdEEEEEE10hipError_tPvRmT0_T1_T2_T3_T4_T5_mmT6_P12ihipStream_tbEUlT_E0_NS1_11comp_targetILNS1_3genE10ELNS1_11target_archE1201ELNS1_3gpuE5ELNS1_3repE0EEENS1_30default_config_static_selectorELNS0_4arch9wavefront6targetE0EEEvS11_.private_seg_size, 0
	.set _ZN7rocprim17ROCPRIM_400000_NS6detail17trampoline_kernelINS0_14default_configENS1_21merge_config_selectorINS0_5tupleIJddEEENS0_10empty_typeEEEZNS1_10merge_implIS3_NS0_12zip_iteratorINS5_IJN6thrust23THRUST_200600_302600_NS6detail15normal_iteratorINSC_10device_ptrIKdEEEESI_EEEEESK_NSA_INS5_IJNSC_16discard_iteratorINSC_11use_defaultEEESN_EEEEEPS7_SQ_SQ_NSC_11hip_rocprim7__merge17predicate_wrapperIddNSC_4lessIdEEEEEE10hipError_tPvRmT0_T1_T2_T3_T4_T5_mmT6_P12ihipStream_tbEUlT_E0_NS1_11comp_targetILNS1_3genE10ELNS1_11target_archE1201ELNS1_3gpuE5ELNS1_3repE0EEENS1_30default_config_static_selectorELNS0_4arch9wavefront6targetE0EEEvS11_.uses_vcc, 0
	.set _ZN7rocprim17ROCPRIM_400000_NS6detail17trampoline_kernelINS0_14default_configENS1_21merge_config_selectorINS0_5tupleIJddEEENS0_10empty_typeEEEZNS1_10merge_implIS3_NS0_12zip_iteratorINS5_IJN6thrust23THRUST_200600_302600_NS6detail15normal_iteratorINSC_10device_ptrIKdEEEESI_EEEEESK_NSA_INS5_IJNSC_16discard_iteratorINSC_11use_defaultEEESN_EEEEEPS7_SQ_SQ_NSC_11hip_rocprim7__merge17predicate_wrapperIddNSC_4lessIdEEEEEE10hipError_tPvRmT0_T1_T2_T3_T4_T5_mmT6_P12ihipStream_tbEUlT_E0_NS1_11comp_targetILNS1_3genE10ELNS1_11target_archE1201ELNS1_3gpuE5ELNS1_3repE0EEENS1_30default_config_static_selectorELNS0_4arch9wavefront6targetE0EEEvS11_.uses_flat_scratch, 0
	.set _ZN7rocprim17ROCPRIM_400000_NS6detail17trampoline_kernelINS0_14default_configENS1_21merge_config_selectorINS0_5tupleIJddEEENS0_10empty_typeEEEZNS1_10merge_implIS3_NS0_12zip_iteratorINS5_IJN6thrust23THRUST_200600_302600_NS6detail15normal_iteratorINSC_10device_ptrIKdEEEESI_EEEEESK_NSA_INS5_IJNSC_16discard_iteratorINSC_11use_defaultEEESN_EEEEEPS7_SQ_SQ_NSC_11hip_rocprim7__merge17predicate_wrapperIddNSC_4lessIdEEEEEE10hipError_tPvRmT0_T1_T2_T3_T4_T5_mmT6_P12ihipStream_tbEUlT_E0_NS1_11comp_targetILNS1_3genE10ELNS1_11target_archE1201ELNS1_3gpuE5ELNS1_3repE0EEENS1_30default_config_static_selectorELNS0_4arch9wavefront6targetE0EEEvS11_.has_dyn_sized_stack, 0
	.set _ZN7rocprim17ROCPRIM_400000_NS6detail17trampoline_kernelINS0_14default_configENS1_21merge_config_selectorINS0_5tupleIJddEEENS0_10empty_typeEEEZNS1_10merge_implIS3_NS0_12zip_iteratorINS5_IJN6thrust23THRUST_200600_302600_NS6detail15normal_iteratorINSC_10device_ptrIKdEEEESI_EEEEESK_NSA_INS5_IJNSC_16discard_iteratorINSC_11use_defaultEEESN_EEEEEPS7_SQ_SQ_NSC_11hip_rocprim7__merge17predicate_wrapperIddNSC_4lessIdEEEEEE10hipError_tPvRmT0_T1_T2_T3_T4_T5_mmT6_P12ihipStream_tbEUlT_E0_NS1_11comp_targetILNS1_3genE10ELNS1_11target_archE1201ELNS1_3gpuE5ELNS1_3repE0EEENS1_30default_config_static_selectorELNS0_4arch9wavefront6targetE0EEEvS11_.has_recursion, 0
	.set _ZN7rocprim17ROCPRIM_400000_NS6detail17trampoline_kernelINS0_14default_configENS1_21merge_config_selectorINS0_5tupleIJddEEENS0_10empty_typeEEEZNS1_10merge_implIS3_NS0_12zip_iteratorINS5_IJN6thrust23THRUST_200600_302600_NS6detail15normal_iteratorINSC_10device_ptrIKdEEEESI_EEEEESK_NSA_INS5_IJNSC_16discard_iteratorINSC_11use_defaultEEESN_EEEEEPS7_SQ_SQ_NSC_11hip_rocprim7__merge17predicate_wrapperIddNSC_4lessIdEEEEEE10hipError_tPvRmT0_T1_T2_T3_T4_T5_mmT6_P12ihipStream_tbEUlT_E0_NS1_11comp_targetILNS1_3genE10ELNS1_11target_archE1201ELNS1_3gpuE5ELNS1_3repE0EEENS1_30default_config_static_selectorELNS0_4arch9wavefront6targetE0EEEvS11_.has_indirect_call, 0
	.section	.AMDGPU.csdata,"",@progbits
; Kernel info:
; codeLenInByte = 0
; TotalNumSgprs: 0
; NumVgprs: 0
; ScratchSize: 0
; MemoryBound: 0
; FloatMode: 240
; IeeeMode: 1
; LDSByteSize: 0 bytes/workgroup (compile time only)
; SGPRBlocks: 0
; VGPRBlocks: 0
; NumSGPRsForWavesPerEU: 1
; NumVGPRsForWavesPerEU: 1
; NamedBarCnt: 0
; Occupancy: 16
; WaveLimiterHint : 0
; COMPUTE_PGM_RSRC2:SCRATCH_EN: 0
; COMPUTE_PGM_RSRC2:USER_SGPR: 2
; COMPUTE_PGM_RSRC2:TRAP_HANDLER: 0
; COMPUTE_PGM_RSRC2:TGID_X_EN: 1
; COMPUTE_PGM_RSRC2:TGID_Y_EN: 0
; COMPUTE_PGM_RSRC2:TGID_Z_EN: 0
; COMPUTE_PGM_RSRC2:TIDIG_COMP_CNT: 0
	.section	.text._ZN7rocprim17ROCPRIM_400000_NS6detail17trampoline_kernelINS0_14default_configENS1_21merge_config_selectorINS0_5tupleIJddEEENS0_10empty_typeEEEZNS1_10merge_implIS3_NS0_12zip_iteratorINS5_IJN6thrust23THRUST_200600_302600_NS6detail15normal_iteratorINSC_10device_ptrIKdEEEESI_EEEEESK_NSA_INS5_IJNSC_16discard_iteratorINSC_11use_defaultEEESN_EEEEEPS7_SQ_SQ_NSC_11hip_rocprim7__merge17predicate_wrapperIddNSC_4lessIdEEEEEE10hipError_tPvRmT0_T1_T2_T3_T4_T5_mmT6_P12ihipStream_tbEUlT_E0_NS1_11comp_targetILNS1_3genE10ELNS1_11target_archE1200ELNS1_3gpuE4ELNS1_3repE0EEENS1_30default_config_static_selectorELNS0_4arch9wavefront6targetE0EEEvS11_,"axG",@progbits,_ZN7rocprim17ROCPRIM_400000_NS6detail17trampoline_kernelINS0_14default_configENS1_21merge_config_selectorINS0_5tupleIJddEEENS0_10empty_typeEEEZNS1_10merge_implIS3_NS0_12zip_iteratorINS5_IJN6thrust23THRUST_200600_302600_NS6detail15normal_iteratorINSC_10device_ptrIKdEEEESI_EEEEESK_NSA_INS5_IJNSC_16discard_iteratorINSC_11use_defaultEEESN_EEEEEPS7_SQ_SQ_NSC_11hip_rocprim7__merge17predicate_wrapperIddNSC_4lessIdEEEEEE10hipError_tPvRmT0_T1_T2_T3_T4_T5_mmT6_P12ihipStream_tbEUlT_E0_NS1_11comp_targetILNS1_3genE10ELNS1_11target_archE1200ELNS1_3gpuE4ELNS1_3repE0EEENS1_30default_config_static_selectorELNS0_4arch9wavefront6targetE0EEEvS11_,comdat
	.protected	_ZN7rocprim17ROCPRIM_400000_NS6detail17trampoline_kernelINS0_14default_configENS1_21merge_config_selectorINS0_5tupleIJddEEENS0_10empty_typeEEEZNS1_10merge_implIS3_NS0_12zip_iteratorINS5_IJN6thrust23THRUST_200600_302600_NS6detail15normal_iteratorINSC_10device_ptrIKdEEEESI_EEEEESK_NSA_INS5_IJNSC_16discard_iteratorINSC_11use_defaultEEESN_EEEEEPS7_SQ_SQ_NSC_11hip_rocprim7__merge17predicate_wrapperIddNSC_4lessIdEEEEEE10hipError_tPvRmT0_T1_T2_T3_T4_T5_mmT6_P12ihipStream_tbEUlT_E0_NS1_11comp_targetILNS1_3genE10ELNS1_11target_archE1200ELNS1_3gpuE4ELNS1_3repE0EEENS1_30default_config_static_selectorELNS0_4arch9wavefront6targetE0EEEvS11_ ; -- Begin function _ZN7rocprim17ROCPRIM_400000_NS6detail17trampoline_kernelINS0_14default_configENS1_21merge_config_selectorINS0_5tupleIJddEEENS0_10empty_typeEEEZNS1_10merge_implIS3_NS0_12zip_iteratorINS5_IJN6thrust23THRUST_200600_302600_NS6detail15normal_iteratorINSC_10device_ptrIKdEEEESI_EEEEESK_NSA_INS5_IJNSC_16discard_iteratorINSC_11use_defaultEEESN_EEEEEPS7_SQ_SQ_NSC_11hip_rocprim7__merge17predicate_wrapperIddNSC_4lessIdEEEEEE10hipError_tPvRmT0_T1_T2_T3_T4_T5_mmT6_P12ihipStream_tbEUlT_E0_NS1_11comp_targetILNS1_3genE10ELNS1_11target_archE1200ELNS1_3gpuE4ELNS1_3repE0EEENS1_30default_config_static_selectorELNS0_4arch9wavefront6targetE0EEEvS11_
	.globl	_ZN7rocprim17ROCPRIM_400000_NS6detail17trampoline_kernelINS0_14default_configENS1_21merge_config_selectorINS0_5tupleIJddEEENS0_10empty_typeEEEZNS1_10merge_implIS3_NS0_12zip_iteratorINS5_IJN6thrust23THRUST_200600_302600_NS6detail15normal_iteratorINSC_10device_ptrIKdEEEESI_EEEEESK_NSA_INS5_IJNSC_16discard_iteratorINSC_11use_defaultEEESN_EEEEEPS7_SQ_SQ_NSC_11hip_rocprim7__merge17predicate_wrapperIddNSC_4lessIdEEEEEE10hipError_tPvRmT0_T1_T2_T3_T4_T5_mmT6_P12ihipStream_tbEUlT_E0_NS1_11comp_targetILNS1_3genE10ELNS1_11target_archE1200ELNS1_3gpuE4ELNS1_3repE0EEENS1_30default_config_static_selectorELNS0_4arch9wavefront6targetE0EEEvS11_
	.p2align	8
	.type	_ZN7rocprim17ROCPRIM_400000_NS6detail17trampoline_kernelINS0_14default_configENS1_21merge_config_selectorINS0_5tupleIJddEEENS0_10empty_typeEEEZNS1_10merge_implIS3_NS0_12zip_iteratorINS5_IJN6thrust23THRUST_200600_302600_NS6detail15normal_iteratorINSC_10device_ptrIKdEEEESI_EEEEESK_NSA_INS5_IJNSC_16discard_iteratorINSC_11use_defaultEEESN_EEEEEPS7_SQ_SQ_NSC_11hip_rocprim7__merge17predicate_wrapperIddNSC_4lessIdEEEEEE10hipError_tPvRmT0_T1_T2_T3_T4_T5_mmT6_P12ihipStream_tbEUlT_E0_NS1_11comp_targetILNS1_3genE10ELNS1_11target_archE1200ELNS1_3gpuE4ELNS1_3repE0EEENS1_30default_config_static_selectorELNS0_4arch9wavefront6targetE0EEEvS11_,@function
_ZN7rocprim17ROCPRIM_400000_NS6detail17trampoline_kernelINS0_14default_configENS1_21merge_config_selectorINS0_5tupleIJddEEENS0_10empty_typeEEEZNS1_10merge_implIS3_NS0_12zip_iteratorINS5_IJN6thrust23THRUST_200600_302600_NS6detail15normal_iteratorINSC_10device_ptrIKdEEEESI_EEEEESK_NSA_INS5_IJNSC_16discard_iteratorINSC_11use_defaultEEESN_EEEEEPS7_SQ_SQ_NSC_11hip_rocprim7__merge17predicate_wrapperIddNSC_4lessIdEEEEEE10hipError_tPvRmT0_T1_T2_T3_T4_T5_mmT6_P12ihipStream_tbEUlT_E0_NS1_11comp_targetILNS1_3genE10ELNS1_11target_archE1200ELNS1_3gpuE4ELNS1_3repE0EEENS1_30default_config_static_selectorELNS0_4arch9wavefront6targetE0EEEvS11_: ; @_ZN7rocprim17ROCPRIM_400000_NS6detail17trampoline_kernelINS0_14default_configENS1_21merge_config_selectorINS0_5tupleIJddEEENS0_10empty_typeEEEZNS1_10merge_implIS3_NS0_12zip_iteratorINS5_IJN6thrust23THRUST_200600_302600_NS6detail15normal_iteratorINSC_10device_ptrIKdEEEESI_EEEEESK_NSA_INS5_IJNSC_16discard_iteratorINSC_11use_defaultEEESN_EEEEEPS7_SQ_SQ_NSC_11hip_rocprim7__merge17predicate_wrapperIddNSC_4lessIdEEEEEE10hipError_tPvRmT0_T1_T2_T3_T4_T5_mmT6_P12ihipStream_tbEUlT_E0_NS1_11comp_targetILNS1_3genE10ELNS1_11target_archE1200ELNS1_3gpuE4ELNS1_3repE0EEENS1_30default_config_static_selectorELNS0_4arch9wavefront6targetE0EEEvS11_
; %bb.0:
	.section	.rodata,"a",@progbits
	.p2align	6, 0x0
	.amdhsa_kernel _ZN7rocprim17ROCPRIM_400000_NS6detail17trampoline_kernelINS0_14default_configENS1_21merge_config_selectorINS0_5tupleIJddEEENS0_10empty_typeEEEZNS1_10merge_implIS3_NS0_12zip_iteratorINS5_IJN6thrust23THRUST_200600_302600_NS6detail15normal_iteratorINSC_10device_ptrIKdEEEESI_EEEEESK_NSA_INS5_IJNSC_16discard_iteratorINSC_11use_defaultEEESN_EEEEEPS7_SQ_SQ_NSC_11hip_rocprim7__merge17predicate_wrapperIddNSC_4lessIdEEEEEE10hipError_tPvRmT0_T1_T2_T3_T4_T5_mmT6_P12ihipStream_tbEUlT_E0_NS1_11comp_targetILNS1_3genE10ELNS1_11target_archE1200ELNS1_3gpuE4ELNS1_3repE0EEENS1_30default_config_static_selectorELNS0_4arch9wavefront6targetE0EEEvS11_
		.amdhsa_group_segment_fixed_size 0
		.amdhsa_private_segment_fixed_size 0
		.amdhsa_kernarg_size 128
		.amdhsa_user_sgpr_count 2
		.amdhsa_user_sgpr_dispatch_ptr 0
		.amdhsa_user_sgpr_queue_ptr 0
		.amdhsa_user_sgpr_kernarg_segment_ptr 1
		.amdhsa_user_sgpr_dispatch_id 0
		.amdhsa_user_sgpr_kernarg_preload_length 0
		.amdhsa_user_sgpr_kernarg_preload_offset 0
		.amdhsa_user_sgpr_private_segment_size 0
		.amdhsa_wavefront_size32 1
		.amdhsa_uses_dynamic_stack 0
		.amdhsa_enable_private_segment 0
		.amdhsa_system_sgpr_workgroup_id_x 1
		.amdhsa_system_sgpr_workgroup_id_y 0
		.amdhsa_system_sgpr_workgroup_id_z 0
		.amdhsa_system_sgpr_workgroup_info 0
		.amdhsa_system_vgpr_workitem_id 0
		.amdhsa_next_free_vgpr 1
		.amdhsa_next_free_sgpr 1
		.amdhsa_named_barrier_count 0
		.amdhsa_reserve_vcc 0
		.amdhsa_float_round_mode_32 0
		.amdhsa_float_round_mode_16_64 0
		.amdhsa_float_denorm_mode_32 3
		.amdhsa_float_denorm_mode_16_64 3
		.amdhsa_fp16_overflow 0
		.amdhsa_memory_ordered 1
		.amdhsa_forward_progress 1
		.amdhsa_inst_pref_size 0
		.amdhsa_round_robin_scheduling 0
		.amdhsa_exception_fp_ieee_invalid_op 0
		.amdhsa_exception_fp_denorm_src 0
		.amdhsa_exception_fp_ieee_div_zero 0
		.amdhsa_exception_fp_ieee_overflow 0
		.amdhsa_exception_fp_ieee_underflow 0
		.amdhsa_exception_fp_ieee_inexact 0
		.amdhsa_exception_int_div_zero 0
	.end_amdhsa_kernel
	.section	.text._ZN7rocprim17ROCPRIM_400000_NS6detail17trampoline_kernelINS0_14default_configENS1_21merge_config_selectorINS0_5tupleIJddEEENS0_10empty_typeEEEZNS1_10merge_implIS3_NS0_12zip_iteratorINS5_IJN6thrust23THRUST_200600_302600_NS6detail15normal_iteratorINSC_10device_ptrIKdEEEESI_EEEEESK_NSA_INS5_IJNSC_16discard_iteratorINSC_11use_defaultEEESN_EEEEEPS7_SQ_SQ_NSC_11hip_rocprim7__merge17predicate_wrapperIddNSC_4lessIdEEEEEE10hipError_tPvRmT0_T1_T2_T3_T4_T5_mmT6_P12ihipStream_tbEUlT_E0_NS1_11comp_targetILNS1_3genE10ELNS1_11target_archE1200ELNS1_3gpuE4ELNS1_3repE0EEENS1_30default_config_static_selectorELNS0_4arch9wavefront6targetE0EEEvS11_,"axG",@progbits,_ZN7rocprim17ROCPRIM_400000_NS6detail17trampoline_kernelINS0_14default_configENS1_21merge_config_selectorINS0_5tupleIJddEEENS0_10empty_typeEEEZNS1_10merge_implIS3_NS0_12zip_iteratorINS5_IJN6thrust23THRUST_200600_302600_NS6detail15normal_iteratorINSC_10device_ptrIKdEEEESI_EEEEESK_NSA_INS5_IJNSC_16discard_iteratorINSC_11use_defaultEEESN_EEEEEPS7_SQ_SQ_NSC_11hip_rocprim7__merge17predicate_wrapperIddNSC_4lessIdEEEEEE10hipError_tPvRmT0_T1_T2_T3_T4_T5_mmT6_P12ihipStream_tbEUlT_E0_NS1_11comp_targetILNS1_3genE10ELNS1_11target_archE1200ELNS1_3gpuE4ELNS1_3repE0EEENS1_30default_config_static_selectorELNS0_4arch9wavefront6targetE0EEEvS11_,comdat
.Lfunc_end494:
	.size	_ZN7rocprim17ROCPRIM_400000_NS6detail17trampoline_kernelINS0_14default_configENS1_21merge_config_selectorINS0_5tupleIJddEEENS0_10empty_typeEEEZNS1_10merge_implIS3_NS0_12zip_iteratorINS5_IJN6thrust23THRUST_200600_302600_NS6detail15normal_iteratorINSC_10device_ptrIKdEEEESI_EEEEESK_NSA_INS5_IJNSC_16discard_iteratorINSC_11use_defaultEEESN_EEEEEPS7_SQ_SQ_NSC_11hip_rocprim7__merge17predicate_wrapperIddNSC_4lessIdEEEEEE10hipError_tPvRmT0_T1_T2_T3_T4_T5_mmT6_P12ihipStream_tbEUlT_E0_NS1_11comp_targetILNS1_3genE10ELNS1_11target_archE1200ELNS1_3gpuE4ELNS1_3repE0EEENS1_30default_config_static_selectorELNS0_4arch9wavefront6targetE0EEEvS11_, .Lfunc_end494-_ZN7rocprim17ROCPRIM_400000_NS6detail17trampoline_kernelINS0_14default_configENS1_21merge_config_selectorINS0_5tupleIJddEEENS0_10empty_typeEEEZNS1_10merge_implIS3_NS0_12zip_iteratorINS5_IJN6thrust23THRUST_200600_302600_NS6detail15normal_iteratorINSC_10device_ptrIKdEEEESI_EEEEESK_NSA_INS5_IJNSC_16discard_iteratorINSC_11use_defaultEEESN_EEEEEPS7_SQ_SQ_NSC_11hip_rocprim7__merge17predicate_wrapperIddNSC_4lessIdEEEEEE10hipError_tPvRmT0_T1_T2_T3_T4_T5_mmT6_P12ihipStream_tbEUlT_E0_NS1_11comp_targetILNS1_3genE10ELNS1_11target_archE1200ELNS1_3gpuE4ELNS1_3repE0EEENS1_30default_config_static_selectorELNS0_4arch9wavefront6targetE0EEEvS11_
                                        ; -- End function
	.set _ZN7rocprim17ROCPRIM_400000_NS6detail17trampoline_kernelINS0_14default_configENS1_21merge_config_selectorINS0_5tupleIJddEEENS0_10empty_typeEEEZNS1_10merge_implIS3_NS0_12zip_iteratorINS5_IJN6thrust23THRUST_200600_302600_NS6detail15normal_iteratorINSC_10device_ptrIKdEEEESI_EEEEESK_NSA_INS5_IJNSC_16discard_iteratorINSC_11use_defaultEEESN_EEEEEPS7_SQ_SQ_NSC_11hip_rocprim7__merge17predicate_wrapperIddNSC_4lessIdEEEEEE10hipError_tPvRmT0_T1_T2_T3_T4_T5_mmT6_P12ihipStream_tbEUlT_E0_NS1_11comp_targetILNS1_3genE10ELNS1_11target_archE1200ELNS1_3gpuE4ELNS1_3repE0EEENS1_30default_config_static_selectorELNS0_4arch9wavefront6targetE0EEEvS11_.num_vgpr, 0
	.set _ZN7rocprim17ROCPRIM_400000_NS6detail17trampoline_kernelINS0_14default_configENS1_21merge_config_selectorINS0_5tupleIJddEEENS0_10empty_typeEEEZNS1_10merge_implIS3_NS0_12zip_iteratorINS5_IJN6thrust23THRUST_200600_302600_NS6detail15normal_iteratorINSC_10device_ptrIKdEEEESI_EEEEESK_NSA_INS5_IJNSC_16discard_iteratorINSC_11use_defaultEEESN_EEEEEPS7_SQ_SQ_NSC_11hip_rocprim7__merge17predicate_wrapperIddNSC_4lessIdEEEEEE10hipError_tPvRmT0_T1_T2_T3_T4_T5_mmT6_P12ihipStream_tbEUlT_E0_NS1_11comp_targetILNS1_3genE10ELNS1_11target_archE1200ELNS1_3gpuE4ELNS1_3repE0EEENS1_30default_config_static_selectorELNS0_4arch9wavefront6targetE0EEEvS11_.num_agpr, 0
	.set _ZN7rocprim17ROCPRIM_400000_NS6detail17trampoline_kernelINS0_14default_configENS1_21merge_config_selectorINS0_5tupleIJddEEENS0_10empty_typeEEEZNS1_10merge_implIS3_NS0_12zip_iteratorINS5_IJN6thrust23THRUST_200600_302600_NS6detail15normal_iteratorINSC_10device_ptrIKdEEEESI_EEEEESK_NSA_INS5_IJNSC_16discard_iteratorINSC_11use_defaultEEESN_EEEEEPS7_SQ_SQ_NSC_11hip_rocprim7__merge17predicate_wrapperIddNSC_4lessIdEEEEEE10hipError_tPvRmT0_T1_T2_T3_T4_T5_mmT6_P12ihipStream_tbEUlT_E0_NS1_11comp_targetILNS1_3genE10ELNS1_11target_archE1200ELNS1_3gpuE4ELNS1_3repE0EEENS1_30default_config_static_selectorELNS0_4arch9wavefront6targetE0EEEvS11_.numbered_sgpr, 0
	.set _ZN7rocprim17ROCPRIM_400000_NS6detail17trampoline_kernelINS0_14default_configENS1_21merge_config_selectorINS0_5tupleIJddEEENS0_10empty_typeEEEZNS1_10merge_implIS3_NS0_12zip_iteratorINS5_IJN6thrust23THRUST_200600_302600_NS6detail15normal_iteratorINSC_10device_ptrIKdEEEESI_EEEEESK_NSA_INS5_IJNSC_16discard_iteratorINSC_11use_defaultEEESN_EEEEEPS7_SQ_SQ_NSC_11hip_rocprim7__merge17predicate_wrapperIddNSC_4lessIdEEEEEE10hipError_tPvRmT0_T1_T2_T3_T4_T5_mmT6_P12ihipStream_tbEUlT_E0_NS1_11comp_targetILNS1_3genE10ELNS1_11target_archE1200ELNS1_3gpuE4ELNS1_3repE0EEENS1_30default_config_static_selectorELNS0_4arch9wavefront6targetE0EEEvS11_.num_named_barrier, 0
	.set _ZN7rocprim17ROCPRIM_400000_NS6detail17trampoline_kernelINS0_14default_configENS1_21merge_config_selectorINS0_5tupleIJddEEENS0_10empty_typeEEEZNS1_10merge_implIS3_NS0_12zip_iteratorINS5_IJN6thrust23THRUST_200600_302600_NS6detail15normal_iteratorINSC_10device_ptrIKdEEEESI_EEEEESK_NSA_INS5_IJNSC_16discard_iteratorINSC_11use_defaultEEESN_EEEEEPS7_SQ_SQ_NSC_11hip_rocprim7__merge17predicate_wrapperIddNSC_4lessIdEEEEEE10hipError_tPvRmT0_T1_T2_T3_T4_T5_mmT6_P12ihipStream_tbEUlT_E0_NS1_11comp_targetILNS1_3genE10ELNS1_11target_archE1200ELNS1_3gpuE4ELNS1_3repE0EEENS1_30default_config_static_selectorELNS0_4arch9wavefront6targetE0EEEvS11_.private_seg_size, 0
	.set _ZN7rocprim17ROCPRIM_400000_NS6detail17trampoline_kernelINS0_14default_configENS1_21merge_config_selectorINS0_5tupleIJddEEENS0_10empty_typeEEEZNS1_10merge_implIS3_NS0_12zip_iteratorINS5_IJN6thrust23THRUST_200600_302600_NS6detail15normal_iteratorINSC_10device_ptrIKdEEEESI_EEEEESK_NSA_INS5_IJNSC_16discard_iteratorINSC_11use_defaultEEESN_EEEEEPS7_SQ_SQ_NSC_11hip_rocprim7__merge17predicate_wrapperIddNSC_4lessIdEEEEEE10hipError_tPvRmT0_T1_T2_T3_T4_T5_mmT6_P12ihipStream_tbEUlT_E0_NS1_11comp_targetILNS1_3genE10ELNS1_11target_archE1200ELNS1_3gpuE4ELNS1_3repE0EEENS1_30default_config_static_selectorELNS0_4arch9wavefront6targetE0EEEvS11_.uses_vcc, 0
	.set _ZN7rocprim17ROCPRIM_400000_NS6detail17trampoline_kernelINS0_14default_configENS1_21merge_config_selectorINS0_5tupleIJddEEENS0_10empty_typeEEEZNS1_10merge_implIS3_NS0_12zip_iteratorINS5_IJN6thrust23THRUST_200600_302600_NS6detail15normal_iteratorINSC_10device_ptrIKdEEEESI_EEEEESK_NSA_INS5_IJNSC_16discard_iteratorINSC_11use_defaultEEESN_EEEEEPS7_SQ_SQ_NSC_11hip_rocprim7__merge17predicate_wrapperIddNSC_4lessIdEEEEEE10hipError_tPvRmT0_T1_T2_T3_T4_T5_mmT6_P12ihipStream_tbEUlT_E0_NS1_11comp_targetILNS1_3genE10ELNS1_11target_archE1200ELNS1_3gpuE4ELNS1_3repE0EEENS1_30default_config_static_selectorELNS0_4arch9wavefront6targetE0EEEvS11_.uses_flat_scratch, 0
	.set _ZN7rocprim17ROCPRIM_400000_NS6detail17trampoline_kernelINS0_14default_configENS1_21merge_config_selectorINS0_5tupleIJddEEENS0_10empty_typeEEEZNS1_10merge_implIS3_NS0_12zip_iteratorINS5_IJN6thrust23THRUST_200600_302600_NS6detail15normal_iteratorINSC_10device_ptrIKdEEEESI_EEEEESK_NSA_INS5_IJNSC_16discard_iteratorINSC_11use_defaultEEESN_EEEEEPS7_SQ_SQ_NSC_11hip_rocprim7__merge17predicate_wrapperIddNSC_4lessIdEEEEEE10hipError_tPvRmT0_T1_T2_T3_T4_T5_mmT6_P12ihipStream_tbEUlT_E0_NS1_11comp_targetILNS1_3genE10ELNS1_11target_archE1200ELNS1_3gpuE4ELNS1_3repE0EEENS1_30default_config_static_selectorELNS0_4arch9wavefront6targetE0EEEvS11_.has_dyn_sized_stack, 0
	.set _ZN7rocprim17ROCPRIM_400000_NS6detail17trampoline_kernelINS0_14default_configENS1_21merge_config_selectorINS0_5tupleIJddEEENS0_10empty_typeEEEZNS1_10merge_implIS3_NS0_12zip_iteratorINS5_IJN6thrust23THRUST_200600_302600_NS6detail15normal_iteratorINSC_10device_ptrIKdEEEESI_EEEEESK_NSA_INS5_IJNSC_16discard_iteratorINSC_11use_defaultEEESN_EEEEEPS7_SQ_SQ_NSC_11hip_rocprim7__merge17predicate_wrapperIddNSC_4lessIdEEEEEE10hipError_tPvRmT0_T1_T2_T3_T4_T5_mmT6_P12ihipStream_tbEUlT_E0_NS1_11comp_targetILNS1_3genE10ELNS1_11target_archE1200ELNS1_3gpuE4ELNS1_3repE0EEENS1_30default_config_static_selectorELNS0_4arch9wavefront6targetE0EEEvS11_.has_recursion, 0
	.set _ZN7rocprim17ROCPRIM_400000_NS6detail17trampoline_kernelINS0_14default_configENS1_21merge_config_selectorINS0_5tupleIJddEEENS0_10empty_typeEEEZNS1_10merge_implIS3_NS0_12zip_iteratorINS5_IJN6thrust23THRUST_200600_302600_NS6detail15normal_iteratorINSC_10device_ptrIKdEEEESI_EEEEESK_NSA_INS5_IJNSC_16discard_iteratorINSC_11use_defaultEEESN_EEEEEPS7_SQ_SQ_NSC_11hip_rocprim7__merge17predicate_wrapperIddNSC_4lessIdEEEEEE10hipError_tPvRmT0_T1_T2_T3_T4_T5_mmT6_P12ihipStream_tbEUlT_E0_NS1_11comp_targetILNS1_3genE10ELNS1_11target_archE1200ELNS1_3gpuE4ELNS1_3repE0EEENS1_30default_config_static_selectorELNS0_4arch9wavefront6targetE0EEEvS11_.has_indirect_call, 0
	.section	.AMDGPU.csdata,"",@progbits
; Kernel info:
; codeLenInByte = 0
; TotalNumSgprs: 0
; NumVgprs: 0
; ScratchSize: 0
; MemoryBound: 0
; FloatMode: 240
; IeeeMode: 1
; LDSByteSize: 0 bytes/workgroup (compile time only)
; SGPRBlocks: 0
; VGPRBlocks: 0
; NumSGPRsForWavesPerEU: 1
; NumVGPRsForWavesPerEU: 1
; NamedBarCnt: 0
; Occupancy: 16
; WaveLimiterHint : 0
; COMPUTE_PGM_RSRC2:SCRATCH_EN: 0
; COMPUTE_PGM_RSRC2:USER_SGPR: 2
; COMPUTE_PGM_RSRC2:TRAP_HANDLER: 0
; COMPUTE_PGM_RSRC2:TGID_X_EN: 1
; COMPUTE_PGM_RSRC2:TGID_Y_EN: 0
; COMPUTE_PGM_RSRC2:TGID_Z_EN: 0
; COMPUTE_PGM_RSRC2:TIDIG_COMP_CNT: 0
	.section	.text._ZN7rocprim17ROCPRIM_400000_NS6detail17trampoline_kernelINS0_14default_configENS1_21merge_config_selectorINS0_5tupleIJddEEENS0_10empty_typeEEEZNS1_10merge_implIS3_NS0_12zip_iteratorINS5_IJN6thrust23THRUST_200600_302600_NS6detail15normal_iteratorINSC_10device_ptrIKdEEEESI_EEEEESK_NSA_INS5_IJNSC_16discard_iteratorINSC_11use_defaultEEESN_EEEEEPS7_SQ_SQ_NSC_11hip_rocprim7__merge17predicate_wrapperIddNSC_4lessIdEEEEEE10hipError_tPvRmT0_T1_T2_T3_T4_T5_mmT6_P12ihipStream_tbEUlT_E0_NS1_11comp_targetILNS1_3genE9ELNS1_11target_archE1100ELNS1_3gpuE3ELNS1_3repE0EEENS1_30default_config_static_selectorELNS0_4arch9wavefront6targetE0EEEvS11_,"axG",@progbits,_ZN7rocprim17ROCPRIM_400000_NS6detail17trampoline_kernelINS0_14default_configENS1_21merge_config_selectorINS0_5tupleIJddEEENS0_10empty_typeEEEZNS1_10merge_implIS3_NS0_12zip_iteratorINS5_IJN6thrust23THRUST_200600_302600_NS6detail15normal_iteratorINSC_10device_ptrIKdEEEESI_EEEEESK_NSA_INS5_IJNSC_16discard_iteratorINSC_11use_defaultEEESN_EEEEEPS7_SQ_SQ_NSC_11hip_rocprim7__merge17predicate_wrapperIddNSC_4lessIdEEEEEE10hipError_tPvRmT0_T1_T2_T3_T4_T5_mmT6_P12ihipStream_tbEUlT_E0_NS1_11comp_targetILNS1_3genE9ELNS1_11target_archE1100ELNS1_3gpuE3ELNS1_3repE0EEENS1_30default_config_static_selectorELNS0_4arch9wavefront6targetE0EEEvS11_,comdat
	.protected	_ZN7rocprim17ROCPRIM_400000_NS6detail17trampoline_kernelINS0_14default_configENS1_21merge_config_selectorINS0_5tupleIJddEEENS0_10empty_typeEEEZNS1_10merge_implIS3_NS0_12zip_iteratorINS5_IJN6thrust23THRUST_200600_302600_NS6detail15normal_iteratorINSC_10device_ptrIKdEEEESI_EEEEESK_NSA_INS5_IJNSC_16discard_iteratorINSC_11use_defaultEEESN_EEEEEPS7_SQ_SQ_NSC_11hip_rocprim7__merge17predicate_wrapperIddNSC_4lessIdEEEEEE10hipError_tPvRmT0_T1_T2_T3_T4_T5_mmT6_P12ihipStream_tbEUlT_E0_NS1_11comp_targetILNS1_3genE9ELNS1_11target_archE1100ELNS1_3gpuE3ELNS1_3repE0EEENS1_30default_config_static_selectorELNS0_4arch9wavefront6targetE0EEEvS11_ ; -- Begin function _ZN7rocprim17ROCPRIM_400000_NS6detail17trampoline_kernelINS0_14default_configENS1_21merge_config_selectorINS0_5tupleIJddEEENS0_10empty_typeEEEZNS1_10merge_implIS3_NS0_12zip_iteratorINS5_IJN6thrust23THRUST_200600_302600_NS6detail15normal_iteratorINSC_10device_ptrIKdEEEESI_EEEEESK_NSA_INS5_IJNSC_16discard_iteratorINSC_11use_defaultEEESN_EEEEEPS7_SQ_SQ_NSC_11hip_rocprim7__merge17predicate_wrapperIddNSC_4lessIdEEEEEE10hipError_tPvRmT0_T1_T2_T3_T4_T5_mmT6_P12ihipStream_tbEUlT_E0_NS1_11comp_targetILNS1_3genE9ELNS1_11target_archE1100ELNS1_3gpuE3ELNS1_3repE0EEENS1_30default_config_static_selectorELNS0_4arch9wavefront6targetE0EEEvS11_
	.globl	_ZN7rocprim17ROCPRIM_400000_NS6detail17trampoline_kernelINS0_14default_configENS1_21merge_config_selectorINS0_5tupleIJddEEENS0_10empty_typeEEEZNS1_10merge_implIS3_NS0_12zip_iteratorINS5_IJN6thrust23THRUST_200600_302600_NS6detail15normal_iteratorINSC_10device_ptrIKdEEEESI_EEEEESK_NSA_INS5_IJNSC_16discard_iteratorINSC_11use_defaultEEESN_EEEEEPS7_SQ_SQ_NSC_11hip_rocprim7__merge17predicate_wrapperIddNSC_4lessIdEEEEEE10hipError_tPvRmT0_T1_T2_T3_T4_T5_mmT6_P12ihipStream_tbEUlT_E0_NS1_11comp_targetILNS1_3genE9ELNS1_11target_archE1100ELNS1_3gpuE3ELNS1_3repE0EEENS1_30default_config_static_selectorELNS0_4arch9wavefront6targetE0EEEvS11_
	.p2align	8
	.type	_ZN7rocprim17ROCPRIM_400000_NS6detail17trampoline_kernelINS0_14default_configENS1_21merge_config_selectorINS0_5tupleIJddEEENS0_10empty_typeEEEZNS1_10merge_implIS3_NS0_12zip_iteratorINS5_IJN6thrust23THRUST_200600_302600_NS6detail15normal_iteratorINSC_10device_ptrIKdEEEESI_EEEEESK_NSA_INS5_IJNSC_16discard_iteratorINSC_11use_defaultEEESN_EEEEEPS7_SQ_SQ_NSC_11hip_rocprim7__merge17predicate_wrapperIddNSC_4lessIdEEEEEE10hipError_tPvRmT0_T1_T2_T3_T4_T5_mmT6_P12ihipStream_tbEUlT_E0_NS1_11comp_targetILNS1_3genE9ELNS1_11target_archE1100ELNS1_3gpuE3ELNS1_3repE0EEENS1_30default_config_static_selectorELNS0_4arch9wavefront6targetE0EEEvS11_,@function
_ZN7rocprim17ROCPRIM_400000_NS6detail17trampoline_kernelINS0_14default_configENS1_21merge_config_selectorINS0_5tupleIJddEEENS0_10empty_typeEEEZNS1_10merge_implIS3_NS0_12zip_iteratorINS5_IJN6thrust23THRUST_200600_302600_NS6detail15normal_iteratorINSC_10device_ptrIKdEEEESI_EEEEESK_NSA_INS5_IJNSC_16discard_iteratorINSC_11use_defaultEEESN_EEEEEPS7_SQ_SQ_NSC_11hip_rocprim7__merge17predicate_wrapperIddNSC_4lessIdEEEEEE10hipError_tPvRmT0_T1_T2_T3_T4_T5_mmT6_P12ihipStream_tbEUlT_E0_NS1_11comp_targetILNS1_3genE9ELNS1_11target_archE1100ELNS1_3gpuE3ELNS1_3repE0EEENS1_30default_config_static_selectorELNS0_4arch9wavefront6targetE0EEEvS11_: ; @_ZN7rocprim17ROCPRIM_400000_NS6detail17trampoline_kernelINS0_14default_configENS1_21merge_config_selectorINS0_5tupleIJddEEENS0_10empty_typeEEEZNS1_10merge_implIS3_NS0_12zip_iteratorINS5_IJN6thrust23THRUST_200600_302600_NS6detail15normal_iteratorINSC_10device_ptrIKdEEEESI_EEEEESK_NSA_INS5_IJNSC_16discard_iteratorINSC_11use_defaultEEESN_EEEEEPS7_SQ_SQ_NSC_11hip_rocprim7__merge17predicate_wrapperIddNSC_4lessIdEEEEEE10hipError_tPvRmT0_T1_T2_T3_T4_T5_mmT6_P12ihipStream_tbEUlT_E0_NS1_11comp_targetILNS1_3genE9ELNS1_11target_archE1100ELNS1_3gpuE3ELNS1_3repE0EEENS1_30default_config_static_selectorELNS0_4arch9wavefront6targetE0EEEvS11_
; %bb.0:
	.section	.rodata,"a",@progbits
	.p2align	6, 0x0
	.amdhsa_kernel _ZN7rocprim17ROCPRIM_400000_NS6detail17trampoline_kernelINS0_14default_configENS1_21merge_config_selectorINS0_5tupleIJddEEENS0_10empty_typeEEEZNS1_10merge_implIS3_NS0_12zip_iteratorINS5_IJN6thrust23THRUST_200600_302600_NS6detail15normal_iteratorINSC_10device_ptrIKdEEEESI_EEEEESK_NSA_INS5_IJNSC_16discard_iteratorINSC_11use_defaultEEESN_EEEEEPS7_SQ_SQ_NSC_11hip_rocprim7__merge17predicate_wrapperIddNSC_4lessIdEEEEEE10hipError_tPvRmT0_T1_T2_T3_T4_T5_mmT6_P12ihipStream_tbEUlT_E0_NS1_11comp_targetILNS1_3genE9ELNS1_11target_archE1100ELNS1_3gpuE3ELNS1_3repE0EEENS1_30default_config_static_selectorELNS0_4arch9wavefront6targetE0EEEvS11_
		.amdhsa_group_segment_fixed_size 0
		.amdhsa_private_segment_fixed_size 0
		.amdhsa_kernarg_size 128
		.amdhsa_user_sgpr_count 2
		.amdhsa_user_sgpr_dispatch_ptr 0
		.amdhsa_user_sgpr_queue_ptr 0
		.amdhsa_user_sgpr_kernarg_segment_ptr 1
		.amdhsa_user_sgpr_dispatch_id 0
		.amdhsa_user_sgpr_kernarg_preload_length 0
		.amdhsa_user_sgpr_kernarg_preload_offset 0
		.amdhsa_user_sgpr_private_segment_size 0
		.amdhsa_wavefront_size32 1
		.amdhsa_uses_dynamic_stack 0
		.amdhsa_enable_private_segment 0
		.amdhsa_system_sgpr_workgroup_id_x 1
		.amdhsa_system_sgpr_workgroup_id_y 0
		.amdhsa_system_sgpr_workgroup_id_z 0
		.amdhsa_system_sgpr_workgroup_info 0
		.amdhsa_system_vgpr_workitem_id 0
		.amdhsa_next_free_vgpr 1
		.amdhsa_next_free_sgpr 1
		.amdhsa_named_barrier_count 0
		.amdhsa_reserve_vcc 0
		.amdhsa_float_round_mode_32 0
		.amdhsa_float_round_mode_16_64 0
		.amdhsa_float_denorm_mode_32 3
		.amdhsa_float_denorm_mode_16_64 3
		.amdhsa_fp16_overflow 0
		.amdhsa_memory_ordered 1
		.amdhsa_forward_progress 1
		.amdhsa_inst_pref_size 0
		.amdhsa_round_robin_scheduling 0
		.amdhsa_exception_fp_ieee_invalid_op 0
		.amdhsa_exception_fp_denorm_src 0
		.amdhsa_exception_fp_ieee_div_zero 0
		.amdhsa_exception_fp_ieee_overflow 0
		.amdhsa_exception_fp_ieee_underflow 0
		.amdhsa_exception_fp_ieee_inexact 0
		.amdhsa_exception_int_div_zero 0
	.end_amdhsa_kernel
	.section	.text._ZN7rocprim17ROCPRIM_400000_NS6detail17trampoline_kernelINS0_14default_configENS1_21merge_config_selectorINS0_5tupleIJddEEENS0_10empty_typeEEEZNS1_10merge_implIS3_NS0_12zip_iteratorINS5_IJN6thrust23THRUST_200600_302600_NS6detail15normal_iteratorINSC_10device_ptrIKdEEEESI_EEEEESK_NSA_INS5_IJNSC_16discard_iteratorINSC_11use_defaultEEESN_EEEEEPS7_SQ_SQ_NSC_11hip_rocprim7__merge17predicate_wrapperIddNSC_4lessIdEEEEEE10hipError_tPvRmT0_T1_T2_T3_T4_T5_mmT6_P12ihipStream_tbEUlT_E0_NS1_11comp_targetILNS1_3genE9ELNS1_11target_archE1100ELNS1_3gpuE3ELNS1_3repE0EEENS1_30default_config_static_selectorELNS0_4arch9wavefront6targetE0EEEvS11_,"axG",@progbits,_ZN7rocprim17ROCPRIM_400000_NS6detail17trampoline_kernelINS0_14default_configENS1_21merge_config_selectorINS0_5tupleIJddEEENS0_10empty_typeEEEZNS1_10merge_implIS3_NS0_12zip_iteratorINS5_IJN6thrust23THRUST_200600_302600_NS6detail15normal_iteratorINSC_10device_ptrIKdEEEESI_EEEEESK_NSA_INS5_IJNSC_16discard_iteratorINSC_11use_defaultEEESN_EEEEEPS7_SQ_SQ_NSC_11hip_rocprim7__merge17predicate_wrapperIddNSC_4lessIdEEEEEE10hipError_tPvRmT0_T1_T2_T3_T4_T5_mmT6_P12ihipStream_tbEUlT_E0_NS1_11comp_targetILNS1_3genE9ELNS1_11target_archE1100ELNS1_3gpuE3ELNS1_3repE0EEENS1_30default_config_static_selectorELNS0_4arch9wavefront6targetE0EEEvS11_,comdat
.Lfunc_end495:
	.size	_ZN7rocprim17ROCPRIM_400000_NS6detail17trampoline_kernelINS0_14default_configENS1_21merge_config_selectorINS0_5tupleIJddEEENS0_10empty_typeEEEZNS1_10merge_implIS3_NS0_12zip_iteratorINS5_IJN6thrust23THRUST_200600_302600_NS6detail15normal_iteratorINSC_10device_ptrIKdEEEESI_EEEEESK_NSA_INS5_IJNSC_16discard_iteratorINSC_11use_defaultEEESN_EEEEEPS7_SQ_SQ_NSC_11hip_rocprim7__merge17predicate_wrapperIddNSC_4lessIdEEEEEE10hipError_tPvRmT0_T1_T2_T3_T4_T5_mmT6_P12ihipStream_tbEUlT_E0_NS1_11comp_targetILNS1_3genE9ELNS1_11target_archE1100ELNS1_3gpuE3ELNS1_3repE0EEENS1_30default_config_static_selectorELNS0_4arch9wavefront6targetE0EEEvS11_, .Lfunc_end495-_ZN7rocprim17ROCPRIM_400000_NS6detail17trampoline_kernelINS0_14default_configENS1_21merge_config_selectorINS0_5tupleIJddEEENS0_10empty_typeEEEZNS1_10merge_implIS3_NS0_12zip_iteratorINS5_IJN6thrust23THRUST_200600_302600_NS6detail15normal_iteratorINSC_10device_ptrIKdEEEESI_EEEEESK_NSA_INS5_IJNSC_16discard_iteratorINSC_11use_defaultEEESN_EEEEEPS7_SQ_SQ_NSC_11hip_rocprim7__merge17predicate_wrapperIddNSC_4lessIdEEEEEE10hipError_tPvRmT0_T1_T2_T3_T4_T5_mmT6_P12ihipStream_tbEUlT_E0_NS1_11comp_targetILNS1_3genE9ELNS1_11target_archE1100ELNS1_3gpuE3ELNS1_3repE0EEENS1_30default_config_static_selectorELNS0_4arch9wavefront6targetE0EEEvS11_
                                        ; -- End function
	.set _ZN7rocprim17ROCPRIM_400000_NS6detail17trampoline_kernelINS0_14default_configENS1_21merge_config_selectorINS0_5tupleIJddEEENS0_10empty_typeEEEZNS1_10merge_implIS3_NS0_12zip_iteratorINS5_IJN6thrust23THRUST_200600_302600_NS6detail15normal_iteratorINSC_10device_ptrIKdEEEESI_EEEEESK_NSA_INS5_IJNSC_16discard_iteratorINSC_11use_defaultEEESN_EEEEEPS7_SQ_SQ_NSC_11hip_rocprim7__merge17predicate_wrapperIddNSC_4lessIdEEEEEE10hipError_tPvRmT0_T1_T2_T3_T4_T5_mmT6_P12ihipStream_tbEUlT_E0_NS1_11comp_targetILNS1_3genE9ELNS1_11target_archE1100ELNS1_3gpuE3ELNS1_3repE0EEENS1_30default_config_static_selectorELNS0_4arch9wavefront6targetE0EEEvS11_.num_vgpr, 0
	.set _ZN7rocprim17ROCPRIM_400000_NS6detail17trampoline_kernelINS0_14default_configENS1_21merge_config_selectorINS0_5tupleIJddEEENS0_10empty_typeEEEZNS1_10merge_implIS3_NS0_12zip_iteratorINS5_IJN6thrust23THRUST_200600_302600_NS6detail15normal_iteratorINSC_10device_ptrIKdEEEESI_EEEEESK_NSA_INS5_IJNSC_16discard_iteratorINSC_11use_defaultEEESN_EEEEEPS7_SQ_SQ_NSC_11hip_rocprim7__merge17predicate_wrapperIddNSC_4lessIdEEEEEE10hipError_tPvRmT0_T1_T2_T3_T4_T5_mmT6_P12ihipStream_tbEUlT_E0_NS1_11comp_targetILNS1_3genE9ELNS1_11target_archE1100ELNS1_3gpuE3ELNS1_3repE0EEENS1_30default_config_static_selectorELNS0_4arch9wavefront6targetE0EEEvS11_.num_agpr, 0
	.set _ZN7rocprim17ROCPRIM_400000_NS6detail17trampoline_kernelINS0_14default_configENS1_21merge_config_selectorINS0_5tupleIJddEEENS0_10empty_typeEEEZNS1_10merge_implIS3_NS0_12zip_iteratorINS5_IJN6thrust23THRUST_200600_302600_NS6detail15normal_iteratorINSC_10device_ptrIKdEEEESI_EEEEESK_NSA_INS5_IJNSC_16discard_iteratorINSC_11use_defaultEEESN_EEEEEPS7_SQ_SQ_NSC_11hip_rocprim7__merge17predicate_wrapperIddNSC_4lessIdEEEEEE10hipError_tPvRmT0_T1_T2_T3_T4_T5_mmT6_P12ihipStream_tbEUlT_E0_NS1_11comp_targetILNS1_3genE9ELNS1_11target_archE1100ELNS1_3gpuE3ELNS1_3repE0EEENS1_30default_config_static_selectorELNS0_4arch9wavefront6targetE0EEEvS11_.numbered_sgpr, 0
	.set _ZN7rocprim17ROCPRIM_400000_NS6detail17trampoline_kernelINS0_14default_configENS1_21merge_config_selectorINS0_5tupleIJddEEENS0_10empty_typeEEEZNS1_10merge_implIS3_NS0_12zip_iteratorINS5_IJN6thrust23THRUST_200600_302600_NS6detail15normal_iteratorINSC_10device_ptrIKdEEEESI_EEEEESK_NSA_INS5_IJNSC_16discard_iteratorINSC_11use_defaultEEESN_EEEEEPS7_SQ_SQ_NSC_11hip_rocprim7__merge17predicate_wrapperIddNSC_4lessIdEEEEEE10hipError_tPvRmT0_T1_T2_T3_T4_T5_mmT6_P12ihipStream_tbEUlT_E0_NS1_11comp_targetILNS1_3genE9ELNS1_11target_archE1100ELNS1_3gpuE3ELNS1_3repE0EEENS1_30default_config_static_selectorELNS0_4arch9wavefront6targetE0EEEvS11_.num_named_barrier, 0
	.set _ZN7rocprim17ROCPRIM_400000_NS6detail17trampoline_kernelINS0_14default_configENS1_21merge_config_selectorINS0_5tupleIJddEEENS0_10empty_typeEEEZNS1_10merge_implIS3_NS0_12zip_iteratorINS5_IJN6thrust23THRUST_200600_302600_NS6detail15normal_iteratorINSC_10device_ptrIKdEEEESI_EEEEESK_NSA_INS5_IJNSC_16discard_iteratorINSC_11use_defaultEEESN_EEEEEPS7_SQ_SQ_NSC_11hip_rocprim7__merge17predicate_wrapperIddNSC_4lessIdEEEEEE10hipError_tPvRmT0_T1_T2_T3_T4_T5_mmT6_P12ihipStream_tbEUlT_E0_NS1_11comp_targetILNS1_3genE9ELNS1_11target_archE1100ELNS1_3gpuE3ELNS1_3repE0EEENS1_30default_config_static_selectorELNS0_4arch9wavefront6targetE0EEEvS11_.private_seg_size, 0
	.set _ZN7rocprim17ROCPRIM_400000_NS6detail17trampoline_kernelINS0_14default_configENS1_21merge_config_selectorINS0_5tupleIJddEEENS0_10empty_typeEEEZNS1_10merge_implIS3_NS0_12zip_iteratorINS5_IJN6thrust23THRUST_200600_302600_NS6detail15normal_iteratorINSC_10device_ptrIKdEEEESI_EEEEESK_NSA_INS5_IJNSC_16discard_iteratorINSC_11use_defaultEEESN_EEEEEPS7_SQ_SQ_NSC_11hip_rocprim7__merge17predicate_wrapperIddNSC_4lessIdEEEEEE10hipError_tPvRmT0_T1_T2_T3_T4_T5_mmT6_P12ihipStream_tbEUlT_E0_NS1_11comp_targetILNS1_3genE9ELNS1_11target_archE1100ELNS1_3gpuE3ELNS1_3repE0EEENS1_30default_config_static_selectorELNS0_4arch9wavefront6targetE0EEEvS11_.uses_vcc, 0
	.set _ZN7rocprim17ROCPRIM_400000_NS6detail17trampoline_kernelINS0_14default_configENS1_21merge_config_selectorINS0_5tupleIJddEEENS0_10empty_typeEEEZNS1_10merge_implIS3_NS0_12zip_iteratorINS5_IJN6thrust23THRUST_200600_302600_NS6detail15normal_iteratorINSC_10device_ptrIKdEEEESI_EEEEESK_NSA_INS5_IJNSC_16discard_iteratorINSC_11use_defaultEEESN_EEEEEPS7_SQ_SQ_NSC_11hip_rocprim7__merge17predicate_wrapperIddNSC_4lessIdEEEEEE10hipError_tPvRmT0_T1_T2_T3_T4_T5_mmT6_P12ihipStream_tbEUlT_E0_NS1_11comp_targetILNS1_3genE9ELNS1_11target_archE1100ELNS1_3gpuE3ELNS1_3repE0EEENS1_30default_config_static_selectorELNS0_4arch9wavefront6targetE0EEEvS11_.uses_flat_scratch, 0
	.set _ZN7rocprim17ROCPRIM_400000_NS6detail17trampoline_kernelINS0_14default_configENS1_21merge_config_selectorINS0_5tupleIJddEEENS0_10empty_typeEEEZNS1_10merge_implIS3_NS0_12zip_iteratorINS5_IJN6thrust23THRUST_200600_302600_NS6detail15normal_iteratorINSC_10device_ptrIKdEEEESI_EEEEESK_NSA_INS5_IJNSC_16discard_iteratorINSC_11use_defaultEEESN_EEEEEPS7_SQ_SQ_NSC_11hip_rocprim7__merge17predicate_wrapperIddNSC_4lessIdEEEEEE10hipError_tPvRmT0_T1_T2_T3_T4_T5_mmT6_P12ihipStream_tbEUlT_E0_NS1_11comp_targetILNS1_3genE9ELNS1_11target_archE1100ELNS1_3gpuE3ELNS1_3repE0EEENS1_30default_config_static_selectorELNS0_4arch9wavefront6targetE0EEEvS11_.has_dyn_sized_stack, 0
	.set _ZN7rocprim17ROCPRIM_400000_NS6detail17trampoline_kernelINS0_14default_configENS1_21merge_config_selectorINS0_5tupleIJddEEENS0_10empty_typeEEEZNS1_10merge_implIS3_NS0_12zip_iteratorINS5_IJN6thrust23THRUST_200600_302600_NS6detail15normal_iteratorINSC_10device_ptrIKdEEEESI_EEEEESK_NSA_INS5_IJNSC_16discard_iteratorINSC_11use_defaultEEESN_EEEEEPS7_SQ_SQ_NSC_11hip_rocprim7__merge17predicate_wrapperIddNSC_4lessIdEEEEEE10hipError_tPvRmT0_T1_T2_T3_T4_T5_mmT6_P12ihipStream_tbEUlT_E0_NS1_11comp_targetILNS1_3genE9ELNS1_11target_archE1100ELNS1_3gpuE3ELNS1_3repE0EEENS1_30default_config_static_selectorELNS0_4arch9wavefront6targetE0EEEvS11_.has_recursion, 0
	.set _ZN7rocprim17ROCPRIM_400000_NS6detail17trampoline_kernelINS0_14default_configENS1_21merge_config_selectorINS0_5tupleIJddEEENS0_10empty_typeEEEZNS1_10merge_implIS3_NS0_12zip_iteratorINS5_IJN6thrust23THRUST_200600_302600_NS6detail15normal_iteratorINSC_10device_ptrIKdEEEESI_EEEEESK_NSA_INS5_IJNSC_16discard_iteratorINSC_11use_defaultEEESN_EEEEEPS7_SQ_SQ_NSC_11hip_rocprim7__merge17predicate_wrapperIddNSC_4lessIdEEEEEE10hipError_tPvRmT0_T1_T2_T3_T4_T5_mmT6_P12ihipStream_tbEUlT_E0_NS1_11comp_targetILNS1_3genE9ELNS1_11target_archE1100ELNS1_3gpuE3ELNS1_3repE0EEENS1_30default_config_static_selectorELNS0_4arch9wavefront6targetE0EEEvS11_.has_indirect_call, 0
	.section	.AMDGPU.csdata,"",@progbits
; Kernel info:
; codeLenInByte = 0
; TotalNumSgprs: 0
; NumVgprs: 0
; ScratchSize: 0
; MemoryBound: 0
; FloatMode: 240
; IeeeMode: 1
; LDSByteSize: 0 bytes/workgroup (compile time only)
; SGPRBlocks: 0
; VGPRBlocks: 0
; NumSGPRsForWavesPerEU: 1
; NumVGPRsForWavesPerEU: 1
; NamedBarCnt: 0
; Occupancy: 16
; WaveLimiterHint : 0
; COMPUTE_PGM_RSRC2:SCRATCH_EN: 0
; COMPUTE_PGM_RSRC2:USER_SGPR: 2
; COMPUTE_PGM_RSRC2:TRAP_HANDLER: 0
; COMPUTE_PGM_RSRC2:TGID_X_EN: 1
; COMPUTE_PGM_RSRC2:TGID_Y_EN: 0
; COMPUTE_PGM_RSRC2:TGID_Z_EN: 0
; COMPUTE_PGM_RSRC2:TIDIG_COMP_CNT: 0
	.section	.text._ZN7rocprim17ROCPRIM_400000_NS6detail17trampoline_kernelINS0_14default_configENS1_21merge_config_selectorINS0_5tupleIJddEEENS0_10empty_typeEEEZNS1_10merge_implIS3_NS0_12zip_iteratorINS5_IJN6thrust23THRUST_200600_302600_NS6detail15normal_iteratorINSC_10device_ptrIKdEEEESI_EEEEESK_NSA_INS5_IJNSC_16discard_iteratorINSC_11use_defaultEEESN_EEEEEPS7_SQ_SQ_NSC_11hip_rocprim7__merge17predicate_wrapperIddNSC_4lessIdEEEEEE10hipError_tPvRmT0_T1_T2_T3_T4_T5_mmT6_P12ihipStream_tbEUlT_E0_NS1_11comp_targetILNS1_3genE8ELNS1_11target_archE1030ELNS1_3gpuE2ELNS1_3repE0EEENS1_30default_config_static_selectorELNS0_4arch9wavefront6targetE0EEEvS11_,"axG",@progbits,_ZN7rocprim17ROCPRIM_400000_NS6detail17trampoline_kernelINS0_14default_configENS1_21merge_config_selectorINS0_5tupleIJddEEENS0_10empty_typeEEEZNS1_10merge_implIS3_NS0_12zip_iteratorINS5_IJN6thrust23THRUST_200600_302600_NS6detail15normal_iteratorINSC_10device_ptrIKdEEEESI_EEEEESK_NSA_INS5_IJNSC_16discard_iteratorINSC_11use_defaultEEESN_EEEEEPS7_SQ_SQ_NSC_11hip_rocprim7__merge17predicate_wrapperIddNSC_4lessIdEEEEEE10hipError_tPvRmT0_T1_T2_T3_T4_T5_mmT6_P12ihipStream_tbEUlT_E0_NS1_11comp_targetILNS1_3genE8ELNS1_11target_archE1030ELNS1_3gpuE2ELNS1_3repE0EEENS1_30default_config_static_selectorELNS0_4arch9wavefront6targetE0EEEvS11_,comdat
	.protected	_ZN7rocprim17ROCPRIM_400000_NS6detail17trampoline_kernelINS0_14default_configENS1_21merge_config_selectorINS0_5tupleIJddEEENS0_10empty_typeEEEZNS1_10merge_implIS3_NS0_12zip_iteratorINS5_IJN6thrust23THRUST_200600_302600_NS6detail15normal_iteratorINSC_10device_ptrIKdEEEESI_EEEEESK_NSA_INS5_IJNSC_16discard_iteratorINSC_11use_defaultEEESN_EEEEEPS7_SQ_SQ_NSC_11hip_rocprim7__merge17predicate_wrapperIddNSC_4lessIdEEEEEE10hipError_tPvRmT0_T1_T2_T3_T4_T5_mmT6_P12ihipStream_tbEUlT_E0_NS1_11comp_targetILNS1_3genE8ELNS1_11target_archE1030ELNS1_3gpuE2ELNS1_3repE0EEENS1_30default_config_static_selectorELNS0_4arch9wavefront6targetE0EEEvS11_ ; -- Begin function _ZN7rocprim17ROCPRIM_400000_NS6detail17trampoline_kernelINS0_14default_configENS1_21merge_config_selectorINS0_5tupleIJddEEENS0_10empty_typeEEEZNS1_10merge_implIS3_NS0_12zip_iteratorINS5_IJN6thrust23THRUST_200600_302600_NS6detail15normal_iteratorINSC_10device_ptrIKdEEEESI_EEEEESK_NSA_INS5_IJNSC_16discard_iteratorINSC_11use_defaultEEESN_EEEEEPS7_SQ_SQ_NSC_11hip_rocprim7__merge17predicate_wrapperIddNSC_4lessIdEEEEEE10hipError_tPvRmT0_T1_T2_T3_T4_T5_mmT6_P12ihipStream_tbEUlT_E0_NS1_11comp_targetILNS1_3genE8ELNS1_11target_archE1030ELNS1_3gpuE2ELNS1_3repE0EEENS1_30default_config_static_selectorELNS0_4arch9wavefront6targetE0EEEvS11_
	.globl	_ZN7rocprim17ROCPRIM_400000_NS6detail17trampoline_kernelINS0_14default_configENS1_21merge_config_selectorINS0_5tupleIJddEEENS0_10empty_typeEEEZNS1_10merge_implIS3_NS0_12zip_iteratorINS5_IJN6thrust23THRUST_200600_302600_NS6detail15normal_iteratorINSC_10device_ptrIKdEEEESI_EEEEESK_NSA_INS5_IJNSC_16discard_iteratorINSC_11use_defaultEEESN_EEEEEPS7_SQ_SQ_NSC_11hip_rocprim7__merge17predicate_wrapperIddNSC_4lessIdEEEEEE10hipError_tPvRmT0_T1_T2_T3_T4_T5_mmT6_P12ihipStream_tbEUlT_E0_NS1_11comp_targetILNS1_3genE8ELNS1_11target_archE1030ELNS1_3gpuE2ELNS1_3repE0EEENS1_30default_config_static_selectorELNS0_4arch9wavefront6targetE0EEEvS11_
	.p2align	8
	.type	_ZN7rocprim17ROCPRIM_400000_NS6detail17trampoline_kernelINS0_14default_configENS1_21merge_config_selectorINS0_5tupleIJddEEENS0_10empty_typeEEEZNS1_10merge_implIS3_NS0_12zip_iteratorINS5_IJN6thrust23THRUST_200600_302600_NS6detail15normal_iteratorINSC_10device_ptrIKdEEEESI_EEEEESK_NSA_INS5_IJNSC_16discard_iteratorINSC_11use_defaultEEESN_EEEEEPS7_SQ_SQ_NSC_11hip_rocprim7__merge17predicate_wrapperIddNSC_4lessIdEEEEEE10hipError_tPvRmT0_T1_T2_T3_T4_T5_mmT6_P12ihipStream_tbEUlT_E0_NS1_11comp_targetILNS1_3genE8ELNS1_11target_archE1030ELNS1_3gpuE2ELNS1_3repE0EEENS1_30default_config_static_selectorELNS0_4arch9wavefront6targetE0EEEvS11_,@function
_ZN7rocprim17ROCPRIM_400000_NS6detail17trampoline_kernelINS0_14default_configENS1_21merge_config_selectorINS0_5tupleIJddEEENS0_10empty_typeEEEZNS1_10merge_implIS3_NS0_12zip_iteratorINS5_IJN6thrust23THRUST_200600_302600_NS6detail15normal_iteratorINSC_10device_ptrIKdEEEESI_EEEEESK_NSA_INS5_IJNSC_16discard_iteratorINSC_11use_defaultEEESN_EEEEEPS7_SQ_SQ_NSC_11hip_rocprim7__merge17predicate_wrapperIddNSC_4lessIdEEEEEE10hipError_tPvRmT0_T1_T2_T3_T4_T5_mmT6_P12ihipStream_tbEUlT_E0_NS1_11comp_targetILNS1_3genE8ELNS1_11target_archE1030ELNS1_3gpuE2ELNS1_3repE0EEENS1_30default_config_static_selectorELNS0_4arch9wavefront6targetE0EEEvS11_: ; @_ZN7rocprim17ROCPRIM_400000_NS6detail17trampoline_kernelINS0_14default_configENS1_21merge_config_selectorINS0_5tupleIJddEEENS0_10empty_typeEEEZNS1_10merge_implIS3_NS0_12zip_iteratorINS5_IJN6thrust23THRUST_200600_302600_NS6detail15normal_iteratorINSC_10device_ptrIKdEEEESI_EEEEESK_NSA_INS5_IJNSC_16discard_iteratorINSC_11use_defaultEEESN_EEEEEPS7_SQ_SQ_NSC_11hip_rocprim7__merge17predicate_wrapperIddNSC_4lessIdEEEEEE10hipError_tPvRmT0_T1_T2_T3_T4_T5_mmT6_P12ihipStream_tbEUlT_E0_NS1_11comp_targetILNS1_3genE8ELNS1_11target_archE1030ELNS1_3gpuE2ELNS1_3repE0EEENS1_30default_config_static_selectorELNS0_4arch9wavefront6targetE0EEEvS11_
; %bb.0:
	.section	.rodata,"a",@progbits
	.p2align	6, 0x0
	.amdhsa_kernel _ZN7rocprim17ROCPRIM_400000_NS6detail17trampoline_kernelINS0_14default_configENS1_21merge_config_selectorINS0_5tupleIJddEEENS0_10empty_typeEEEZNS1_10merge_implIS3_NS0_12zip_iteratorINS5_IJN6thrust23THRUST_200600_302600_NS6detail15normal_iteratorINSC_10device_ptrIKdEEEESI_EEEEESK_NSA_INS5_IJNSC_16discard_iteratorINSC_11use_defaultEEESN_EEEEEPS7_SQ_SQ_NSC_11hip_rocprim7__merge17predicate_wrapperIddNSC_4lessIdEEEEEE10hipError_tPvRmT0_T1_T2_T3_T4_T5_mmT6_P12ihipStream_tbEUlT_E0_NS1_11comp_targetILNS1_3genE8ELNS1_11target_archE1030ELNS1_3gpuE2ELNS1_3repE0EEENS1_30default_config_static_selectorELNS0_4arch9wavefront6targetE0EEEvS11_
		.amdhsa_group_segment_fixed_size 0
		.amdhsa_private_segment_fixed_size 0
		.amdhsa_kernarg_size 128
		.amdhsa_user_sgpr_count 2
		.amdhsa_user_sgpr_dispatch_ptr 0
		.amdhsa_user_sgpr_queue_ptr 0
		.amdhsa_user_sgpr_kernarg_segment_ptr 1
		.amdhsa_user_sgpr_dispatch_id 0
		.amdhsa_user_sgpr_kernarg_preload_length 0
		.amdhsa_user_sgpr_kernarg_preload_offset 0
		.amdhsa_user_sgpr_private_segment_size 0
		.amdhsa_wavefront_size32 1
		.amdhsa_uses_dynamic_stack 0
		.amdhsa_enable_private_segment 0
		.amdhsa_system_sgpr_workgroup_id_x 1
		.amdhsa_system_sgpr_workgroup_id_y 0
		.amdhsa_system_sgpr_workgroup_id_z 0
		.amdhsa_system_sgpr_workgroup_info 0
		.amdhsa_system_vgpr_workitem_id 0
		.amdhsa_next_free_vgpr 1
		.amdhsa_next_free_sgpr 1
		.amdhsa_named_barrier_count 0
		.amdhsa_reserve_vcc 0
		.amdhsa_float_round_mode_32 0
		.amdhsa_float_round_mode_16_64 0
		.amdhsa_float_denorm_mode_32 3
		.amdhsa_float_denorm_mode_16_64 3
		.amdhsa_fp16_overflow 0
		.amdhsa_memory_ordered 1
		.amdhsa_forward_progress 1
		.amdhsa_inst_pref_size 0
		.amdhsa_round_robin_scheduling 0
		.amdhsa_exception_fp_ieee_invalid_op 0
		.amdhsa_exception_fp_denorm_src 0
		.amdhsa_exception_fp_ieee_div_zero 0
		.amdhsa_exception_fp_ieee_overflow 0
		.amdhsa_exception_fp_ieee_underflow 0
		.amdhsa_exception_fp_ieee_inexact 0
		.amdhsa_exception_int_div_zero 0
	.end_amdhsa_kernel
	.section	.text._ZN7rocprim17ROCPRIM_400000_NS6detail17trampoline_kernelINS0_14default_configENS1_21merge_config_selectorINS0_5tupleIJddEEENS0_10empty_typeEEEZNS1_10merge_implIS3_NS0_12zip_iteratorINS5_IJN6thrust23THRUST_200600_302600_NS6detail15normal_iteratorINSC_10device_ptrIKdEEEESI_EEEEESK_NSA_INS5_IJNSC_16discard_iteratorINSC_11use_defaultEEESN_EEEEEPS7_SQ_SQ_NSC_11hip_rocprim7__merge17predicate_wrapperIddNSC_4lessIdEEEEEE10hipError_tPvRmT0_T1_T2_T3_T4_T5_mmT6_P12ihipStream_tbEUlT_E0_NS1_11comp_targetILNS1_3genE8ELNS1_11target_archE1030ELNS1_3gpuE2ELNS1_3repE0EEENS1_30default_config_static_selectorELNS0_4arch9wavefront6targetE0EEEvS11_,"axG",@progbits,_ZN7rocprim17ROCPRIM_400000_NS6detail17trampoline_kernelINS0_14default_configENS1_21merge_config_selectorINS0_5tupleIJddEEENS0_10empty_typeEEEZNS1_10merge_implIS3_NS0_12zip_iteratorINS5_IJN6thrust23THRUST_200600_302600_NS6detail15normal_iteratorINSC_10device_ptrIKdEEEESI_EEEEESK_NSA_INS5_IJNSC_16discard_iteratorINSC_11use_defaultEEESN_EEEEEPS7_SQ_SQ_NSC_11hip_rocprim7__merge17predicate_wrapperIddNSC_4lessIdEEEEEE10hipError_tPvRmT0_T1_T2_T3_T4_T5_mmT6_P12ihipStream_tbEUlT_E0_NS1_11comp_targetILNS1_3genE8ELNS1_11target_archE1030ELNS1_3gpuE2ELNS1_3repE0EEENS1_30default_config_static_selectorELNS0_4arch9wavefront6targetE0EEEvS11_,comdat
.Lfunc_end496:
	.size	_ZN7rocprim17ROCPRIM_400000_NS6detail17trampoline_kernelINS0_14default_configENS1_21merge_config_selectorINS0_5tupleIJddEEENS0_10empty_typeEEEZNS1_10merge_implIS3_NS0_12zip_iteratorINS5_IJN6thrust23THRUST_200600_302600_NS6detail15normal_iteratorINSC_10device_ptrIKdEEEESI_EEEEESK_NSA_INS5_IJNSC_16discard_iteratorINSC_11use_defaultEEESN_EEEEEPS7_SQ_SQ_NSC_11hip_rocprim7__merge17predicate_wrapperIddNSC_4lessIdEEEEEE10hipError_tPvRmT0_T1_T2_T3_T4_T5_mmT6_P12ihipStream_tbEUlT_E0_NS1_11comp_targetILNS1_3genE8ELNS1_11target_archE1030ELNS1_3gpuE2ELNS1_3repE0EEENS1_30default_config_static_selectorELNS0_4arch9wavefront6targetE0EEEvS11_, .Lfunc_end496-_ZN7rocprim17ROCPRIM_400000_NS6detail17trampoline_kernelINS0_14default_configENS1_21merge_config_selectorINS0_5tupleIJddEEENS0_10empty_typeEEEZNS1_10merge_implIS3_NS0_12zip_iteratorINS5_IJN6thrust23THRUST_200600_302600_NS6detail15normal_iteratorINSC_10device_ptrIKdEEEESI_EEEEESK_NSA_INS5_IJNSC_16discard_iteratorINSC_11use_defaultEEESN_EEEEEPS7_SQ_SQ_NSC_11hip_rocprim7__merge17predicate_wrapperIddNSC_4lessIdEEEEEE10hipError_tPvRmT0_T1_T2_T3_T4_T5_mmT6_P12ihipStream_tbEUlT_E0_NS1_11comp_targetILNS1_3genE8ELNS1_11target_archE1030ELNS1_3gpuE2ELNS1_3repE0EEENS1_30default_config_static_selectorELNS0_4arch9wavefront6targetE0EEEvS11_
                                        ; -- End function
	.set _ZN7rocprim17ROCPRIM_400000_NS6detail17trampoline_kernelINS0_14default_configENS1_21merge_config_selectorINS0_5tupleIJddEEENS0_10empty_typeEEEZNS1_10merge_implIS3_NS0_12zip_iteratorINS5_IJN6thrust23THRUST_200600_302600_NS6detail15normal_iteratorINSC_10device_ptrIKdEEEESI_EEEEESK_NSA_INS5_IJNSC_16discard_iteratorINSC_11use_defaultEEESN_EEEEEPS7_SQ_SQ_NSC_11hip_rocprim7__merge17predicate_wrapperIddNSC_4lessIdEEEEEE10hipError_tPvRmT0_T1_T2_T3_T4_T5_mmT6_P12ihipStream_tbEUlT_E0_NS1_11comp_targetILNS1_3genE8ELNS1_11target_archE1030ELNS1_3gpuE2ELNS1_3repE0EEENS1_30default_config_static_selectorELNS0_4arch9wavefront6targetE0EEEvS11_.num_vgpr, 0
	.set _ZN7rocprim17ROCPRIM_400000_NS6detail17trampoline_kernelINS0_14default_configENS1_21merge_config_selectorINS0_5tupleIJddEEENS0_10empty_typeEEEZNS1_10merge_implIS3_NS0_12zip_iteratorINS5_IJN6thrust23THRUST_200600_302600_NS6detail15normal_iteratorINSC_10device_ptrIKdEEEESI_EEEEESK_NSA_INS5_IJNSC_16discard_iteratorINSC_11use_defaultEEESN_EEEEEPS7_SQ_SQ_NSC_11hip_rocprim7__merge17predicate_wrapperIddNSC_4lessIdEEEEEE10hipError_tPvRmT0_T1_T2_T3_T4_T5_mmT6_P12ihipStream_tbEUlT_E0_NS1_11comp_targetILNS1_3genE8ELNS1_11target_archE1030ELNS1_3gpuE2ELNS1_3repE0EEENS1_30default_config_static_selectorELNS0_4arch9wavefront6targetE0EEEvS11_.num_agpr, 0
	.set _ZN7rocprim17ROCPRIM_400000_NS6detail17trampoline_kernelINS0_14default_configENS1_21merge_config_selectorINS0_5tupleIJddEEENS0_10empty_typeEEEZNS1_10merge_implIS3_NS0_12zip_iteratorINS5_IJN6thrust23THRUST_200600_302600_NS6detail15normal_iteratorINSC_10device_ptrIKdEEEESI_EEEEESK_NSA_INS5_IJNSC_16discard_iteratorINSC_11use_defaultEEESN_EEEEEPS7_SQ_SQ_NSC_11hip_rocprim7__merge17predicate_wrapperIddNSC_4lessIdEEEEEE10hipError_tPvRmT0_T1_T2_T3_T4_T5_mmT6_P12ihipStream_tbEUlT_E0_NS1_11comp_targetILNS1_3genE8ELNS1_11target_archE1030ELNS1_3gpuE2ELNS1_3repE0EEENS1_30default_config_static_selectorELNS0_4arch9wavefront6targetE0EEEvS11_.numbered_sgpr, 0
	.set _ZN7rocprim17ROCPRIM_400000_NS6detail17trampoline_kernelINS0_14default_configENS1_21merge_config_selectorINS0_5tupleIJddEEENS0_10empty_typeEEEZNS1_10merge_implIS3_NS0_12zip_iteratorINS5_IJN6thrust23THRUST_200600_302600_NS6detail15normal_iteratorINSC_10device_ptrIKdEEEESI_EEEEESK_NSA_INS5_IJNSC_16discard_iteratorINSC_11use_defaultEEESN_EEEEEPS7_SQ_SQ_NSC_11hip_rocprim7__merge17predicate_wrapperIddNSC_4lessIdEEEEEE10hipError_tPvRmT0_T1_T2_T3_T4_T5_mmT6_P12ihipStream_tbEUlT_E0_NS1_11comp_targetILNS1_3genE8ELNS1_11target_archE1030ELNS1_3gpuE2ELNS1_3repE0EEENS1_30default_config_static_selectorELNS0_4arch9wavefront6targetE0EEEvS11_.num_named_barrier, 0
	.set _ZN7rocprim17ROCPRIM_400000_NS6detail17trampoline_kernelINS0_14default_configENS1_21merge_config_selectorINS0_5tupleIJddEEENS0_10empty_typeEEEZNS1_10merge_implIS3_NS0_12zip_iteratorINS5_IJN6thrust23THRUST_200600_302600_NS6detail15normal_iteratorINSC_10device_ptrIKdEEEESI_EEEEESK_NSA_INS5_IJNSC_16discard_iteratorINSC_11use_defaultEEESN_EEEEEPS7_SQ_SQ_NSC_11hip_rocprim7__merge17predicate_wrapperIddNSC_4lessIdEEEEEE10hipError_tPvRmT0_T1_T2_T3_T4_T5_mmT6_P12ihipStream_tbEUlT_E0_NS1_11comp_targetILNS1_3genE8ELNS1_11target_archE1030ELNS1_3gpuE2ELNS1_3repE0EEENS1_30default_config_static_selectorELNS0_4arch9wavefront6targetE0EEEvS11_.private_seg_size, 0
	.set _ZN7rocprim17ROCPRIM_400000_NS6detail17trampoline_kernelINS0_14default_configENS1_21merge_config_selectorINS0_5tupleIJddEEENS0_10empty_typeEEEZNS1_10merge_implIS3_NS0_12zip_iteratorINS5_IJN6thrust23THRUST_200600_302600_NS6detail15normal_iteratorINSC_10device_ptrIKdEEEESI_EEEEESK_NSA_INS5_IJNSC_16discard_iteratorINSC_11use_defaultEEESN_EEEEEPS7_SQ_SQ_NSC_11hip_rocprim7__merge17predicate_wrapperIddNSC_4lessIdEEEEEE10hipError_tPvRmT0_T1_T2_T3_T4_T5_mmT6_P12ihipStream_tbEUlT_E0_NS1_11comp_targetILNS1_3genE8ELNS1_11target_archE1030ELNS1_3gpuE2ELNS1_3repE0EEENS1_30default_config_static_selectorELNS0_4arch9wavefront6targetE0EEEvS11_.uses_vcc, 0
	.set _ZN7rocprim17ROCPRIM_400000_NS6detail17trampoline_kernelINS0_14default_configENS1_21merge_config_selectorINS0_5tupleIJddEEENS0_10empty_typeEEEZNS1_10merge_implIS3_NS0_12zip_iteratorINS5_IJN6thrust23THRUST_200600_302600_NS6detail15normal_iteratorINSC_10device_ptrIKdEEEESI_EEEEESK_NSA_INS5_IJNSC_16discard_iteratorINSC_11use_defaultEEESN_EEEEEPS7_SQ_SQ_NSC_11hip_rocprim7__merge17predicate_wrapperIddNSC_4lessIdEEEEEE10hipError_tPvRmT0_T1_T2_T3_T4_T5_mmT6_P12ihipStream_tbEUlT_E0_NS1_11comp_targetILNS1_3genE8ELNS1_11target_archE1030ELNS1_3gpuE2ELNS1_3repE0EEENS1_30default_config_static_selectorELNS0_4arch9wavefront6targetE0EEEvS11_.uses_flat_scratch, 0
	.set _ZN7rocprim17ROCPRIM_400000_NS6detail17trampoline_kernelINS0_14default_configENS1_21merge_config_selectorINS0_5tupleIJddEEENS0_10empty_typeEEEZNS1_10merge_implIS3_NS0_12zip_iteratorINS5_IJN6thrust23THRUST_200600_302600_NS6detail15normal_iteratorINSC_10device_ptrIKdEEEESI_EEEEESK_NSA_INS5_IJNSC_16discard_iteratorINSC_11use_defaultEEESN_EEEEEPS7_SQ_SQ_NSC_11hip_rocprim7__merge17predicate_wrapperIddNSC_4lessIdEEEEEE10hipError_tPvRmT0_T1_T2_T3_T4_T5_mmT6_P12ihipStream_tbEUlT_E0_NS1_11comp_targetILNS1_3genE8ELNS1_11target_archE1030ELNS1_3gpuE2ELNS1_3repE0EEENS1_30default_config_static_selectorELNS0_4arch9wavefront6targetE0EEEvS11_.has_dyn_sized_stack, 0
	.set _ZN7rocprim17ROCPRIM_400000_NS6detail17trampoline_kernelINS0_14default_configENS1_21merge_config_selectorINS0_5tupleIJddEEENS0_10empty_typeEEEZNS1_10merge_implIS3_NS0_12zip_iteratorINS5_IJN6thrust23THRUST_200600_302600_NS6detail15normal_iteratorINSC_10device_ptrIKdEEEESI_EEEEESK_NSA_INS5_IJNSC_16discard_iteratorINSC_11use_defaultEEESN_EEEEEPS7_SQ_SQ_NSC_11hip_rocprim7__merge17predicate_wrapperIddNSC_4lessIdEEEEEE10hipError_tPvRmT0_T1_T2_T3_T4_T5_mmT6_P12ihipStream_tbEUlT_E0_NS1_11comp_targetILNS1_3genE8ELNS1_11target_archE1030ELNS1_3gpuE2ELNS1_3repE0EEENS1_30default_config_static_selectorELNS0_4arch9wavefront6targetE0EEEvS11_.has_recursion, 0
	.set _ZN7rocprim17ROCPRIM_400000_NS6detail17trampoline_kernelINS0_14default_configENS1_21merge_config_selectorINS0_5tupleIJddEEENS0_10empty_typeEEEZNS1_10merge_implIS3_NS0_12zip_iteratorINS5_IJN6thrust23THRUST_200600_302600_NS6detail15normal_iteratorINSC_10device_ptrIKdEEEESI_EEEEESK_NSA_INS5_IJNSC_16discard_iteratorINSC_11use_defaultEEESN_EEEEEPS7_SQ_SQ_NSC_11hip_rocprim7__merge17predicate_wrapperIddNSC_4lessIdEEEEEE10hipError_tPvRmT0_T1_T2_T3_T4_T5_mmT6_P12ihipStream_tbEUlT_E0_NS1_11comp_targetILNS1_3genE8ELNS1_11target_archE1030ELNS1_3gpuE2ELNS1_3repE0EEENS1_30default_config_static_selectorELNS0_4arch9wavefront6targetE0EEEvS11_.has_indirect_call, 0
	.section	.AMDGPU.csdata,"",@progbits
; Kernel info:
; codeLenInByte = 0
; TotalNumSgprs: 0
; NumVgprs: 0
; ScratchSize: 0
; MemoryBound: 0
; FloatMode: 240
; IeeeMode: 1
; LDSByteSize: 0 bytes/workgroup (compile time only)
; SGPRBlocks: 0
; VGPRBlocks: 0
; NumSGPRsForWavesPerEU: 1
; NumVGPRsForWavesPerEU: 1
; NamedBarCnt: 0
; Occupancy: 16
; WaveLimiterHint : 0
; COMPUTE_PGM_RSRC2:SCRATCH_EN: 0
; COMPUTE_PGM_RSRC2:USER_SGPR: 2
; COMPUTE_PGM_RSRC2:TRAP_HANDLER: 0
; COMPUTE_PGM_RSRC2:TGID_X_EN: 1
; COMPUTE_PGM_RSRC2:TGID_Y_EN: 0
; COMPUTE_PGM_RSRC2:TGID_Z_EN: 0
; COMPUTE_PGM_RSRC2:TIDIG_COMP_CNT: 0
	.section	.text._ZN7rocprim17ROCPRIM_400000_NS6detail17trampoline_kernelINS0_14default_configENS1_21merge_config_selectorINS0_5tupleIJffEEENS0_10empty_typeEEEZNS1_10merge_implIS3_NS0_12zip_iteratorINS5_IJN6thrust23THRUST_200600_302600_NS6detail15normal_iteratorINSC_10device_ptrIKfEEEESI_EEEEESK_NSA_INS5_IJNSC_16discard_iteratorINSC_11use_defaultEEESN_EEEEEPS7_SQ_SQ_NSC_11hip_rocprim7__merge17predicate_wrapperIffNSC_4lessIfEEEEEE10hipError_tPvRmT0_T1_T2_T3_T4_T5_mmT6_P12ihipStream_tbEUlT_E_NS1_11comp_targetILNS1_3genE0ELNS1_11target_archE4294967295ELNS1_3gpuE0ELNS1_3repE0EEENS1_30default_config_static_selectorELNS0_4arch9wavefront6targetE0EEEvS11_,"axG",@progbits,_ZN7rocprim17ROCPRIM_400000_NS6detail17trampoline_kernelINS0_14default_configENS1_21merge_config_selectorINS0_5tupleIJffEEENS0_10empty_typeEEEZNS1_10merge_implIS3_NS0_12zip_iteratorINS5_IJN6thrust23THRUST_200600_302600_NS6detail15normal_iteratorINSC_10device_ptrIKfEEEESI_EEEEESK_NSA_INS5_IJNSC_16discard_iteratorINSC_11use_defaultEEESN_EEEEEPS7_SQ_SQ_NSC_11hip_rocprim7__merge17predicate_wrapperIffNSC_4lessIfEEEEEE10hipError_tPvRmT0_T1_T2_T3_T4_T5_mmT6_P12ihipStream_tbEUlT_E_NS1_11comp_targetILNS1_3genE0ELNS1_11target_archE4294967295ELNS1_3gpuE0ELNS1_3repE0EEENS1_30default_config_static_selectorELNS0_4arch9wavefront6targetE0EEEvS11_,comdat
	.protected	_ZN7rocprim17ROCPRIM_400000_NS6detail17trampoline_kernelINS0_14default_configENS1_21merge_config_selectorINS0_5tupleIJffEEENS0_10empty_typeEEEZNS1_10merge_implIS3_NS0_12zip_iteratorINS5_IJN6thrust23THRUST_200600_302600_NS6detail15normal_iteratorINSC_10device_ptrIKfEEEESI_EEEEESK_NSA_INS5_IJNSC_16discard_iteratorINSC_11use_defaultEEESN_EEEEEPS7_SQ_SQ_NSC_11hip_rocprim7__merge17predicate_wrapperIffNSC_4lessIfEEEEEE10hipError_tPvRmT0_T1_T2_T3_T4_T5_mmT6_P12ihipStream_tbEUlT_E_NS1_11comp_targetILNS1_3genE0ELNS1_11target_archE4294967295ELNS1_3gpuE0ELNS1_3repE0EEENS1_30default_config_static_selectorELNS0_4arch9wavefront6targetE0EEEvS11_ ; -- Begin function _ZN7rocprim17ROCPRIM_400000_NS6detail17trampoline_kernelINS0_14default_configENS1_21merge_config_selectorINS0_5tupleIJffEEENS0_10empty_typeEEEZNS1_10merge_implIS3_NS0_12zip_iteratorINS5_IJN6thrust23THRUST_200600_302600_NS6detail15normal_iteratorINSC_10device_ptrIKfEEEESI_EEEEESK_NSA_INS5_IJNSC_16discard_iteratorINSC_11use_defaultEEESN_EEEEEPS7_SQ_SQ_NSC_11hip_rocprim7__merge17predicate_wrapperIffNSC_4lessIfEEEEEE10hipError_tPvRmT0_T1_T2_T3_T4_T5_mmT6_P12ihipStream_tbEUlT_E_NS1_11comp_targetILNS1_3genE0ELNS1_11target_archE4294967295ELNS1_3gpuE0ELNS1_3repE0EEENS1_30default_config_static_selectorELNS0_4arch9wavefront6targetE0EEEvS11_
	.globl	_ZN7rocprim17ROCPRIM_400000_NS6detail17trampoline_kernelINS0_14default_configENS1_21merge_config_selectorINS0_5tupleIJffEEENS0_10empty_typeEEEZNS1_10merge_implIS3_NS0_12zip_iteratorINS5_IJN6thrust23THRUST_200600_302600_NS6detail15normal_iteratorINSC_10device_ptrIKfEEEESI_EEEEESK_NSA_INS5_IJNSC_16discard_iteratorINSC_11use_defaultEEESN_EEEEEPS7_SQ_SQ_NSC_11hip_rocprim7__merge17predicate_wrapperIffNSC_4lessIfEEEEEE10hipError_tPvRmT0_T1_T2_T3_T4_T5_mmT6_P12ihipStream_tbEUlT_E_NS1_11comp_targetILNS1_3genE0ELNS1_11target_archE4294967295ELNS1_3gpuE0ELNS1_3repE0EEENS1_30default_config_static_selectorELNS0_4arch9wavefront6targetE0EEEvS11_
	.p2align	8
	.type	_ZN7rocprim17ROCPRIM_400000_NS6detail17trampoline_kernelINS0_14default_configENS1_21merge_config_selectorINS0_5tupleIJffEEENS0_10empty_typeEEEZNS1_10merge_implIS3_NS0_12zip_iteratorINS5_IJN6thrust23THRUST_200600_302600_NS6detail15normal_iteratorINSC_10device_ptrIKfEEEESI_EEEEESK_NSA_INS5_IJNSC_16discard_iteratorINSC_11use_defaultEEESN_EEEEEPS7_SQ_SQ_NSC_11hip_rocprim7__merge17predicate_wrapperIffNSC_4lessIfEEEEEE10hipError_tPvRmT0_T1_T2_T3_T4_T5_mmT6_P12ihipStream_tbEUlT_E_NS1_11comp_targetILNS1_3genE0ELNS1_11target_archE4294967295ELNS1_3gpuE0ELNS1_3repE0EEENS1_30default_config_static_selectorELNS0_4arch9wavefront6targetE0EEEvS11_,@function
_ZN7rocprim17ROCPRIM_400000_NS6detail17trampoline_kernelINS0_14default_configENS1_21merge_config_selectorINS0_5tupleIJffEEENS0_10empty_typeEEEZNS1_10merge_implIS3_NS0_12zip_iteratorINS5_IJN6thrust23THRUST_200600_302600_NS6detail15normal_iteratorINSC_10device_ptrIKfEEEESI_EEEEESK_NSA_INS5_IJNSC_16discard_iteratorINSC_11use_defaultEEESN_EEEEEPS7_SQ_SQ_NSC_11hip_rocprim7__merge17predicate_wrapperIffNSC_4lessIfEEEEEE10hipError_tPvRmT0_T1_T2_T3_T4_T5_mmT6_P12ihipStream_tbEUlT_E_NS1_11comp_targetILNS1_3genE0ELNS1_11target_archE4294967295ELNS1_3gpuE0ELNS1_3repE0EEENS1_30default_config_static_selectorELNS0_4arch9wavefront6targetE0EEEvS11_: ; @_ZN7rocprim17ROCPRIM_400000_NS6detail17trampoline_kernelINS0_14default_configENS1_21merge_config_selectorINS0_5tupleIJffEEENS0_10empty_typeEEEZNS1_10merge_implIS3_NS0_12zip_iteratorINS5_IJN6thrust23THRUST_200600_302600_NS6detail15normal_iteratorINSC_10device_ptrIKfEEEESI_EEEEESK_NSA_INS5_IJNSC_16discard_iteratorINSC_11use_defaultEEESN_EEEEEPS7_SQ_SQ_NSC_11hip_rocprim7__merge17predicate_wrapperIffNSC_4lessIfEEEEEE10hipError_tPvRmT0_T1_T2_T3_T4_T5_mmT6_P12ihipStream_tbEUlT_E_NS1_11comp_targetILNS1_3genE0ELNS1_11target_archE4294967295ELNS1_3gpuE0ELNS1_3repE0EEENS1_30default_config_static_selectorELNS0_4arch9wavefront6targetE0EEEvS11_
; %bb.0:
	s_clause 0x2
	s_load_b32 s4, s[0:1], 0x38
	s_load_b32 s2, s[0:1], 0x4c
	s_load_b128 s[8:11], s[0:1], 0x28
	s_getreg_b32 s7, hwreg(HW_REG_IB_STS2, 6, 4)
	s_wait_kmcnt 0x0
	s_cvt_f32_u32 s3, s4
	s_and_b32 s6, s2, 0xffff
	s_and_b32 s2, ttmp6, 15
	s_delay_alu instid0(SALU_CYCLE_1) | instskip(SKIP_1) | instid1(SALU_CYCLE_1)
	v_rcp_iflag_f32_e32 v1, s3
	s_bfe_u32 s3, ttmp6, 0x4000c
	s_add_co_i32 s3, s3, 1
	s_delay_alu instid0(SALU_CYCLE_1) | instskip(NEXT) | instid1(SALU_CYCLE_1)
	s_mul_i32 s3, ttmp9, s3
	s_add_co_i32 s2, s2, s3
	v_nop
	s_delay_alu instid0(TRANS32_DEP_1)
	v_readfirstlane_b32 s5, v1
	s_cmp_eq_u32 s7, 0
	s_cselect_b32 s7, ttmp9, s2
	s_sub_co_i32 s12, 0, s4
	s_mul_f32 s5, s5, 0x4f7ffffe
	s_add_nc_u64 s[2:3], s[10:11], s[8:9]
	v_mad_u32 v6, s7, s6, v0
	s_add_co_i32 s13, s4, s2
	s_cvt_u32_f32 s5, s5
	s_add_co_i32 s13, s13, -1
	s_delay_alu instid0(SALU_CYCLE_2) | instskip(NEXT) | instid1(SALU_CYCLE_1)
	s_mul_i32 s12, s12, s5
	s_mul_hi_u32 s12, s5, s12
	s_delay_alu instid0(SALU_CYCLE_1) | instskip(NEXT) | instid1(SALU_CYCLE_1)
	s_add_co_i32 s5, s5, s12
	s_mul_hi_u32 s5, s13, s5
	s_delay_alu instid0(SALU_CYCLE_1) | instskip(SKIP_2) | instid1(SALU_CYCLE_1)
	s_mul_i32 s12, s5, s4
	s_add_co_i32 s7, s5, 1
	s_sub_co_i32 s6, s13, s12
	s_sub_co_i32 s12, s6, s4
	s_cmp_ge_u32 s6, s4
	s_cselect_b32 s5, s7, s5
	s_cselect_b32 s6, s12, s6
	s_add_co_i32 s7, s5, 1
	s_cmp_ge_u32 s6, s4
	s_cselect_b32 s5, s7, s5
	s_delay_alu instid0(SALU_CYCLE_1)
	v_cmp_ge_u32_e32 vcc_lo, s5, v6
	s_and_saveexec_b32 s5, vcc_lo
	s_cbranch_execz .LBB497_6
; %bb.1:
	v_mul_lo_u32 v0, v6, s4
	v_mov_b32_e32 v1, 0
	s_load_b128 s[4:7], s[0:1], 0x0
	s_delay_alu instid0(VALU_DEP_1) | instskip(SKIP_1) | instid1(VALU_DEP_1)
	v_min_u64 v[4:5], v[0:1], s[2:3]
	s_mov_b32 s2, exec_lo
	v_max_u64 v[0:1], v[4:5], s[10:11]
	v_min_u64 v[2:3], v[4:5], s[8:9]
	s_delay_alu instid0(VALU_DEP_2) | instskip(NEXT) | instid1(VALU_DEP_1)
	v_sub_nc_u64_e64 v[0:1], v[0:1], s[10:11]
	v_cmpx_lt_u64_e64 v[0:1], v[2:3]
	s_cbranch_execz .LBB497_5
; %bb.2:
	s_wait_xcnt 0x0
	s_load_b64 s[0:1], s[0:1], 0x18
	s_wait_kmcnt 0x0
	v_lshl_add_u64 v[4:5], v[4:5], 2, s[0:1]
	s_mov_b32 s0, 0
.LBB497_3:                              ; =>This Inner Loop Header: Depth=1
	v_add_nc_u64_e32 v[8:9], v[2:3], v[0:1]
	s_delay_alu instid0(VALU_DEP_1) | instskip(NEXT) | instid1(VALU_DEP_1)
	v_lshrrev_b64 v[8:9], 1, v[8:9]
	v_lshlrev_b64_e32 v[10:11], 2, v[8:9]
	s_delay_alu instid0(VALU_DEP_1) | instskip(NEXT) | instid1(VALU_DEP_2)
	v_xor_b32_e32 v13, -1, v11
	v_xor_b32_e32 v12, -4, v10
	v_add_nc_u64_e32 v[10:11], s[6:7], v[10:11]
	s_delay_alu instid0(VALU_DEP_2)
	v_add_nc_u64_e32 v[12:13], v[4:5], v[12:13]
	global_load_b32 v7, v[10:11], off
	global_load_b32 v14, v[12:13], off
	s_wait_xcnt 0x1
	v_add_nc_u64_e32 v[10:11], 1, v[8:9]
	s_wait_loadcnt 0x0
	v_cmp_lt_f32_e32 vcc_lo, v14, v7
	v_dual_cndmask_b32 v3, v3, v9 :: v_dual_cndmask_b32 v2, v2, v8
	s_delay_alu instid0(VALU_DEP_3) | instskip(NEXT) | instid1(VALU_DEP_1)
	v_dual_cndmask_b32 v1, v11, v1 :: v_dual_cndmask_b32 v0, v10, v0
	v_cmp_ge_u64_e32 vcc_lo, v[0:1], v[2:3]
	s_or_b32 s0, vcc_lo, s0
	s_delay_alu instid0(SALU_CYCLE_1)
	s_and_not1_b32 exec_lo, exec_lo, s0
	s_cbranch_execnz .LBB497_3
; %bb.4:
	s_or_b32 exec_lo, exec_lo, s0
.LBB497_5:
	s_delay_alu instid0(SALU_CYCLE_1)
	s_or_b32 exec_lo, exec_lo, s2
	s_wait_kmcnt 0x0
	global_store_b32 v6, v0, s[4:5] scale_offset
.LBB497_6:
	s_endpgm
	.section	.rodata,"a",@progbits
	.p2align	6, 0x0
	.amdhsa_kernel _ZN7rocprim17ROCPRIM_400000_NS6detail17trampoline_kernelINS0_14default_configENS1_21merge_config_selectorINS0_5tupleIJffEEENS0_10empty_typeEEEZNS1_10merge_implIS3_NS0_12zip_iteratorINS5_IJN6thrust23THRUST_200600_302600_NS6detail15normal_iteratorINSC_10device_ptrIKfEEEESI_EEEEESK_NSA_INS5_IJNSC_16discard_iteratorINSC_11use_defaultEEESN_EEEEEPS7_SQ_SQ_NSC_11hip_rocprim7__merge17predicate_wrapperIffNSC_4lessIfEEEEEE10hipError_tPvRmT0_T1_T2_T3_T4_T5_mmT6_P12ihipStream_tbEUlT_E_NS1_11comp_targetILNS1_3genE0ELNS1_11target_archE4294967295ELNS1_3gpuE0ELNS1_3repE0EEENS1_30default_config_static_selectorELNS0_4arch9wavefront6targetE0EEEvS11_
		.amdhsa_group_segment_fixed_size 0
		.amdhsa_private_segment_fixed_size 0
		.amdhsa_kernarg_size 320
		.amdhsa_user_sgpr_count 2
		.amdhsa_user_sgpr_dispatch_ptr 0
		.amdhsa_user_sgpr_queue_ptr 0
		.amdhsa_user_sgpr_kernarg_segment_ptr 1
		.amdhsa_user_sgpr_dispatch_id 0
		.amdhsa_user_sgpr_kernarg_preload_length 0
		.amdhsa_user_sgpr_kernarg_preload_offset 0
		.amdhsa_user_sgpr_private_segment_size 0
		.amdhsa_wavefront_size32 1
		.amdhsa_uses_dynamic_stack 0
		.amdhsa_enable_private_segment 0
		.amdhsa_system_sgpr_workgroup_id_x 1
		.amdhsa_system_sgpr_workgroup_id_y 0
		.amdhsa_system_sgpr_workgroup_id_z 0
		.amdhsa_system_sgpr_workgroup_info 0
		.amdhsa_system_vgpr_workitem_id 0
		.amdhsa_next_free_vgpr 15
		.amdhsa_next_free_sgpr 14
		.amdhsa_named_barrier_count 0
		.amdhsa_reserve_vcc 1
		.amdhsa_float_round_mode_32 0
		.amdhsa_float_round_mode_16_64 0
		.amdhsa_float_denorm_mode_32 3
		.amdhsa_float_denorm_mode_16_64 3
		.amdhsa_fp16_overflow 0
		.amdhsa_memory_ordered 1
		.amdhsa_forward_progress 1
		.amdhsa_inst_pref_size 4
		.amdhsa_round_robin_scheduling 0
		.amdhsa_exception_fp_ieee_invalid_op 0
		.amdhsa_exception_fp_denorm_src 0
		.amdhsa_exception_fp_ieee_div_zero 0
		.amdhsa_exception_fp_ieee_overflow 0
		.amdhsa_exception_fp_ieee_underflow 0
		.amdhsa_exception_fp_ieee_inexact 0
		.amdhsa_exception_int_div_zero 0
	.end_amdhsa_kernel
	.section	.text._ZN7rocprim17ROCPRIM_400000_NS6detail17trampoline_kernelINS0_14default_configENS1_21merge_config_selectorINS0_5tupleIJffEEENS0_10empty_typeEEEZNS1_10merge_implIS3_NS0_12zip_iteratorINS5_IJN6thrust23THRUST_200600_302600_NS6detail15normal_iteratorINSC_10device_ptrIKfEEEESI_EEEEESK_NSA_INS5_IJNSC_16discard_iteratorINSC_11use_defaultEEESN_EEEEEPS7_SQ_SQ_NSC_11hip_rocprim7__merge17predicate_wrapperIffNSC_4lessIfEEEEEE10hipError_tPvRmT0_T1_T2_T3_T4_T5_mmT6_P12ihipStream_tbEUlT_E_NS1_11comp_targetILNS1_3genE0ELNS1_11target_archE4294967295ELNS1_3gpuE0ELNS1_3repE0EEENS1_30default_config_static_selectorELNS0_4arch9wavefront6targetE0EEEvS11_,"axG",@progbits,_ZN7rocprim17ROCPRIM_400000_NS6detail17trampoline_kernelINS0_14default_configENS1_21merge_config_selectorINS0_5tupleIJffEEENS0_10empty_typeEEEZNS1_10merge_implIS3_NS0_12zip_iteratorINS5_IJN6thrust23THRUST_200600_302600_NS6detail15normal_iteratorINSC_10device_ptrIKfEEEESI_EEEEESK_NSA_INS5_IJNSC_16discard_iteratorINSC_11use_defaultEEESN_EEEEEPS7_SQ_SQ_NSC_11hip_rocprim7__merge17predicate_wrapperIffNSC_4lessIfEEEEEE10hipError_tPvRmT0_T1_T2_T3_T4_T5_mmT6_P12ihipStream_tbEUlT_E_NS1_11comp_targetILNS1_3genE0ELNS1_11target_archE4294967295ELNS1_3gpuE0ELNS1_3repE0EEENS1_30default_config_static_selectorELNS0_4arch9wavefront6targetE0EEEvS11_,comdat
.Lfunc_end497:
	.size	_ZN7rocprim17ROCPRIM_400000_NS6detail17trampoline_kernelINS0_14default_configENS1_21merge_config_selectorINS0_5tupleIJffEEENS0_10empty_typeEEEZNS1_10merge_implIS3_NS0_12zip_iteratorINS5_IJN6thrust23THRUST_200600_302600_NS6detail15normal_iteratorINSC_10device_ptrIKfEEEESI_EEEEESK_NSA_INS5_IJNSC_16discard_iteratorINSC_11use_defaultEEESN_EEEEEPS7_SQ_SQ_NSC_11hip_rocprim7__merge17predicate_wrapperIffNSC_4lessIfEEEEEE10hipError_tPvRmT0_T1_T2_T3_T4_T5_mmT6_P12ihipStream_tbEUlT_E_NS1_11comp_targetILNS1_3genE0ELNS1_11target_archE4294967295ELNS1_3gpuE0ELNS1_3repE0EEENS1_30default_config_static_selectorELNS0_4arch9wavefront6targetE0EEEvS11_, .Lfunc_end497-_ZN7rocprim17ROCPRIM_400000_NS6detail17trampoline_kernelINS0_14default_configENS1_21merge_config_selectorINS0_5tupleIJffEEENS0_10empty_typeEEEZNS1_10merge_implIS3_NS0_12zip_iteratorINS5_IJN6thrust23THRUST_200600_302600_NS6detail15normal_iteratorINSC_10device_ptrIKfEEEESI_EEEEESK_NSA_INS5_IJNSC_16discard_iteratorINSC_11use_defaultEEESN_EEEEEPS7_SQ_SQ_NSC_11hip_rocprim7__merge17predicate_wrapperIffNSC_4lessIfEEEEEE10hipError_tPvRmT0_T1_T2_T3_T4_T5_mmT6_P12ihipStream_tbEUlT_E_NS1_11comp_targetILNS1_3genE0ELNS1_11target_archE4294967295ELNS1_3gpuE0ELNS1_3repE0EEENS1_30default_config_static_selectorELNS0_4arch9wavefront6targetE0EEEvS11_
                                        ; -- End function
	.set _ZN7rocprim17ROCPRIM_400000_NS6detail17trampoline_kernelINS0_14default_configENS1_21merge_config_selectorINS0_5tupleIJffEEENS0_10empty_typeEEEZNS1_10merge_implIS3_NS0_12zip_iteratorINS5_IJN6thrust23THRUST_200600_302600_NS6detail15normal_iteratorINSC_10device_ptrIKfEEEESI_EEEEESK_NSA_INS5_IJNSC_16discard_iteratorINSC_11use_defaultEEESN_EEEEEPS7_SQ_SQ_NSC_11hip_rocprim7__merge17predicate_wrapperIffNSC_4lessIfEEEEEE10hipError_tPvRmT0_T1_T2_T3_T4_T5_mmT6_P12ihipStream_tbEUlT_E_NS1_11comp_targetILNS1_3genE0ELNS1_11target_archE4294967295ELNS1_3gpuE0ELNS1_3repE0EEENS1_30default_config_static_selectorELNS0_4arch9wavefront6targetE0EEEvS11_.num_vgpr, 15
	.set _ZN7rocprim17ROCPRIM_400000_NS6detail17trampoline_kernelINS0_14default_configENS1_21merge_config_selectorINS0_5tupleIJffEEENS0_10empty_typeEEEZNS1_10merge_implIS3_NS0_12zip_iteratorINS5_IJN6thrust23THRUST_200600_302600_NS6detail15normal_iteratorINSC_10device_ptrIKfEEEESI_EEEEESK_NSA_INS5_IJNSC_16discard_iteratorINSC_11use_defaultEEESN_EEEEEPS7_SQ_SQ_NSC_11hip_rocprim7__merge17predicate_wrapperIffNSC_4lessIfEEEEEE10hipError_tPvRmT0_T1_T2_T3_T4_T5_mmT6_P12ihipStream_tbEUlT_E_NS1_11comp_targetILNS1_3genE0ELNS1_11target_archE4294967295ELNS1_3gpuE0ELNS1_3repE0EEENS1_30default_config_static_selectorELNS0_4arch9wavefront6targetE0EEEvS11_.num_agpr, 0
	.set _ZN7rocprim17ROCPRIM_400000_NS6detail17trampoline_kernelINS0_14default_configENS1_21merge_config_selectorINS0_5tupleIJffEEENS0_10empty_typeEEEZNS1_10merge_implIS3_NS0_12zip_iteratorINS5_IJN6thrust23THRUST_200600_302600_NS6detail15normal_iteratorINSC_10device_ptrIKfEEEESI_EEEEESK_NSA_INS5_IJNSC_16discard_iteratorINSC_11use_defaultEEESN_EEEEEPS7_SQ_SQ_NSC_11hip_rocprim7__merge17predicate_wrapperIffNSC_4lessIfEEEEEE10hipError_tPvRmT0_T1_T2_T3_T4_T5_mmT6_P12ihipStream_tbEUlT_E_NS1_11comp_targetILNS1_3genE0ELNS1_11target_archE4294967295ELNS1_3gpuE0ELNS1_3repE0EEENS1_30default_config_static_selectorELNS0_4arch9wavefront6targetE0EEEvS11_.numbered_sgpr, 14
	.set _ZN7rocprim17ROCPRIM_400000_NS6detail17trampoline_kernelINS0_14default_configENS1_21merge_config_selectorINS0_5tupleIJffEEENS0_10empty_typeEEEZNS1_10merge_implIS3_NS0_12zip_iteratorINS5_IJN6thrust23THRUST_200600_302600_NS6detail15normal_iteratorINSC_10device_ptrIKfEEEESI_EEEEESK_NSA_INS5_IJNSC_16discard_iteratorINSC_11use_defaultEEESN_EEEEEPS7_SQ_SQ_NSC_11hip_rocprim7__merge17predicate_wrapperIffNSC_4lessIfEEEEEE10hipError_tPvRmT0_T1_T2_T3_T4_T5_mmT6_P12ihipStream_tbEUlT_E_NS1_11comp_targetILNS1_3genE0ELNS1_11target_archE4294967295ELNS1_3gpuE0ELNS1_3repE0EEENS1_30default_config_static_selectorELNS0_4arch9wavefront6targetE0EEEvS11_.num_named_barrier, 0
	.set _ZN7rocprim17ROCPRIM_400000_NS6detail17trampoline_kernelINS0_14default_configENS1_21merge_config_selectorINS0_5tupleIJffEEENS0_10empty_typeEEEZNS1_10merge_implIS3_NS0_12zip_iteratorINS5_IJN6thrust23THRUST_200600_302600_NS6detail15normal_iteratorINSC_10device_ptrIKfEEEESI_EEEEESK_NSA_INS5_IJNSC_16discard_iteratorINSC_11use_defaultEEESN_EEEEEPS7_SQ_SQ_NSC_11hip_rocprim7__merge17predicate_wrapperIffNSC_4lessIfEEEEEE10hipError_tPvRmT0_T1_T2_T3_T4_T5_mmT6_P12ihipStream_tbEUlT_E_NS1_11comp_targetILNS1_3genE0ELNS1_11target_archE4294967295ELNS1_3gpuE0ELNS1_3repE0EEENS1_30default_config_static_selectorELNS0_4arch9wavefront6targetE0EEEvS11_.private_seg_size, 0
	.set _ZN7rocprim17ROCPRIM_400000_NS6detail17trampoline_kernelINS0_14default_configENS1_21merge_config_selectorINS0_5tupleIJffEEENS0_10empty_typeEEEZNS1_10merge_implIS3_NS0_12zip_iteratorINS5_IJN6thrust23THRUST_200600_302600_NS6detail15normal_iteratorINSC_10device_ptrIKfEEEESI_EEEEESK_NSA_INS5_IJNSC_16discard_iteratorINSC_11use_defaultEEESN_EEEEEPS7_SQ_SQ_NSC_11hip_rocprim7__merge17predicate_wrapperIffNSC_4lessIfEEEEEE10hipError_tPvRmT0_T1_T2_T3_T4_T5_mmT6_P12ihipStream_tbEUlT_E_NS1_11comp_targetILNS1_3genE0ELNS1_11target_archE4294967295ELNS1_3gpuE0ELNS1_3repE0EEENS1_30default_config_static_selectorELNS0_4arch9wavefront6targetE0EEEvS11_.uses_vcc, 1
	.set _ZN7rocprim17ROCPRIM_400000_NS6detail17trampoline_kernelINS0_14default_configENS1_21merge_config_selectorINS0_5tupleIJffEEENS0_10empty_typeEEEZNS1_10merge_implIS3_NS0_12zip_iteratorINS5_IJN6thrust23THRUST_200600_302600_NS6detail15normal_iteratorINSC_10device_ptrIKfEEEESI_EEEEESK_NSA_INS5_IJNSC_16discard_iteratorINSC_11use_defaultEEESN_EEEEEPS7_SQ_SQ_NSC_11hip_rocprim7__merge17predicate_wrapperIffNSC_4lessIfEEEEEE10hipError_tPvRmT0_T1_T2_T3_T4_T5_mmT6_P12ihipStream_tbEUlT_E_NS1_11comp_targetILNS1_3genE0ELNS1_11target_archE4294967295ELNS1_3gpuE0ELNS1_3repE0EEENS1_30default_config_static_selectorELNS0_4arch9wavefront6targetE0EEEvS11_.uses_flat_scratch, 0
	.set _ZN7rocprim17ROCPRIM_400000_NS6detail17trampoline_kernelINS0_14default_configENS1_21merge_config_selectorINS0_5tupleIJffEEENS0_10empty_typeEEEZNS1_10merge_implIS3_NS0_12zip_iteratorINS5_IJN6thrust23THRUST_200600_302600_NS6detail15normal_iteratorINSC_10device_ptrIKfEEEESI_EEEEESK_NSA_INS5_IJNSC_16discard_iteratorINSC_11use_defaultEEESN_EEEEEPS7_SQ_SQ_NSC_11hip_rocprim7__merge17predicate_wrapperIffNSC_4lessIfEEEEEE10hipError_tPvRmT0_T1_T2_T3_T4_T5_mmT6_P12ihipStream_tbEUlT_E_NS1_11comp_targetILNS1_3genE0ELNS1_11target_archE4294967295ELNS1_3gpuE0ELNS1_3repE0EEENS1_30default_config_static_selectorELNS0_4arch9wavefront6targetE0EEEvS11_.has_dyn_sized_stack, 0
	.set _ZN7rocprim17ROCPRIM_400000_NS6detail17trampoline_kernelINS0_14default_configENS1_21merge_config_selectorINS0_5tupleIJffEEENS0_10empty_typeEEEZNS1_10merge_implIS3_NS0_12zip_iteratorINS5_IJN6thrust23THRUST_200600_302600_NS6detail15normal_iteratorINSC_10device_ptrIKfEEEESI_EEEEESK_NSA_INS5_IJNSC_16discard_iteratorINSC_11use_defaultEEESN_EEEEEPS7_SQ_SQ_NSC_11hip_rocprim7__merge17predicate_wrapperIffNSC_4lessIfEEEEEE10hipError_tPvRmT0_T1_T2_T3_T4_T5_mmT6_P12ihipStream_tbEUlT_E_NS1_11comp_targetILNS1_3genE0ELNS1_11target_archE4294967295ELNS1_3gpuE0ELNS1_3repE0EEENS1_30default_config_static_selectorELNS0_4arch9wavefront6targetE0EEEvS11_.has_recursion, 0
	.set _ZN7rocprim17ROCPRIM_400000_NS6detail17trampoline_kernelINS0_14default_configENS1_21merge_config_selectorINS0_5tupleIJffEEENS0_10empty_typeEEEZNS1_10merge_implIS3_NS0_12zip_iteratorINS5_IJN6thrust23THRUST_200600_302600_NS6detail15normal_iteratorINSC_10device_ptrIKfEEEESI_EEEEESK_NSA_INS5_IJNSC_16discard_iteratorINSC_11use_defaultEEESN_EEEEEPS7_SQ_SQ_NSC_11hip_rocprim7__merge17predicate_wrapperIffNSC_4lessIfEEEEEE10hipError_tPvRmT0_T1_T2_T3_T4_T5_mmT6_P12ihipStream_tbEUlT_E_NS1_11comp_targetILNS1_3genE0ELNS1_11target_archE4294967295ELNS1_3gpuE0ELNS1_3repE0EEENS1_30default_config_static_selectorELNS0_4arch9wavefront6targetE0EEEvS11_.has_indirect_call, 0
	.section	.AMDGPU.csdata,"",@progbits
; Kernel info:
; codeLenInByte = 484
; TotalNumSgprs: 16
; NumVgprs: 15
; ScratchSize: 0
; MemoryBound: 0
; FloatMode: 240
; IeeeMode: 1
; LDSByteSize: 0 bytes/workgroup (compile time only)
; SGPRBlocks: 0
; VGPRBlocks: 0
; NumSGPRsForWavesPerEU: 16
; NumVGPRsForWavesPerEU: 15
; NamedBarCnt: 0
; Occupancy: 16
; WaveLimiterHint : 0
; COMPUTE_PGM_RSRC2:SCRATCH_EN: 0
; COMPUTE_PGM_RSRC2:USER_SGPR: 2
; COMPUTE_PGM_RSRC2:TRAP_HANDLER: 0
; COMPUTE_PGM_RSRC2:TGID_X_EN: 1
; COMPUTE_PGM_RSRC2:TGID_Y_EN: 0
; COMPUTE_PGM_RSRC2:TGID_Z_EN: 0
; COMPUTE_PGM_RSRC2:TIDIG_COMP_CNT: 0
	.section	.text._ZN7rocprim17ROCPRIM_400000_NS6detail17trampoline_kernelINS0_14default_configENS1_21merge_config_selectorINS0_5tupleIJffEEENS0_10empty_typeEEEZNS1_10merge_implIS3_NS0_12zip_iteratorINS5_IJN6thrust23THRUST_200600_302600_NS6detail15normal_iteratorINSC_10device_ptrIKfEEEESI_EEEEESK_NSA_INS5_IJNSC_16discard_iteratorINSC_11use_defaultEEESN_EEEEEPS7_SQ_SQ_NSC_11hip_rocprim7__merge17predicate_wrapperIffNSC_4lessIfEEEEEE10hipError_tPvRmT0_T1_T2_T3_T4_T5_mmT6_P12ihipStream_tbEUlT_E_NS1_11comp_targetILNS1_3genE5ELNS1_11target_archE942ELNS1_3gpuE9ELNS1_3repE0EEENS1_30default_config_static_selectorELNS0_4arch9wavefront6targetE0EEEvS11_,"axG",@progbits,_ZN7rocprim17ROCPRIM_400000_NS6detail17trampoline_kernelINS0_14default_configENS1_21merge_config_selectorINS0_5tupleIJffEEENS0_10empty_typeEEEZNS1_10merge_implIS3_NS0_12zip_iteratorINS5_IJN6thrust23THRUST_200600_302600_NS6detail15normal_iteratorINSC_10device_ptrIKfEEEESI_EEEEESK_NSA_INS5_IJNSC_16discard_iteratorINSC_11use_defaultEEESN_EEEEEPS7_SQ_SQ_NSC_11hip_rocprim7__merge17predicate_wrapperIffNSC_4lessIfEEEEEE10hipError_tPvRmT0_T1_T2_T3_T4_T5_mmT6_P12ihipStream_tbEUlT_E_NS1_11comp_targetILNS1_3genE5ELNS1_11target_archE942ELNS1_3gpuE9ELNS1_3repE0EEENS1_30default_config_static_selectorELNS0_4arch9wavefront6targetE0EEEvS11_,comdat
	.protected	_ZN7rocprim17ROCPRIM_400000_NS6detail17trampoline_kernelINS0_14default_configENS1_21merge_config_selectorINS0_5tupleIJffEEENS0_10empty_typeEEEZNS1_10merge_implIS3_NS0_12zip_iteratorINS5_IJN6thrust23THRUST_200600_302600_NS6detail15normal_iteratorINSC_10device_ptrIKfEEEESI_EEEEESK_NSA_INS5_IJNSC_16discard_iteratorINSC_11use_defaultEEESN_EEEEEPS7_SQ_SQ_NSC_11hip_rocprim7__merge17predicate_wrapperIffNSC_4lessIfEEEEEE10hipError_tPvRmT0_T1_T2_T3_T4_T5_mmT6_P12ihipStream_tbEUlT_E_NS1_11comp_targetILNS1_3genE5ELNS1_11target_archE942ELNS1_3gpuE9ELNS1_3repE0EEENS1_30default_config_static_selectorELNS0_4arch9wavefront6targetE0EEEvS11_ ; -- Begin function _ZN7rocprim17ROCPRIM_400000_NS6detail17trampoline_kernelINS0_14default_configENS1_21merge_config_selectorINS0_5tupleIJffEEENS0_10empty_typeEEEZNS1_10merge_implIS3_NS0_12zip_iteratorINS5_IJN6thrust23THRUST_200600_302600_NS6detail15normal_iteratorINSC_10device_ptrIKfEEEESI_EEEEESK_NSA_INS5_IJNSC_16discard_iteratorINSC_11use_defaultEEESN_EEEEEPS7_SQ_SQ_NSC_11hip_rocprim7__merge17predicate_wrapperIffNSC_4lessIfEEEEEE10hipError_tPvRmT0_T1_T2_T3_T4_T5_mmT6_P12ihipStream_tbEUlT_E_NS1_11comp_targetILNS1_3genE5ELNS1_11target_archE942ELNS1_3gpuE9ELNS1_3repE0EEENS1_30default_config_static_selectorELNS0_4arch9wavefront6targetE0EEEvS11_
	.globl	_ZN7rocprim17ROCPRIM_400000_NS6detail17trampoline_kernelINS0_14default_configENS1_21merge_config_selectorINS0_5tupleIJffEEENS0_10empty_typeEEEZNS1_10merge_implIS3_NS0_12zip_iteratorINS5_IJN6thrust23THRUST_200600_302600_NS6detail15normal_iteratorINSC_10device_ptrIKfEEEESI_EEEEESK_NSA_INS5_IJNSC_16discard_iteratorINSC_11use_defaultEEESN_EEEEEPS7_SQ_SQ_NSC_11hip_rocprim7__merge17predicate_wrapperIffNSC_4lessIfEEEEEE10hipError_tPvRmT0_T1_T2_T3_T4_T5_mmT6_P12ihipStream_tbEUlT_E_NS1_11comp_targetILNS1_3genE5ELNS1_11target_archE942ELNS1_3gpuE9ELNS1_3repE0EEENS1_30default_config_static_selectorELNS0_4arch9wavefront6targetE0EEEvS11_
	.p2align	8
	.type	_ZN7rocprim17ROCPRIM_400000_NS6detail17trampoline_kernelINS0_14default_configENS1_21merge_config_selectorINS0_5tupleIJffEEENS0_10empty_typeEEEZNS1_10merge_implIS3_NS0_12zip_iteratorINS5_IJN6thrust23THRUST_200600_302600_NS6detail15normal_iteratorINSC_10device_ptrIKfEEEESI_EEEEESK_NSA_INS5_IJNSC_16discard_iteratorINSC_11use_defaultEEESN_EEEEEPS7_SQ_SQ_NSC_11hip_rocprim7__merge17predicate_wrapperIffNSC_4lessIfEEEEEE10hipError_tPvRmT0_T1_T2_T3_T4_T5_mmT6_P12ihipStream_tbEUlT_E_NS1_11comp_targetILNS1_3genE5ELNS1_11target_archE942ELNS1_3gpuE9ELNS1_3repE0EEENS1_30default_config_static_selectorELNS0_4arch9wavefront6targetE0EEEvS11_,@function
_ZN7rocprim17ROCPRIM_400000_NS6detail17trampoline_kernelINS0_14default_configENS1_21merge_config_selectorINS0_5tupleIJffEEENS0_10empty_typeEEEZNS1_10merge_implIS3_NS0_12zip_iteratorINS5_IJN6thrust23THRUST_200600_302600_NS6detail15normal_iteratorINSC_10device_ptrIKfEEEESI_EEEEESK_NSA_INS5_IJNSC_16discard_iteratorINSC_11use_defaultEEESN_EEEEEPS7_SQ_SQ_NSC_11hip_rocprim7__merge17predicate_wrapperIffNSC_4lessIfEEEEEE10hipError_tPvRmT0_T1_T2_T3_T4_T5_mmT6_P12ihipStream_tbEUlT_E_NS1_11comp_targetILNS1_3genE5ELNS1_11target_archE942ELNS1_3gpuE9ELNS1_3repE0EEENS1_30default_config_static_selectorELNS0_4arch9wavefront6targetE0EEEvS11_: ; @_ZN7rocprim17ROCPRIM_400000_NS6detail17trampoline_kernelINS0_14default_configENS1_21merge_config_selectorINS0_5tupleIJffEEENS0_10empty_typeEEEZNS1_10merge_implIS3_NS0_12zip_iteratorINS5_IJN6thrust23THRUST_200600_302600_NS6detail15normal_iteratorINSC_10device_ptrIKfEEEESI_EEEEESK_NSA_INS5_IJNSC_16discard_iteratorINSC_11use_defaultEEESN_EEEEEPS7_SQ_SQ_NSC_11hip_rocprim7__merge17predicate_wrapperIffNSC_4lessIfEEEEEE10hipError_tPvRmT0_T1_T2_T3_T4_T5_mmT6_P12ihipStream_tbEUlT_E_NS1_11comp_targetILNS1_3genE5ELNS1_11target_archE942ELNS1_3gpuE9ELNS1_3repE0EEENS1_30default_config_static_selectorELNS0_4arch9wavefront6targetE0EEEvS11_
; %bb.0:
	.section	.rodata,"a",@progbits
	.p2align	6, 0x0
	.amdhsa_kernel _ZN7rocprim17ROCPRIM_400000_NS6detail17trampoline_kernelINS0_14default_configENS1_21merge_config_selectorINS0_5tupleIJffEEENS0_10empty_typeEEEZNS1_10merge_implIS3_NS0_12zip_iteratorINS5_IJN6thrust23THRUST_200600_302600_NS6detail15normal_iteratorINSC_10device_ptrIKfEEEESI_EEEEESK_NSA_INS5_IJNSC_16discard_iteratorINSC_11use_defaultEEESN_EEEEEPS7_SQ_SQ_NSC_11hip_rocprim7__merge17predicate_wrapperIffNSC_4lessIfEEEEEE10hipError_tPvRmT0_T1_T2_T3_T4_T5_mmT6_P12ihipStream_tbEUlT_E_NS1_11comp_targetILNS1_3genE5ELNS1_11target_archE942ELNS1_3gpuE9ELNS1_3repE0EEENS1_30default_config_static_selectorELNS0_4arch9wavefront6targetE0EEEvS11_
		.amdhsa_group_segment_fixed_size 0
		.amdhsa_private_segment_fixed_size 0
		.amdhsa_kernarg_size 64
		.amdhsa_user_sgpr_count 2
		.amdhsa_user_sgpr_dispatch_ptr 0
		.amdhsa_user_sgpr_queue_ptr 0
		.amdhsa_user_sgpr_kernarg_segment_ptr 1
		.amdhsa_user_sgpr_dispatch_id 0
		.amdhsa_user_sgpr_kernarg_preload_length 0
		.amdhsa_user_sgpr_kernarg_preload_offset 0
		.amdhsa_user_sgpr_private_segment_size 0
		.amdhsa_wavefront_size32 1
		.amdhsa_uses_dynamic_stack 0
		.amdhsa_enable_private_segment 0
		.amdhsa_system_sgpr_workgroup_id_x 1
		.amdhsa_system_sgpr_workgroup_id_y 0
		.amdhsa_system_sgpr_workgroup_id_z 0
		.amdhsa_system_sgpr_workgroup_info 0
		.amdhsa_system_vgpr_workitem_id 0
		.amdhsa_next_free_vgpr 1
		.amdhsa_next_free_sgpr 1
		.amdhsa_named_barrier_count 0
		.amdhsa_reserve_vcc 0
		.amdhsa_float_round_mode_32 0
		.amdhsa_float_round_mode_16_64 0
		.amdhsa_float_denorm_mode_32 3
		.amdhsa_float_denorm_mode_16_64 3
		.amdhsa_fp16_overflow 0
		.amdhsa_memory_ordered 1
		.amdhsa_forward_progress 1
		.amdhsa_inst_pref_size 0
		.amdhsa_round_robin_scheduling 0
		.amdhsa_exception_fp_ieee_invalid_op 0
		.amdhsa_exception_fp_denorm_src 0
		.amdhsa_exception_fp_ieee_div_zero 0
		.amdhsa_exception_fp_ieee_overflow 0
		.amdhsa_exception_fp_ieee_underflow 0
		.amdhsa_exception_fp_ieee_inexact 0
		.amdhsa_exception_int_div_zero 0
	.end_amdhsa_kernel
	.section	.text._ZN7rocprim17ROCPRIM_400000_NS6detail17trampoline_kernelINS0_14default_configENS1_21merge_config_selectorINS0_5tupleIJffEEENS0_10empty_typeEEEZNS1_10merge_implIS3_NS0_12zip_iteratorINS5_IJN6thrust23THRUST_200600_302600_NS6detail15normal_iteratorINSC_10device_ptrIKfEEEESI_EEEEESK_NSA_INS5_IJNSC_16discard_iteratorINSC_11use_defaultEEESN_EEEEEPS7_SQ_SQ_NSC_11hip_rocprim7__merge17predicate_wrapperIffNSC_4lessIfEEEEEE10hipError_tPvRmT0_T1_T2_T3_T4_T5_mmT6_P12ihipStream_tbEUlT_E_NS1_11comp_targetILNS1_3genE5ELNS1_11target_archE942ELNS1_3gpuE9ELNS1_3repE0EEENS1_30default_config_static_selectorELNS0_4arch9wavefront6targetE0EEEvS11_,"axG",@progbits,_ZN7rocprim17ROCPRIM_400000_NS6detail17trampoline_kernelINS0_14default_configENS1_21merge_config_selectorINS0_5tupleIJffEEENS0_10empty_typeEEEZNS1_10merge_implIS3_NS0_12zip_iteratorINS5_IJN6thrust23THRUST_200600_302600_NS6detail15normal_iteratorINSC_10device_ptrIKfEEEESI_EEEEESK_NSA_INS5_IJNSC_16discard_iteratorINSC_11use_defaultEEESN_EEEEEPS7_SQ_SQ_NSC_11hip_rocprim7__merge17predicate_wrapperIffNSC_4lessIfEEEEEE10hipError_tPvRmT0_T1_T2_T3_T4_T5_mmT6_P12ihipStream_tbEUlT_E_NS1_11comp_targetILNS1_3genE5ELNS1_11target_archE942ELNS1_3gpuE9ELNS1_3repE0EEENS1_30default_config_static_selectorELNS0_4arch9wavefront6targetE0EEEvS11_,comdat
.Lfunc_end498:
	.size	_ZN7rocprim17ROCPRIM_400000_NS6detail17trampoline_kernelINS0_14default_configENS1_21merge_config_selectorINS0_5tupleIJffEEENS0_10empty_typeEEEZNS1_10merge_implIS3_NS0_12zip_iteratorINS5_IJN6thrust23THRUST_200600_302600_NS6detail15normal_iteratorINSC_10device_ptrIKfEEEESI_EEEEESK_NSA_INS5_IJNSC_16discard_iteratorINSC_11use_defaultEEESN_EEEEEPS7_SQ_SQ_NSC_11hip_rocprim7__merge17predicate_wrapperIffNSC_4lessIfEEEEEE10hipError_tPvRmT0_T1_T2_T3_T4_T5_mmT6_P12ihipStream_tbEUlT_E_NS1_11comp_targetILNS1_3genE5ELNS1_11target_archE942ELNS1_3gpuE9ELNS1_3repE0EEENS1_30default_config_static_selectorELNS0_4arch9wavefront6targetE0EEEvS11_, .Lfunc_end498-_ZN7rocprim17ROCPRIM_400000_NS6detail17trampoline_kernelINS0_14default_configENS1_21merge_config_selectorINS0_5tupleIJffEEENS0_10empty_typeEEEZNS1_10merge_implIS3_NS0_12zip_iteratorINS5_IJN6thrust23THRUST_200600_302600_NS6detail15normal_iteratorINSC_10device_ptrIKfEEEESI_EEEEESK_NSA_INS5_IJNSC_16discard_iteratorINSC_11use_defaultEEESN_EEEEEPS7_SQ_SQ_NSC_11hip_rocprim7__merge17predicate_wrapperIffNSC_4lessIfEEEEEE10hipError_tPvRmT0_T1_T2_T3_T4_T5_mmT6_P12ihipStream_tbEUlT_E_NS1_11comp_targetILNS1_3genE5ELNS1_11target_archE942ELNS1_3gpuE9ELNS1_3repE0EEENS1_30default_config_static_selectorELNS0_4arch9wavefront6targetE0EEEvS11_
                                        ; -- End function
	.set _ZN7rocprim17ROCPRIM_400000_NS6detail17trampoline_kernelINS0_14default_configENS1_21merge_config_selectorINS0_5tupleIJffEEENS0_10empty_typeEEEZNS1_10merge_implIS3_NS0_12zip_iteratorINS5_IJN6thrust23THRUST_200600_302600_NS6detail15normal_iteratorINSC_10device_ptrIKfEEEESI_EEEEESK_NSA_INS5_IJNSC_16discard_iteratorINSC_11use_defaultEEESN_EEEEEPS7_SQ_SQ_NSC_11hip_rocprim7__merge17predicate_wrapperIffNSC_4lessIfEEEEEE10hipError_tPvRmT0_T1_T2_T3_T4_T5_mmT6_P12ihipStream_tbEUlT_E_NS1_11comp_targetILNS1_3genE5ELNS1_11target_archE942ELNS1_3gpuE9ELNS1_3repE0EEENS1_30default_config_static_selectorELNS0_4arch9wavefront6targetE0EEEvS11_.num_vgpr, 0
	.set _ZN7rocprim17ROCPRIM_400000_NS6detail17trampoline_kernelINS0_14default_configENS1_21merge_config_selectorINS0_5tupleIJffEEENS0_10empty_typeEEEZNS1_10merge_implIS3_NS0_12zip_iteratorINS5_IJN6thrust23THRUST_200600_302600_NS6detail15normal_iteratorINSC_10device_ptrIKfEEEESI_EEEEESK_NSA_INS5_IJNSC_16discard_iteratorINSC_11use_defaultEEESN_EEEEEPS7_SQ_SQ_NSC_11hip_rocprim7__merge17predicate_wrapperIffNSC_4lessIfEEEEEE10hipError_tPvRmT0_T1_T2_T3_T4_T5_mmT6_P12ihipStream_tbEUlT_E_NS1_11comp_targetILNS1_3genE5ELNS1_11target_archE942ELNS1_3gpuE9ELNS1_3repE0EEENS1_30default_config_static_selectorELNS0_4arch9wavefront6targetE0EEEvS11_.num_agpr, 0
	.set _ZN7rocprim17ROCPRIM_400000_NS6detail17trampoline_kernelINS0_14default_configENS1_21merge_config_selectorINS0_5tupleIJffEEENS0_10empty_typeEEEZNS1_10merge_implIS3_NS0_12zip_iteratorINS5_IJN6thrust23THRUST_200600_302600_NS6detail15normal_iteratorINSC_10device_ptrIKfEEEESI_EEEEESK_NSA_INS5_IJNSC_16discard_iteratorINSC_11use_defaultEEESN_EEEEEPS7_SQ_SQ_NSC_11hip_rocprim7__merge17predicate_wrapperIffNSC_4lessIfEEEEEE10hipError_tPvRmT0_T1_T2_T3_T4_T5_mmT6_P12ihipStream_tbEUlT_E_NS1_11comp_targetILNS1_3genE5ELNS1_11target_archE942ELNS1_3gpuE9ELNS1_3repE0EEENS1_30default_config_static_selectorELNS0_4arch9wavefront6targetE0EEEvS11_.numbered_sgpr, 0
	.set _ZN7rocprim17ROCPRIM_400000_NS6detail17trampoline_kernelINS0_14default_configENS1_21merge_config_selectorINS0_5tupleIJffEEENS0_10empty_typeEEEZNS1_10merge_implIS3_NS0_12zip_iteratorINS5_IJN6thrust23THRUST_200600_302600_NS6detail15normal_iteratorINSC_10device_ptrIKfEEEESI_EEEEESK_NSA_INS5_IJNSC_16discard_iteratorINSC_11use_defaultEEESN_EEEEEPS7_SQ_SQ_NSC_11hip_rocprim7__merge17predicate_wrapperIffNSC_4lessIfEEEEEE10hipError_tPvRmT0_T1_T2_T3_T4_T5_mmT6_P12ihipStream_tbEUlT_E_NS1_11comp_targetILNS1_3genE5ELNS1_11target_archE942ELNS1_3gpuE9ELNS1_3repE0EEENS1_30default_config_static_selectorELNS0_4arch9wavefront6targetE0EEEvS11_.num_named_barrier, 0
	.set _ZN7rocprim17ROCPRIM_400000_NS6detail17trampoline_kernelINS0_14default_configENS1_21merge_config_selectorINS0_5tupleIJffEEENS0_10empty_typeEEEZNS1_10merge_implIS3_NS0_12zip_iteratorINS5_IJN6thrust23THRUST_200600_302600_NS6detail15normal_iteratorINSC_10device_ptrIKfEEEESI_EEEEESK_NSA_INS5_IJNSC_16discard_iteratorINSC_11use_defaultEEESN_EEEEEPS7_SQ_SQ_NSC_11hip_rocprim7__merge17predicate_wrapperIffNSC_4lessIfEEEEEE10hipError_tPvRmT0_T1_T2_T3_T4_T5_mmT6_P12ihipStream_tbEUlT_E_NS1_11comp_targetILNS1_3genE5ELNS1_11target_archE942ELNS1_3gpuE9ELNS1_3repE0EEENS1_30default_config_static_selectorELNS0_4arch9wavefront6targetE0EEEvS11_.private_seg_size, 0
	.set _ZN7rocprim17ROCPRIM_400000_NS6detail17trampoline_kernelINS0_14default_configENS1_21merge_config_selectorINS0_5tupleIJffEEENS0_10empty_typeEEEZNS1_10merge_implIS3_NS0_12zip_iteratorINS5_IJN6thrust23THRUST_200600_302600_NS6detail15normal_iteratorINSC_10device_ptrIKfEEEESI_EEEEESK_NSA_INS5_IJNSC_16discard_iteratorINSC_11use_defaultEEESN_EEEEEPS7_SQ_SQ_NSC_11hip_rocprim7__merge17predicate_wrapperIffNSC_4lessIfEEEEEE10hipError_tPvRmT0_T1_T2_T3_T4_T5_mmT6_P12ihipStream_tbEUlT_E_NS1_11comp_targetILNS1_3genE5ELNS1_11target_archE942ELNS1_3gpuE9ELNS1_3repE0EEENS1_30default_config_static_selectorELNS0_4arch9wavefront6targetE0EEEvS11_.uses_vcc, 0
	.set _ZN7rocprim17ROCPRIM_400000_NS6detail17trampoline_kernelINS0_14default_configENS1_21merge_config_selectorINS0_5tupleIJffEEENS0_10empty_typeEEEZNS1_10merge_implIS3_NS0_12zip_iteratorINS5_IJN6thrust23THRUST_200600_302600_NS6detail15normal_iteratorINSC_10device_ptrIKfEEEESI_EEEEESK_NSA_INS5_IJNSC_16discard_iteratorINSC_11use_defaultEEESN_EEEEEPS7_SQ_SQ_NSC_11hip_rocprim7__merge17predicate_wrapperIffNSC_4lessIfEEEEEE10hipError_tPvRmT0_T1_T2_T3_T4_T5_mmT6_P12ihipStream_tbEUlT_E_NS1_11comp_targetILNS1_3genE5ELNS1_11target_archE942ELNS1_3gpuE9ELNS1_3repE0EEENS1_30default_config_static_selectorELNS0_4arch9wavefront6targetE0EEEvS11_.uses_flat_scratch, 0
	.set _ZN7rocprim17ROCPRIM_400000_NS6detail17trampoline_kernelINS0_14default_configENS1_21merge_config_selectorINS0_5tupleIJffEEENS0_10empty_typeEEEZNS1_10merge_implIS3_NS0_12zip_iteratorINS5_IJN6thrust23THRUST_200600_302600_NS6detail15normal_iteratorINSC_10device_ptrIKfEEEESI_EEEEESK_NSA_INS5_IJNSC_16discard_iteratorINSC_11use_defaultEEESN_EEEEEPS7_SQ_SQ_NSC_11hip_rocprim7__merge17predicate_wrapperIffNSC_4lessIfEEEEEE10hipError_tPvRmT0_T1_T2_T3_T4_T5_mmT6_P12ihipStream_tbEUlT_E_NS1_11comp_targetILNS1_3genE5ELNS1_11target_archE942ELNS1_3gpuE9ELNS1_3repE0EEENS1_30default_config_static_selectorELNS0_4arch9wavefront6targetE0EEEvS11_.has_dyn_sized_stack, 0
	.set _ZN7rocprim17ROCPRIM_400000_NS6detail17trampoline_kernelINS0_14default_configENS1_21merge_config_selectorINS0_5tupleIJffEEENS0_10empty_typeEEEZNS1_10merge_implIS3_NS0_12zip_iteratorINS5_IJN6thrust23THRUST_200600_302600_NS6detail15normal_iteratorINSC_10device_ptrIKfEEEESI_EEEEESK_NSA_INS5_IJNSC_16discard_iteratorINSC_11use_defaultEEESN_EEEEEPS7_SQ_SQ_NSC_11hip_rocprim7__merge17predicate_wrapperIffNSC_4lessIfEEEEEE10hipError_tPvRmT0_T1_T2_T3_T4_T5_mmT6_P12ihipStream_tbEUlT_E_NS1_11comp_targetILNS1_3genE5ELNS1_11target_archE942ELNS1_3gpuE9ELNS1_3repE0EEENS1_30default_config_static_selectorELNS0_4arch9wavefront6targetE0EEEvS11_.has_recursion, 0
	.set _ZN7rocprim17ROCPRIM_400000_NS6detail17trampoline_kernelINS0_14default_configENS1_21merge_config_selectorINS0_5tupleIJffEEENS0_10empty_typeEEEZNS1_10merge_implIS3_NS0_12zip_iteratorINS5_IJN6thrust23THRUST_200600_302600_NS6detail15normal_iteratorINSC_10device_ptrIKfEEEESI_EEEEESK_NSA_INS5_IJNSC_16discard_iteratorINSC_11use_defaultEEESN_EEEEEPS7_SQ_SQ_NSC_11hip_rocprim7__merge17predicate_wrapperIffNSC_4lessIfEEEEEE10hipError_tPvRmT0_T1_T2_T3_T4_T5_mmT6_P12ihipStream_tbEUlT_E_NS1_11comp_targetILNS1_3genE5ELNS1_11target_archE942ELNS1_3gpuE9ELNS1_3repE0EEENS1_30default_config_static_selectorELNS0_4arch9wavefront6targetE0EEEvS11_.has_indirect_call, 0
	.section	.AMDGPU.csdata,"",@progbits
; Kernel info:
; codeLenInByte = 0
; TotalNumSgprs: 0
; NumVgprs: 0
; ScratchSize: 0
; MemoryBound: 0
; FloatMode: 240
; IeeeMode: 1
; LDSByteSize: 0 bytes/workgroup (compile time only)
; SGPRBlocks: 0
; VGPRBlocks: 0
; NumSGPRsForWavesPerEU: 1
; NumVGPRsForWavesPerEU: 1
; NamedBarCnt: 0
; Occupancy: 16
; WaveLimiterHint : 0
; COMPUTE_PGM_RSRC2:SCRATCH_EN: 0
; COMPUTE_PGM_RSRC2:USER_SGPR: 2
; COMPUTE_PGM_RSRC2:TRAP_HANDLER: 0
; COMPUTE_PGM_RSRC2:TGID_X_EN: 1
; COMPUTE_PGM_RSRC2:TGID_Y_EN: 0
; COMPUTE_PGM_RSRC2:TGID_Z_EN: 0
; COMPUTE_PGM_RSRC2:TIDIG_COMP_CNT: 0
	.section	.text._ZN7rocprim17ROCPRIM_400000_NS6detail17trampoline_kernelINS0_14default_configENS1_21merge_config_selectorINS0_5tupleIJffEEENS0_10empty_typeEEEZNS1_10merge_implIS3_NS0_12zip_iteratorINS5_IJN6thrust23THRUST_200600_302600_NS6detail15normal_iteratorINSC_10device_ptrIKfEEEESI_EEEEESK_NSA_INS5_IJNSC_16discard_iteratorINSC_11use_defaultEEESN_EEEEEPS7_SQ_SQ_NSC_11hip_rocprim7__merge17predicate_wrapperIffNSC_4lessIfEEEEEE10hipError_tPvRmT0_T1_T2_T3_T4_T5_mmT6_P12ihipStream_tbEUlT_E_NS1_11comp_targetILNS1_3genE4ELNS1_11target_archE910ELNS1_3gpuE8ELNS1_3repE0EEENS1_30default_config_static_selectorELNS0_4arch9wavefront6targetE0EEEvS11_,"axG",@progbits,_ZN7rocprim17ROCPRIM_400000_NS6detail17trampoline_kernelINS0_14default_configENS1_21merge_config_selectorINS0_5tupleIJffEEENS0_10empty_typeEEEZNS1_10merge_implIS3_NS0_12zip_iteratorINS5_IJN6thrust23THRUST_200600_302600_NS6detail15normal_iteratorINSC_10device_ptrIKfEEEESI_EEEEESK_NSA_INS5_IJNSC_16discard_iteratorINSC_11use_defaultEEESN_EEEEEPS7_SQ_SQ_NSC_11hip_rocprim7__merge17predicate_wrapperIffNSC_4lessIfEEEEEE10hipError_tPvRmT0_T1_T2_T3_T4_T5_mmT6_P12ihipStream_tbEUlT_E_NS1_11comp_targetILNS1_3genE4ELNS1_11target_archE910ELNS1_3gpuE8ELNS1_3repE0EEENS1_30default_config_static_selectorELNS0_4arch9wavefront6targetE0EEEvS11_,comdat
	.protected	_ZN7rocprim17ROCPRIM_400000_NS6detail17trampoline_kernelINS0_14default_configENS1_21merge_config_selectorINS0_5tupleIJffEEENS0_10empty_typeEEEZNS1_10merge_implIS3_NS0_12zip_iteratorINS5_IJN6thrust23THRUST_200600_302600_NS6detail15normal_iteratorINSC_10device_ptrIKfEEEESI_EEEEESK_NSA_INS5_IJNSC_16discard_iteratorINSC_11use_defaultEEESN_EEEEEPS7_SQ_SQ_NSC_11hip_rocprim7__merge17predicate_wrapperIffNSC_4lessIfEEEEEE10hipError_tPvRmT0_T1_T2_T3_T4_T5_mmT6_P12ihipStream_tbEUlT_E_NS1_11comp_targetILNS1_3genE4ELNS1_11target_archE910ELNS1_3gpuE8ELNS1_3repE0EEENS1_30default_config_static_selectorELNS0_4arch9wavefront6targetE0EEEvS11_ ; -- Begin function _ZN7rocprim17ROCPRIM_400000_NS6detail17trampoline_kernelINS0_14default_configENS1_21merge_config_selectorINS0_5tupleIJffEEENS0_10empty_typeEEEZNS1_10merge_implIS3_NS0_12zip_iteratorINS5_IJN6thrust23THRUST_200600_302600_NS6detail15normal_iteratorINSC_10device_ptrIKfEEEESI_EEEEESK_NSA_INS5_IJNSC_16discard_iteratorINSC_11use_defaultEEESN_EEEEEPS7_SQ_SQ_NSC_11hip_rocprim7__merge17predicate_wrapperIffNSC_4lessIfEEEEEE10hipError_tPvRmT0_T1_T2_T3_T4_T5_mmT6_P12ihipStream_tbEUlT_E_NS1_11comp_targetILNS1_3genE4ELNS1_11target_archE910ELNS1_3gpuE8ELNS1_3repE0EEENS1_30default_config_static_selectorELNS0_4arch9wavefront6targetE0EEEvS11_
	.globl	_ZN7rocprim17ROCPRIM_400000_NS6detail17trampoline_kernelINS0_14default_configENS1_21merge_config_selectorINS0_5tupleIJffEEENS0_10empty_typeEEEZNS1_10merge_implIS3_NS0_12zip_iteratorINS5_IJN6thrust23THRUST_200600_302600_NS6detail15normal_iteratorINSC_10device_ptrIKfEEEESI_EEEEESK_NSA_INS5_IJNSC_16discard_iteratorINSC_11use_defaultEEESN_EEEEEPS7_SQ_SQ_NSC_11hip_rocprim7__merge17predicate_wrapperIffNSC_4lessIfEEEEEE10hipError_tPvRmT0_T1_T2_T3_T4_T5_mmT6_P12ihipStream_tbEUlT_E_NS1_11comp_targetILNS1_3genE4ELNS1_11target_archE910ELNS1_3gpuE8ELNS1_3repE0EEENS1_30default_config_static_selectorELNS0_4arch9wavefront6targetE0EEEvS11_
	.p2align	8
	.type	_ZN7rocprim17ROCPRIM_400000_NS6detail17trampoline_kernelINS0_14default_configENS1_21merge_config_selectorINS0_5tupleIJffEEENS0_10empty_typeEEEZNS1_10merge_implIS3_NS0_12zip_iteratorINS5_IJN6thrust23THRUST_200600_302600_NS6detail15normal_iteratorINSC_10device_ptrIKfEEEESI_EEEEESK_NSA_INS5_IJNSC_16discard_iteratorINSC_11use_defaultEEESN_EEEEEPS7_SQ_SQ_NSC_11hip_rocprim7__merge17predicate_wrapperIffNSC_4lessIfEEEEEE10hipError_tPvRmT0_T1_T2_T3_T4_T5_mmT6_P12ihipStream_tbEUlT_E_NS1_11comp_targetILNS1_3genE4ELNS1_11target_archE910ELNS1_3gpuE8ELNS1_3repE0EEENS1_30default_config_static_selectorELNS0_4arch9wavefront6targetE0EEEvS11_,@function
_ZN7rocprim17ROCPRIM_400000_NS6detail17trampoline_kernelINS0_14default_configENS1_21merge_config_selectorINS0_5tupleIJffEEENS0_10empty_typeEEEZNS1_10merge_implIS3_NS0_12zip_iteratorINS5_IJN6thrust23THRUST_200600_302600_NS6detail15normal_iteratorINSC_10device_ptrIKfEEEESI_EEEEESK_NSA_INS5_IJNSC_16discard_iteratorINSC_11use_defaultEEESN_EEEEEPS7_SQ_SQ_NSC_11hip_rocprim7__merge17predicate_wrapperIffNSC_4lessIfEEEEEE10hipError_tPvRmT0_T1_T2_T3_T4_T5_mmT6_P12ihipStream_tbEUlT_E_NS1_11comp_targetILNS1_3genE4ELNS1_11target_archE910ELNS1_3gpuE8ELNS1_3repE0EEENS1_30default_config_static_selectorELNS0_4arch9wavefront6targetE0EEEvS11_: ; @_ZN7rocprim17ROCPRIM_400000_NS6detail17trampoline_kernelINS0_14default_configENS1_21merge_config_selectorINS0_5tupleIJffEEENS0_10empty_typeEEEZNS1_10merge_implIS3_NS0_12zip_iteratorINS5_IJN6thrust23THRUST_200600_302600_NS6detail15normal_iteratorINSC_10device_ptrIKfEEEESI_EEEEESK_NSA_INS5_IJNSC_16discard_iteratorINSC_11use_defaultEEESN_EEEEEPS7_SQ_SQ_NSC_11hip_rocprim7__merge17predicate_wrapperIffNSC_4lessIfEEEEEE10hipError_tPvRmT0_T1_T2_T3_T4_T5_mmT6_P12ihipStream_tbEUlT_E_NS1_11comp_targetILNS1_3genE4ELNS1_11target_archE910ELNS1_3gpuE8ELNS1_3repE0EEENS1_30default_config_static_selectorELNS0_4arch9wavefront6targetE0EEEvS11_
; %bb.0:
	.section	.rodata,"a",@progbits
	.p2align	6, 0x0
	.amdhsa_kernel _ZN7rocprim17ROCPRIM_400000_NS6detail17trampoline_kernelINS0_14default_configENS1_21merge_config_selectorINS0_5tupleIJffEEENS0_10empty_typeEEEZNS1_10merge_implIS3_NS0_12zip_iteratorINS5_IJN6thrust23THRUST_200600_302600_NS6detail15normal_iteratorINSC_10device_ptrIKfEEEESI_EEEEESK_NSA_INS5_IJNSC_16discard_iteratorINSC_11use_defaultEEESN_EEEEEPS7_SQ_SQ_NSC_11hip_rocprim7__merge17predicate_wrapperIffNSC_4lessIfEEEEEE10hipError_tPvRmT0_T1_T2_T3_T4_T5_mmT6_P12ihipStream_tbEUlT_E_NS1_11comp_targetILNS1_3genE4ELNS1_11target_archE910ELNS1_3gpuE8ELNS1_3repE0EEENS1_30default_config_static_selectorELNS0_4arch9wavefront6targetE0EEEvS11_
		.amdhsa_group_segment_fixed_size 0
		.amdhsa_private_segment_fixed_size 0
		.amdhsa_kernarg_size 64
		.amdhsa_user_sgpr_count 2
		.amdhsa_user_sgpr_dispatch_ptr 0
		.amdhsa_user_sgpr_queue_ptr 0
		.amdhsa_user_sgpr_kernarg_segment_ptr 1
		.amdhsa_user_sgpr_dispatch_id 0
		.amdhsa_user_sgpr_kernarg_preload_length 0
		.amdhsa_user_sgpr_kernarg_preload_offset 0
		.amdhsa_user_sgpr_private_segment_size 0
		.amdhsa_wavefront_size32 1
		.amdhsa_uses_dynamic_stack 0
		.amdhsa_enable_private_segment 0
		.amdhsa_system_sgpr_workgroup_id_x 1
		.amdhsa_system_sgpr_workgroup_id_y 0
		.amdhsa_system_sgpr_workgroup_id_z 0
		.amdhsa_system_sgpr_workgroup_info 0
		.amdhsa_system_vgpr_workitem_id 0
		.amdhsa_next_free_vgpr 1
		.amdhsa_next_free_sgpr 1
		.amdhsa_named_barrier_count 0
		.amdhsa_reserve_vcc 0
		.amdhsa_float_round_mode_32 0
		.amdhsa_float_round_mode_16_64 0
		.amdhsa_float_denorm_mode_32 3
		.amdhsa_float_denorm_mode_16_64 3
		.amdhsa_fp16_overflow 0
		.amdhsa_memory_ordered 1
		.amdhsa_forward_progress 1
		.amdhsa_inst_pref_size 0
		.amdhsa_round_robin_scheduling 0
		.amdhsa_exception_fp_ieee_invalid_op 0
		.amdhsa_exception_fp_denorm_src 0
		.amdhsa_exception_fp_ieee_div_zero 0
		.amdhsa_exception_fp_ieee_overflow 0
		.amdhsa_exception_fp_ieee_underflow 0
		.amdhsa_exception_fp_ieee_inexact 0
		.amdhsa_exception_int_div_zero 0
	.end_amdhsa_kernel
	.section	.text._ZN7rocprim17ROCPRIM_400000_NS6detail17trampoline_kernelINS0_14default_configENS1_21merge_config_selectorINS0_5tupleIJffEEENS0_10empty_typeEEEZNS1_10merge_implIS3_NS0_12zip_iteratorINS5_IJN6thrust23THRUST_200600_302600_NS6detail15normal_iteratorINSC_10device_ptrIKfEEEESI_EEEEESK_NSA_INS5_IJNSC_16discard_iteratorINSC_11use_defaultEEESN_EEEEEPS7_SQ_SQ_NSC_11hip_rocprim7__merge17predicate_wrapperIffNSC_4lessIfEEEEEE10hipError_tPvRmT0_T1_T2_T3_T4_T5_mmT6_P12ihipStream_tbEUlT_E_NS1_11comp_targetILNS1_3genE4ELNS1_11target_archE910ELNS1_3gpuE8ELNS1_3repE0EEENS1_30default_config_static_selectorELNS0_4arch9wavefront6targetE0EEEvS11_,"axG",@progbits,_ZN7rocprim17ROCPRIM_400000_NS6detail17trampoline_kernelINS0_14default_configENS1_21merge_config_selectorINS0_5tupleIJffEEENS0_10empty_typeEEEZNS1_10merge_implIS3_NS0_12zip_iteratorINS5_IJN6thrust23THRUST_200600_302600_NS6detail15normal_iteratorINSC_10device_ptrIKfEEEESI_EEEEESK_NSA_INS5_IJNSC_16discard_iteratorINSC_11use_defaultEEESN_EEEEEPS7_SQ_SQ_NSC_11hip_rocprim7__merge17predicate_wrapperIffNSC_4lessIfEEEEEE10hipError_tPvRmT0_T1_T2_T3_T4_T5_mmT6_P12ihipStream_tbEUlT_E_NS1_11comp_targetILNS1_3genE4ELNS1_11target_archE910ELNS1_3gpuE8ELNS1_3repE0EEENS1_30default_config_static_selectorELNS0_4arch9wavefront6targetE0EEEvS11_,comdat
.Lfunc_end499:
	.size	_ZN7rocprim17ROCPRIM_400000_NS6detail17trampoline_kernelINS0_14default_configENS1_21merge_config_selectorINS0_5tupleIJffEEENS0_10empty_typeEEEZNS1_10merge_implIS3_NS0_12zip_iteratorINS5_IJN6thrust23THRUST_200600_302600_NS6detail15normal_iteratorINSC_10device_ptrIKfEEEESI_EEEEESK_NSA_INS5_IJNSC_16discard_iteratorINSC_11use_defaultEEESN_EEEEEPS7_SQ_SQ_NSC_11hip_rocprim7__merge17predicate_wrapperIffNSC_4lessIfEEEEEE10hipError_tPvRmT0_T1_T2_T3_T4_T5_mmT6_P12ihipStream_tbEUlT_E_NS1_11comp_targetILNS1_3genE4ELNS1_11target_archE910ELNS1_3gpuE8ELNS1_3repE0EEENS1_30default_config_static_selectorELNS0_4arch9wavefront6targetE0EEEvS11_, .Lfunc_end499-_ZN7rocprim17ROCPRIM_400000_NS6detail17trampoline_kernelINS0_14default_configENS1_21merge_config_selectorINS0_5tupleIJffEEENS0_10empty_typeEEEZNS1_10merge_implIS3_NS0_12zip_iteratorINS5_IJN6thrust23THRUST_200600_302600_NS6detail15normal_iteratorINSC_10device_ptrIKfEEEESI_EEEEESK_NSA_INS5_IJNSC_16discard_iteratorINSC_11use_defaultEEESN_EEEEEPS7_SQ_SQ_NSC_11hip_rocprim7__merge17predicate_wrapperIffNSC_4lessIfEEEEEE10hipError_tPvRmT0_T1_T2_T3_T4_T5_mmT6_P12ihipStream_tbEUlT_E_NS1_11comp_targetILNS1_3genE4ELNS1_11target_archE910ELNS1_3gpuE8ELNS1_3repE0EEENS1_30default_config_static_selectorELNS0_4arch9wavefront6targetE0EEEvS11_
                                        ; -- End function
	.set _ZN7rocprim17ROCPRIM_400000_NS6detail17trampoline_kernelINS0_14default_configENS1_21merge_config_selectorINS0_5tupleIJffEEENS0_10empty_typeEEEZNS1_10merge_implIS3_NS0_12zip_iteratorINS5_IJN6thrust23THRUST_200600_302600_NS6detail15normal_iteratorINSC_10device_ptrIKfEEEESI_EEEEESK_NSA_INS5_IJNSC_16discard_iteratorINSC_11use_defaultEEESN_EEEEEPS7_SQ_SQ_NSC_11hip_rocprim7__merge17predicate_wrapperIffNSC_4lessIfEEEEEE10hipError_tPvRmT0_T1_T2_T3_T4_T5_mmT6_P12ihipStream_tbEUlT_E_NS1_11comp_targetILNS1_3genE4ELNS1_11target_archE910ELNS1_3gpuE8ELNS1_3repE0EEENS1_30default_config_static_selectorELNS0_4arch9wavefront6targetE0EEEvS11_.num_vgpr, 0
	.set _ZN7rocprim17ROCPRIM_400000_NS6detail17trampoline_kernelINS0_14default_configENS1_21merge_config_selectorINS0_5tupleIJffEEENS0_10empty_typeEEEZNS1_10merge_implIS3_NS0_12zip_iteratorINS5_IJN6thrust23THRUST_200600_302600_NS6detail15normal_iteratorINSC_10device_ptrIKfEEEESI_EEEEESK_NSA_INS5_IJNSC_16discard_iteratorINSC_11use_defaultEEESN_EEEEEPS7_SQ_SQ_NSC_11hip_rocprim7__merge17predicate_wrapperIffNSC_4lessIfEEEEEE10hipError_tPvRmT0_T1_T2_T3_T4_T5_mmT6_P12ihipStream_tbEUlT_E_NS1_11comp_targetILNS1_3genE4ELNS1_11target_archE910ELNS1_3gpuE8ELNS1_3repE0EEENS1_30default_config_static_selectorELNS0_4arch9wavefront6targetE0EEEvS11_.num_agpr, 0
	.set _ZN7rocprim17ROCPRIM_400000_NS6detail17trampoline_kernelINS0_14default_configENS1_21merge_config_selectorINS0_5tupleIJffEEENS0_10empty_typeEEEZNS1_10merge_implIS3_NS0_12zip_iteratorINS5_IJN6thrust23THRUST_200600_302600_NS6detail15normal_iteratorINSC_10device_ptrIKfEEEESI_EEEEESK_NSA_INS5_IJNSC_16discard_iteratorINSC_11use_defaultEEESN_EEEEEPS7_SQ_SQ_NSC_11hip_rocprim7__merge17predicate_wrapperIffNSC_4lessIfEEEEEE10hipError_tPvRmT0_T1_T2_T3_T4_T5_mmT6_P12ihipStream_tbEUlT_E_NS1_11comp_targetILNS1_3genE4ELNS1_11target_archE910ELNS1_3gpuE8ELNS1_3repE0EEENS1_30default_config_static_selectorELNS0_4arch9wavefront6targetE0EEEvS11_.numbered_sgpr, 0
	.set _ZN7rocprim17ROCPRIM_400000_NS6detail17trampoline_kernelINS0_14default_configENS1_21merge_config_selectorINS0_5tupleIJffEEENS0_10empty_typeEEEZNS1_10merge_implIS3_NS0_12zip_iteratorINS5_IJN6thrust23THRUST_200600_302600_NS6detail15normal_iteratorINSC_10device_ptrIKfEEEESI_EEEEESK_NSA_INS5_IJNSC_16discard_iteratorINSC_11use_defaultEEESN_EEEEEPS7_SQ_SQ_NSC_11hip_rocprim7__merge17predicate_wrapperIffNSC_4lessIfEEEEEE10hipError_tPvRmT0_T1_T2_T3_T4_T5_mmT6_P12ihipStream_tbEUlT_E_NS1_11comp_targetILNS1_3genE4ELNS1_11target_archE910ELNS1_3gpuE8ELNS1_3repE0EEENS1_30default_config_static_selectorELNS0_4arch9wavefront6targetE0EEEvS11_.num_named_barrier, 0
	.set _ZN7rocprim17ROCPRIM_400000_NS6detail17trampoline_kernelINS0_14default_configENS1_21merge_config_selectorINS0_5tupleIJffEEENS0_10empty_typeEEEZNS1_10merge_implIS3_NS0_12zip_iteratorINS5_IJN6thrust23THRUST_200600_302600_NS6detail15normal_iteratorINSC_10device_ptrIKfEEEESI_EEEEESK_NSA_INS5_IJNSC_16discard_iteratorINSC_11use_defaultEEESN_EEEEEPS7_SQ_SQ_NSC_11hip_rocprim7__merge17predicate_wrapperIffNSC_4lessIfEEEEEE10hipError_tPvRmT0_T1_T2_T3_T4_T5_mmT6_P12ihipStream_tbEUlT_E_NS1_11comp_targetILNS1_3genE4ELNS1_11target_archE910ELNS1_3gpuE8ELNS1_3repE0EEENS1_30default_config_static_selectorELNS0_4arch9wavefront6targetE0EEEvS11_.private_seg_size, 0
	.set _ZN7rocprim17ROCPRIM_400000_NS6detail17trampoline_kernelINS0_14default_configENS1_21merge_config_selectorINS0_5tupleIJffEEENS0_10empty_typeEEEZNS1_10merge_implIS3_NS0_12zip_iteratorINS5_IJN6thrust23THRUST_200600_302600_NS6detail15normal_iteratorINSC_10device_ptrIKfEEEESI_EEEEESK_NSA_INS5_IJNSC_16discard_iteratorINSC_11use_defaultEEESN_EEEEEPS7_SQ_SQ_NSC_11hip_rocprim7__merge17predicate_wrapperIffNSC_4lessIfEEEEEE10hipError_tPvRmT0_T1_T2_T3_T4_T5_mmT6_P12ihipStream_tbEUlT_E_NS1_11comp_targetILNS1_3genE4ELNS1_11target_archE910ELNS1_3gpuE8ELNS1_3repE0EEENS1_30default_config_static_selectorELNS0_4arch9wavefront6targetE0EEEvS11_.uses_vcc, 0
	.set _ZN7rocprim17ROCPRIM_400000_NS6detail17trampoline_kernelINS0_14default_configENS1_21merge_config_selectorINS0_5tupleIJffEEENS0_10empty_typeEEEZNS1_10merge_implIS3_NS0_12zip_iteratorINS5_IJN6thrust23THRUST_200600_302600_NS6detail15normal_iteratorINSC_10device_ptrIKfEEEESI_EEEEESK_NSA_INS5_IJNSC_16discard_iteratorINSC_11use_defaultEEESN_EEEEEPS7_SQ_SQ_NSC_11hip_rocprim7__merge17predicate_wrapperIffNSC_4lessIfEEEEEE10hipError_tPvRmT0_T1_T2_T3_T4_T5_mmT6_P12ihipStream_tbEUlT_E_NS1_11comp_targetILNS1_3genE4ELNS1_11target_archE910ELNS1_3gpuE8ELNS1_3repE0EEENS1_30default_config_static_selectorELNS0_4arch9wavefront6targetE0EEEvS11_.uses_flat_scratch, 0
	.set _ZN7rocprim17ROCPRIM_400000_NS6detail17trampoline_kernelINS0_14default_configENS1_21merge_config_selectorINS0_5tupleIJffEEENS0_10empty_typeEEEZNS1_10merge_implIS3_NS0_12zip_iteratorINS5_IJN6thrust23THRUST_200600_302600_NS6detail15normal_iteratorINSC_10device_ptrIKfEEEESI_EEEEESK_NSA_INS5_IJNSC_16discard_iteratorINSC_11use_defaultEEESN_EEEEEPS7_SQ_SQ_NSC_11hip_rocprim7__merge17predicate_wrapperIffNSC_4lessIfEEEEEE10hipError_tPvRmT0_T1_T2_T3_T4_T5_mmT6_P12ihipStream_tbEUlT_E_NS1_11comp_targetILNS1_3genE4ELNS1_11target_archE910ELNS1_3gpuE8ELNS1_3repE0EEENS1_30default_config_static_selectorELNS0_4arch9wavefront6targetE0EEEvS11_.has_dyn_sized_stack, 0
	.set _ZN7rocprim17ROCPRIM_400000_NS6detail17trampoline_kernelINS0_14default_configENS1_21merge_config_selectorINS0_5tupleIJffEEENS0_10empty_typeEEEZNS1_10merge_implIS3_NS0_12zip_iteratorINS5_IJN6thrust23THRUST_200600_302600_NS6detail15normal_iteratorINSC_10device_ptrIKfEEEESI_EEEEESK_NSA_INS5_IJNSC_16discard_iteratorINSC_11use_defaultEEESN_EEEEEPS7_SQ_SQ_NSC_11hip_rocprim7__merge17predicate_wrapperIffNSC_4lessIfEEEEEE10hipError_tPvRmT0_T1_T2_T3_T4_T5_mmT6_P12ihipStream_tbEUlT_E_NS1_11comp_targetILNS1_3genE4ELNS1_11target_archE910ELNS1_3gpuE8ELNS1_3repE0EEENS1_30default_config_static_selectorELNS0_4arch9wavefront6targetE0EEEvS11_.has_recursion, 0
	.set _ZN7rocprim17ROCPRIM_400000_NS6detail17trampoline_kernelINS0_14default_configENS1_21merge_config_selectorINS0_5tupleIJffEEENS0_10empty_typeEEEZNS1_10merge_implIS3_NS0_12zip_iteratorINS5_IJN6thrust23THRUST_200600_302600_NS6detail15normal_iteratorINSC_10device_ptrIKfEEEESI_EEEEESK_NSA_INS5_IJNSC_16discard_iteratorINSC_11use_defaultEEESN_EEEEEPS7_SQ_SQ_NSC_11hip_rocprim7__merge17predicate_wrapperIffNSC_4lessIfEEEEEE10hipError_tPvRmT0_T1_T2_T3_T4_T5_mmT6_P12ihipStream_tbEUlT_E_NS1_11comp_targetILNS1_3genE4ELNS1_11target_archE910ELNS1_3gpuE8ELNS1_3repE0EEENS1_30default_config_static_selectorELNS0_4arch9wavefront6targetE0EEEvS11_.has_indirect_call, 0
	.section	.AMDGPU.csdata,"",@progbits
; Kernel info:
; codeLenInByte = 0
; TotalNumSgprs: 0
; NumVgprs: 0
; ScratchSize: 0
; MemoryBound: 0
; FloatMode: 240
; IeeeMode: 1
; LDSByteSize: 0 bytes/workgroup (compile time only)
; SGPRBlocks: 0
; VGPRBlocks: 0
; NumSGPRsForWavesPerEU: 1
; NumVGPRsForWavesPerEU: 1
; NamedBarCnt: 0
; Occupancy: 16
; WaveLimiterHint : 0
; COMPUTE_PGM_RSRC2:SCRATCH_EN: 0
; COMPUTE_PGM_RSRC2:USER_SGPR: 2
; COMPUTE_PGM_RSRC2:TRAP_HANDLER: 0
; COMPUTE_PGM_RSRC2:TGID_X_EN: 1
; COMPUTE_PGM_RSRC2:TGID_Y_EN: 0
; COMPUTE_PGM_RSRC2:TGID_Z_EN: 0
; COMPUTE_PGM_RSRC2:TIDIG_COMP_CNT: 0
	.section	.text._ZN7rocprim17ROCPRIM_400000_NS6detail17trampoline_kernelINS0_14default_configENS1_21merge_config_selectorINS0_5tupleIJffEEENS0_10empty_typeEEEZNS1_10merge_implIS3_NS0_12zip_iteratorINS5_IJN6thrust23THRUST_200600_302600_NS6detail15normal_iteratorINSC_10device_ptrIKfEEEESI_EEEEESK_NSA_INS5_IJNSC_16discard_iteratorINSC_11use_defaultEEESN_EEEEEPS7_SQ_SQ_NSC_11hip_rocprim7__merge17predicate_wrapperIffNSC_4lessIfEEEEEE10hipError_tPvRmT0_T1_T2_T3_T4_T5_mmT6_P12ihipStream_tbEUlT_E_NS1_11comp_targetILNS1_3genE3ELNS1_11target_archE908ELNS1_3gpuE7ELNS1_3repE0EEENS1_30default_config_static_selectorELNS0_4arch9wavefront6targetE0EEEvS11_,"axG",@progbits,_ZN7rocprim17ROCPRIM_400000_NS6detail17trampoline_kernelINS0_14default_configENS1_21merge_config_selectorINS0_5tupleIJffEEENS0_10empty_typeEEEZNS1_10merge_implIS3_NS0_12zip_iteratorINS5_IJN6thrust23THRUST_200600_302600_NS6detail15normal_iteratorINSC_10device_ptrIKfEEEESI_EEEEESK_NSA_INS5_IJNSC_16discard_iteratorINSC_11use_defaultEEESN_EEEEEPS7_SQ_SQ_NSC_11hip_rocprim7__merge17predicate_wrapperIffNSC_4lessIfEEEEEE10hipError_tPvRmT0_T1_T2_T3_T4_T5_mmT6_P12ihipStream_tbEUlT_E_NS1_11comp_targetILNS1_3genE3ELNS1_11target_archE908ELNS1_3gpuE7ELNS1_3repE0EEENS1_30default_config_static_selectorELNS0_4arch9wavefront6targetE0EEEvS11_,comdat
	.protected	_ZN7rocprim17ROCPRIM_400000_NS6detail17trampoline_kernelINS0_14default_configENS1_21merge_config_selectorINS0_5tupleIJffEEENS0_10empty_typeEEEZNS1_10merge_implIS3_NS0_12zip_iteratorINS5_IJN6thrust23THRUST_200600_302600_NS6detail15normal_iteratorINSC_10device_ptrIKfEEEESI_EEEEESK_NSA_INS5_IJNSC_16discard_iteratorINSC_11use_defaultEEESN_EEEEEPS7_SQ_SQ_NSC_11hip_rocprim7__merge17predicate_wrapperIffNSC_4lessIfEEEEEE10hipError_tPvRmT0_T1_T2_T3_T4_T5_mmT6_P12ihipStream_tbEUlT_E_NS1_11comp_targetILNS1_3genE3ELNS1_11target_archE908ELNS1_3gpuE7ELNS1_3repE0EEENS1_30default_config_static_selectorELNS0_4arch9wavefront6targetE0EEEvS11_ ; -- Begin function _ZN7rocprim17ROCPRIM_400000_NS6detail17trampoline_kernelINS0_14default_configENS1_21merge_config_selectorINS0_5tupleIJffEEENS0_10empty_typeEEEZNS1_10merge_implIS3_NS0_12zip_iteratorINS5_IJN6thrust23THRUST_200600_302600_NS6detail15normal_iteratorINSC_10device_ptrIKfEEEESI_EEEEESK_NSA_INS5_IJNSC_16discard_iteratorINSC_11use_defaultEEESN_EEEEEPS7_SQ_SQ_NSC_11hip_rocprim7__merge17predicate_wrapperIffNSC_4lessIfEEEEEE10hipError_tPvRmT0_T1_T2_T3_T4_T5_mmT6_P12ihipStream_tbEUlT_E_NS1_11comp_targetILNS1_3genE3ELNS1_11target_archE908ELNS1_3gpuE7ELNS1_3repE0EEENS1_30default_config_static_selectorELNS0_4arch9wavefront6targetE0EEEvS11_
	.globl	_ZN7rocprim17ROCPRIM_400000_NS6detail17trampoline_kernelINS0_14default_configENS1_21merge_config_selectorINS0_5tupleIJffEEENS0_10empty_typeEEEZNS1_10merge_implIS3_NS0_12zip_iteratorINS5_IJN6thrust23THRUST_200600_302600_NS6detail15normal_iteratorINSC_10device_ptrIKfEEEESI_EEEEESK_NSA_INS5_IJNSC_16discard_iteratorINSC_11use_defaultEEESN_EEEEEPS7_SQ_SQ_NSC_11hip_rocprim7__merge17predicate_wrapperIffNSC_4lessIfEEEEEE10hipError_tPvRmT0_T1_T2_T3_T4_T5_mmT6_P12ihipStream_tbEUlT_E_NS1_11comp_targetILNS1_3genE3ELNS1_11target_archE908ELNS1_3gpuE7ELNS1_3repE0EEENS1_30default_config_static_selectorELNS0_4arch9wavefront6targetE0EEEvS11_
	.p2align	8
	.type	_ZN7rocprim17ROCPRIM_400000_NS6detail17trampoline_kernelINS0_14default_configENS1_21merge_config_selectorINS0_5tupleIJffEEENS0_10empty_typeEEEZNS1_10merge_implIS3_NS0_12zip_iteratorINS5_IJN6thrust23THRUST_200600_302600_NS6detail15normal_iteratorINSC_10device_ptrIKfEEEESI_EEEEESK_NSA_INS5_IJNSC_16discard_iteratorINSC_11use_defaultEEESN_EEEEEPS7_SQ_SQ_NSC_11hip_rocprim7__merge17predicate_wrapperIffNSC_4lessIfEEEEEE10hipError_tPvRmT0_T1_T2_T3_T4_T5_mmT6_P12ihipStream_tbEUlT_E_NS1_11comp_targetILNS1_3genE3ELNS1_11target_archE908ELNS1_3gpuE7ELNS1_3repE0EEENS1_30default_config_static_selectorELNS0_4arch9wavefront6targetE0EEEvS11_,@function
_ZN7rocprim17ROCPRIM_400000_NS6detail17trampoline_kernelINS0_14default_configENS1_21merge_config_selectorINS0_5tupleIJffEEENS0_10empty_typeEEEZNS1_10merge_implIS3_NS0_12zip_iteratorINS5_IJN6thrust23THRUST_200600_302600_NS6detail15normal_iteratorINSC_10device_ptrIKfEEEESI_EEEEESK_NSA_INS5_IJNSC_16discard_iteratorINSC_11use_defaultEEESN_EEEEEPS7_SQ_SQ_NSC_11hip_rocprim7__merge17predicate_wrapperIffNSC_4lessIfEEEEEE10hipError_tPvRmT0_T1_T2_T3_T4_T5_mmT6_P12ihipStream_tbEUlT_E_NS1_11comp_targetILNS1_3genE3ELNS1_11target_archE908ELNS1_3gpuE7ELNS1_3repE0EEENS1_30default_config_static_selectorELNS0_4arch9wavefront6targetE0EEEvS11_: ; @_ZN7rocprim17ROCPRIM_400000_NS6detail17trampoline_kernelINS0_14default_configENS1_21merge_config_selectorINS0_5tupleIJffEEENS0_10empty_typeEEEZNS1_10merge_implIS3_NS0_12zip_iteratorINS5_IJN6thrust23THRUST_200600_302600_NS6detail15normal_iteratorINSC_10device_ptrIKfEEEESI_EEEEESK_NSA_INS5_IJNSC_16discard_iteratorINSC_11use_defaultEEESN_EEEEEPS7_SQ_SQ_NSC_11hip_rocprim7__merge17predicate_wrapperIffNSC_4lessIfEEEEEE10hipError_tPvRmT0_T1_T2_T3_T4_T5_mmT6_P12ihipStream_tbEUlT_E_NS1_11comp_targetILNS1_3genE3ELNS1_11target_archE908ELNS1_3gpuE7ELNS1_3repE0EEENS1_30default_config_static_selectorELNS0_4arch9wavefront6targetE0EEEvS11_
; %bb.0:
	.section	.rodata,"a",@progbits
	.p2align	6, 0x0
	.amdhsa_kernel _ZN7rocprim17ROCPRIM_400000_NS6detail17trampoline_kernelINS0_14default_configENS1_21merge_config_selectorINS0_5tupleIJffEEENS0_10empty_typeEEEZNS1_10merge_implIS3_NS0_12zip_iteratorINS5_IJN6thrust23THRUST_200600_302600_NS6detail15normal_iteratorINSC_10device_ptrIKfEEEESI_EEEEESK_NSA_INS5_IJNSC_16discard_iteratorINSC_11use_defaultEEESN_EEEEEPS7_SQ_SQ_NSC_11hip_rocprim7__merge17predicate_wrapperIffNSC_4lessIfEEEEEE10hipError_tPvRmT0_T1_T2_T3_T4_T5_mmT6_P12ihipStream_tbEUlT_E_NS1_11comp_targetILNS1_3genE3ELNS1_11target_archE908ELNS1_3gpuE7ELNS1_3repE0EEENS1_30default_config_static_selectorELNS0_4arch9wavefront6targetE0EEEvS11_
		.amdhsa_group_segment_fixed_size 0
		.amdhsa_private_segment_fixed_size 0
		.amdhsa_kernarg_size 64
		.amdhsa_user_sgpr_count 2
		.amdhsa_user_sgpr_dispatch_ptr 0
		.amdhsa_user_sgpr_queue_ptr 0
		.amdhsa_user_sgpr_kernarg_segment_ptr 1
		.amdhsa_user_sgpr_dispatch_id 0
		.amdhsa_user_sgpr_kernarg_preload_length 0
		.amdhsa_user_sgpr_kernarg_preload_offset 0
		.amdhsa_user_sgpr_private_segment_size 0
		.amdhsa_wavefront_size32 1
		.amdhsa_uses_dynamic_stack 0
		.amdhsa_enable_private_segment 0
		.amdhsa_system_sgpr_workgroup_id_x 1
		.amdhsa_system_sgpr_workgroup_id_y 0
		.amdhsa_system_sgpr_workgroup_id_z 0
		.amdhsa_system_sgpr_workgroup_info 0
		.amdhsa_system_vgpr_workitem_id 0
		.amdhsa_next_free_vgpr 1
		.amdhsa_next_free_sgpr 1
		.amdhsa_named_barrier_count 0
		.amdhsa_reserve_vcc 0
		.amdhsa_float_round_mode_32 0
		.amdhsa_float_round_mode_16_64 0
		.amdhsa_float_denorm_mode_32 3
		.amdhsa_float_denorm_mode_16_64 3
		.amdhsa_fp16_overflow 0
		.amdhsa_memory_ordered 1
		.amdhsa_forward_progress 1
		.amdhsa_inst_pref_size 0
		.amdhsa_round_robin_scheduling 0
		.amdhsa_exception_fp_ieee_invalid_op 0
		.amdhsa_exception_fp_denorm_src 0
		.amdhsa_exception_fp_ieee_div_zero 0
		.amdhsa_exception_fp_ieee_overflow 0
		.amdhsa_exception_fp_ieee_underflow 0
		.amdhsa_exception_fp_ieee_inexact 0
		.amdhsa_exception_int_div_zero 0
	.end_amdhsa_kernel
	.section	.text._ZN7rocprim17ROCPRIM_400000_NS6detail17trampoline_kernelINS0_14default_configENS1_21merge_config_selectorINS0_5tupleIJffEEENS0_10empty_typeEEEZNS1_10merge_implIS3_NS0_12zip_iteratorINS5_IJN6thrust23THRUST_200600_302600_NS6detail15normal_iteratorINSC_10device_ptrIKfEEEESI_EEEEESK_NSA_INS5_IJNSC_16discard_iteratorINSC_11use_defaultEEESN_EEEEEPS7_SQ_SQ_NSC_11hip_rocprim7__merge17predicate_wrapperIffNSC_4lessIfEEEEEE10hipError_tPvRmT0_T1_T2_T3_T4_T5_mmT6_P12ihipStream_tbEUlT_E_NS1_11comp_targetILNS1_3genE3ELNS1_11target_archE908ELNS1_3gpuE7ELNS1_3repE0EEENS1_30default_config_static_selectorELNS0_4arch9wavefront6targetE0EEEvS11_,"axG",@progbits,_ZN7rocprim17ROCPRIM_400000_NS6detail17trampoline_kernelINS0_14default_configENS1_21merge_config_selectorINS0_5tupleIJffEEENS0_10empty_typeEEEZNS1_10merge_implIS3_NS0_12zip_iteratorINS5_IJN6thrust23THRUST_200600_302600_NS6detail15normal_iteratorINSC_10device_ptrIKfEEEESI_EEEEESK_NSA_INS5_IJNSC_16discard_iteratorINSC_11use_defaultEEESN_EEEEEPS7_SQ_SQ_NSC_11hip_rocprim7__merge17predicate_wrapperIffNSC_4lessIfEEEEEE10hipError_tPvRmT0_T1_T2_T3_T4_T5_mmT6_P12ihipStream_tbEUlT_E_NS1_11comp_targetILNS1_3genE3ELNS1_11target_archE908ELNS1_3gpuE7ELNS1_3repE0EEENS1_30default_config_static_selectorELNS0_4arch9wavefront6targetE0EEEvS11_,comdat
.Lfunc_end500:
	.size	_ZN7rocprim17ROCPRIM_400000_NS6detail17trampoline_kernelINS0_14default_configENS1_21merge_config_selectorINS0_5tupleIJffEEENS0_10empty_typeEEEZNS1_10merge_implIS3_NS0_12zip_iteratorINS5_IJN6thrust23THRUST_200600_302600_NS6detail15normal_iteratorINSC_10device_ptrIKfEEEESI_EEEEESK_NSA_INS5_IJNSC_16discard_iteratorINSC_11use_defaultEEESN_EEEEEPS7_SQ_SQ_NSC_11hip_rocprim7__merge17predicate_wrapperIffNSC_4lessIfEEEEEE10hipError_tPvRmT0_T1_T2_T3_T4_T5_mmT6_P12ihipStream_tbEUlT_E_NS1_11comp_targetILNS1_3genE3ELNS1_11target_archE908ELNS1_3gpuE7ELNS1_3repE0EEENS1_30default_config_static_selectorELNS0_4arch9wavefront6targetE0EEEvS11_, .Lfunc_end500-_ZN7rocprim17ROCPRIM_400000_NS6detail17trampoline_kernelINS0_14default_configENS1_21merge_config_selectorINS0_5tupleIJffEEENS0_10empty_typeEEEZNS1_10merge_implIS3_NS0_12zip_iteratorINS5_IJN6thrust23THRUST_200600_302600_NS6detail15normal_iteratorINSC_10device_ptrIKfEEEESI_EEEEESK_NSA_INS5_IJNSC_16discard_iteratorINSC_11use_defaultEEESN_EEEEEPS7_SQ_SQ_NSC_11hip_rocprim7__merge17predicate_wrapperIffNSC_4lessIfEEEEEE10hipError_tPvRmT0_T1_T2_T3_T4_T5_mmT6_P12ihipStream_tbEUlT_E_NS1_11comp_targetILNS1_3genE3ELNS1_11target_archE908ELNS1_3gpuE7ELNS1_3repE0EEENS1_30default_config_static_selectorELNS0_4arch9wavefront6targetE0EEEvS11_
                                        ; -- End function
	.set _ZN7rocprim17ROCPRIM_400000_NS6detail17trampoline_kernelINS0_14default_configENS1_21merge_config_selectorINS0_5tupleIJffEEENS0_10empty_typeEEEZNS1_10merge_implIS3_NS0_12zip_iteratorINS5_IJN6thrust23THRUST_200600_302600_NS6detail15normal_iteratorINSC_10device_ptrIKfEEEESI_EEEEESK_NSA_INS5_IJNSC_16discard_iteratorINSC_11use_defaultEEESN_EEEEEPS7_SQ_SQ_NSC_11hip_rocprim7__merge17predicate_wrapperIffNSC_4lessIfEEEEEE10hipError_tPvRmT0_T1_T2_T3_T4_T5_mmT6_P12ihipStream_tbEUlT_E_NS1_11comp_targetILNS1_3genE3ELNS1_11target_archE908ELNS1_3gpuE7ELNS1_3repE0EEENS1_30default_config_static_selectorELNS0_4arch9wavefront6targetE0EEEvS11_.num_vgpr, 0
	.set _ZN7rocprim17ROCPRIM_400000_NS6detail17trampoline_kernelINS0_14default_configENS1_21merge_config_selectorINS0_5tupleIJffEEENS0_10empty_typeEEEZNS1_10merge_implIS3_NS0_12zip_iteratorINS5_IJN6thrust23THRUST_200600_302600_NS6detail15normal_iteratorINSC_10device_ptrIKfEEEESI_EEEEESK_NSA_INS5_IJNSC_16discard_iteratorINSC_11use_defaultEEESN_EEEEEPS7_SQ_SQ_NSC_11hip_rocprim7__merge17predicate_wrapperIffNSC_4lessIfEEEEEE10hipError_tPvRmT0_T1_T2_T3_T4_T5_mmT6_P12ihipStream_tbEUlT_E_NS1_11comp_targetILNS1_3genE3ELNS1_11target_archE908ELNS1_3gpuE7ELNS1_3repE0EEENS1_30default_config_static_selectorELNS0_4arch9wavefront6targetE0EEEvS11_.num_agpr, 0
	.set _ZN7rocprim17ROCPRIM_400000_NS6detail17trampoline_kernelINS0_14default_configENS1_21merge_config_selectorINS0_5tupleIJffEEENS0_10empty_typeEEEZNS1_10merge_implIS3_NS0_12zip_iteratorINS5_IJN6thrust23THRUST_200600_302600_NS6detail15normal_iteratorINSC_10device_ptrIKfEEEESI_EEEEESK_NSA_INS5_IJNSC_16discard_iteratorINSC_11use_defaultEEESN_EEEEEPS7_SQ_SQ_NSC_11hip_rocprim7__merge17predicate_wrapperIffNSC_4lessIfEEEEEE10hipError_tPvRmT0_T1_T2_T3_T4_T5_mmT6_P12ihipStream_tbEUlT_E_NS1_11comp_targetILNS1_3genE3ELNS1_11target_archE908ELNS1_3gpuE7ELNS1_3repE0EEENS1_30default_config_static_selectorELNS0_4arch9wavefront6targetE0EEEvS11_.numbered_sgpr, 0
	.set _ZN7rocprim17ROCPRIM_400000_NS6detail17trampoline_kernelINS0_14default_configENS1_21merge_config_selectorINS0_5tupleIJffEEENS0_10empty_typeEEEZNS1_10merge_implIS3_NS0_12zip_iteratorINS5_IJN6thrust23THRUST_200600_302600_NS6detail15normal_iteratorINSC_10device_ptrIKfEEEESI_EEEEESK_NSA_INS5_IJNSC_16discard_iteratorINSC_11use_defaultEEESN_EEEEEPS7_SQ_SQ_NSC_11hip_rocprim7__merge17predicate_wrapperIffNSC_4lessIfEEEEEE10hipError_tPvRmT0_T1_T2_T3_T4_T5_mmT6_P12ihipStream_tbEUlT_E_NS1_11comp_targetILNS1_3genE3ELNS1_11target_archE908ELNS1_3gpuE7ELNS1_3repE0EEENS1_30default_config_static_selectorELNS0_4arch9wavefront6targetE0EEEvS11_.num_named_barrier, 0
	.set _ZN7rocprim17ROCPRIM_400000_NS6detail17trampoline_kernelINS0_14default_configENS1_21merge_config_selectorINS0_5tupleIJffEEENS0_10empty_typeEEEZNS1_10merge_implIS3_NS0_12zip_iteratorINS5_IJN6thrust23THRUST_200600_302600_NS6detail15normal_iteratorINSC_10device_ptrIKfEEEESI_EEEEESK_NSA_INS5_IJNSC_16discard_iteratorINSC_11use_defaultEEESN_EEEEEPS7_SQ_SQ_NSC_11hip_rocprim7__merge17predicate_wrapperIffNSC_4lessIfEEEEEE10hipError_tPvRmT0_T1_T2_T3_T4_T5_mmT6_P12ihipStream_tbEUlT_E_NS1_11comp_targetILNS1_3genE3ELNS1_11target_archE908ELNS1_3gpuE7ELNS1_3repE0EEENS1_30default_config_static_selectorELNS0_4arch9wavefront6targetE0EEEvS11_.private_seg_size, 0
	.set _ZN7rocprim17ROCPRIM_400000_NS6detail17trampoline_kernelINS0_14default_configENS1_21merge_config_selectorINS0_5tupleIJffEEENS0_10empty_typeEEEZNS1_10merge_implIS3_NS0_12zip_iteratorINS5_IJN6thrust23THRUST_200600_302600_NS6detail15normal_iteratorINSC_10device_ptrIKfEEEESI_EEEEESK_NSA_INS5_IJNSC_16discard_iteratorINSC_11use_defaultEEESN_EEEEEPS7_SQ_SQ_NSC_11hip_rocprim7__merge17predicate_wrapperIffNSC_4lessIfEEEEEE10hipError_tPvRmT0_T1_T2_T3_T4_T5_mmT6_P12ihipStream_tbEUlT_E_NS1_11comp_targetILNS1_3genE3ELNS1_11target_archE908ELNS1_3gpuE7ELNS1_3repE0EEENS1_30default_config_static_selectorELNS0_4arch9wavefront6targetE0EEEvS11_.uses_vcc, 0
	.set _ZN7rocprim17ROCPRIM_400000_NS6detail17trampoline_kernelINS0_14default_configENS1_21merge_config_selectorINS0_5tupleIJffEEENS0_10empty_typeEEEZNS1_10merge_implIS3_NS0_12zip_iteratorINS5_IJN6thrust23THRUST_200600_302600_NS6detail15normal_iteratorINSC_10device_ptrIKfEEEESI_EEEEESK_NSA_INS5_IJNSC_16discard_iteratorINSC_11use_defaultEEESN_EEEEEPS7_SQ_SQ_NSC_11hip_rocprim7__merge17predicate_wrapperIffNSC_4lessIfEEEEEE10hipError_tPvRmT0_T1_T2_T3_T4_T5_mmT6_P12ihipStream_tbEUlT_E_NS1_11comp_targetILNS1_3genE3ELNS1_11target_archE908ELNS1_3gpuE7ELNS1_3repE0EEENS1_30default_config_static_selectorELNS0_4arch9wavefront6targetE0EEEvS11_.uses_flat_scratch, 0
	.set _ZN7rocprim17ROCPRIM_400000_NS6detail17trampoline_kernelINS0_14default_configENS1_21merge_config_selectorINS0_5tupleIJffEEENS0_10empty_typeEEEZNS1_10merge_implIS3_NS0_12zip_iteratorINS5_IJN6thrust23THRUST_200600_302600_NS6detail15normal_iteratorINSC_10device_ptrIKfEEEESI_EEEEESK_NSA_INS5_IJNSC_16discard_iteratorINSC_11use_defaultEEESN_EEEEEPS7_SQ_SQ_NSC_11hip_rocprim7__merge17predicate_wrapperIffNSC_4lessIfEEEEEE10hipError_tPvRmT0_T1_T2_T3_T4_T5_mmT6_P12ihipStream_tbEUlT_E_NS1_11comp_targetILNS1_3genE3ELNS1_11target_archE908ELNS1_3gpuE7ELNS1_3repE0EEENS1_30default_config_static_selectorELNS0_4arch9wavefront6targetE0EEEvS11_.has_dyn_sized_stack, 0
	.set _ZN7rocprim17ROCPRIM_400000_NS6detail17trampoline_kernelINS0_14default_configENS1_21merge_config_selectorINS0_5tupleIJffEEENS0_10empty_typeEEEZNS1_10merge_implIS3_NS0_12zip_iteratorINS5_IJN6thrust23THRUST_200600_302600_NS6detail15normal_iteratorINSC_10device_ptrIKfEEEESI_EEEEESK_NSA_INS5_IJNSC_16discard_iteratorINSC_11use_defaultEEESN_EEEEEPS7_SQ_SQ_NSC_11hip_rocprim7__merge17predicate_wrapperIffNSC_4lessIfEEEEEE10hipError_tPvRmT0_T1_T2_T3_T4_T5_mmT6_P12ihipStream_tbEUlT_E_NS1_11comp_targetILNS1_3genE3ELNS1_11target_archE908ELNS1_3gpuE7ELNS1_3repE0EEENS1_30default_config_static_selectorELNS0_4arch9wavefront6targetE0EEEvS11_.has_recursion, 0
	.set _ZN7rocprim17ROCPRIM_400000_NS6detail17trampoline_kernelINS0_14default_configENS1_21merge_config_selectorINS0_5tupleIJffEEENS0_10empty_typeEEEZNS1_10merge_implIS3_NS0_12zip_iteratorINS5_IJN6thrust23THRUST_200600_302600_NS6detail15normal_iteratorINSC_10device_ptrIKfEEEESI_EEEEESK_NSA_INS5_IJNSC_16discard_iteratorINSC_11use_defaultEEESN_EEEEEPS7_SQ_SQ_NSC_11hip_rocprim7__merge17predicate_wrapperIffNSC_4lessIfEEEEEE10hipError_tPvRmT0_T1_T2_T3_T4_T5_mmT6_P12ihipStream_tbEUlT_E_NS1_11comp_targetILNS1_3genE3ELNS1_11target_archE908ELNS1_3gpuE7ELNS1_3repE0EEENS1_30default_config_static_selectorELNS0_4arch9wavefront6targetE0EEEvS11_.has_indirect_call, 0
	.section	.AMDGPU.csdata,"",@progbits
; Kernel info:
; codeLenInByte = 0
; TotalNumSgprs: 0
; NumVgprs: 0
; ScratchSize: 0
; MemoryBound: 0
; FloatMode: 240
; IeeeMode: 1
; LDSByteSize: 0 bytes/workgroup (compile time only)
; SGPRBlocks: 0
; VGPRBlocks: 0
; NumSGPRsForWavesPerEU: 1
; NumVGPRsForWavesPerEU: 1
; NamedBarCnt: 0
; Occupancy: 16
; WaveLimiterHint : 0
; COMPUTE_PGM_RSRC2:SCRATCH_EN: 0
; COMPUTE_PGM_RSRC2:USER_SGPR: 2
; COMPUTE_PGM_RSRC2:TRAP_HANDLER: 0
; COMPUTE_PGM_RSRC2:TGID_X_EN: 1
; COMPUTE_PGM_RSRC2:TGID_Y_EN: 0
; COMPUTE_PGM_RSRC2:TGID_Z_EN: 0
; COMPUTE_PGM_RSRC2:TIDIG_COMP_CNT: 0
	.section	.text._ZN7rocprim17ROCPRIM_400000_NS6detail17trampoline_kernelINS0_14default_configENS1_21merge_config_selectorINS0_5tupleIJffEEENS0_10empty_typeEEEZNS1_10merge_implIS3_NS0_12zip_iteratorINS5_IJN6thrust23THRUST_200600_302600_NS6detail15normal_iteratorINSC_10device_ptrIKfEEEESI_EEEEESK_NSA_INS5_IJNSC_16discard_iteratorINSC_11use_defaultEEESN_EEEEEPS7_SQ_SQ_NSC_11hip_rocprim7__merge17predicate_wrapperIffNSC_4lessIfEEEEEE10hipError_tPvRmT0_T1_T2_T3_T4_T5_mmT6_P12ihipStream_tbEUlT_E_NS1_11comp_targetILNS1_3genE2ELNS1_11target_archE906ELNS1_3gpuE6ELNS1_3repE0EEENS1_30default_config_static_selectorELNS0_4arch9wavefront6targetE0EEEvS11_,"axG",@progbits,_ZN7rocprim17ROCPRIM_400000_NS6detail17trampoline_kernelINS0_14default_configENS1_21merge_config_selectorINS0_5tupleIJffEEENS0_10empty_typeEEEZNS1_10merge_implIS3_NS0_12zip_iteratorINS5_IJN6thrust23THRUST_200600_302600_NS6detail15normal_iteratorINSC_10device_ptrIKfEEEESI_EEEEESK_NSA_INS5_IJNSC_16discard_iteratorINSC_11use_defaultEEESN_EEEEEPS7_SQ_SQ_NSC_11hip_rocprim7__merge17predicate_wrapperIffNSC_4lessIfEEEEEE10hipError_tPvRmT0_T1_T2_T3_T4_T5_mmT6_P12ihipStream_tbEUlT_E_NS1_11comp_targetILNS1_3genE2ELNS1_11target_archE906ELNS1_3gpuE6ELNS1_3repE0EEENS1_30default_config_static_selectorELNS0_4arch9wavefront6targetE0EEEvS11_,comdat
	.protected	_ZN7rocprim17ROCPRIM_400000_NS6detail17trampoline_kernelINS0_14default_configENS1_21merge_config_selectorINS0_5tupleIJffEEENS0_10empty_typeEEEZNS1_10merge_implIS3_NS0_12zip_iteratorINS5_IJN6thrust23THRUST_200600_302600_NS6detail15normal_iteratorINSC_10device_ptrIKfEEEESI_EEEEESK_NSA_INS5_IJNSC_16discard_iteratorINSC_11use_defaultEEESN_EEEEEPS7_SQ_SQ_NSC_11hip_rocprim7__merge17predicate_wrapperIffNSC_4lessIfEEEEEE10hipError_tPvRmT0_T1_T2_T3_T4_T5_mmT6_P12ihipStream_tbEUlT_E_NS1_11comp_targetILNS1_3genE2ELNS1_11target_archE906ELNS1_3gpuE6ELNS1_3repE0EEENS1_30default_config_static_selectorELNS0_4arch9wavefront6targetE0EEEvS11_ ; -- Begin function _ZN7rocprim17ROCPRIM_400000_NS6detail17trampoline_kernelINS0_14default_configENS1_21merge_config_selectorINS0_5tupleIJffEEENS0_10empty_typeEEEZNS1_10merge_implIS3_NS0_12zip_iteratorINS5_IJN6thrust23THRUST_200600_302600_NS6detail15normal_iteratorINSC_10device_ptrIKfEEEESI_EEEEESK_NSA_INS5_IJNSC_16discard_iteratorINSC_11use_defaultEEESN_EEEEEPS7_SQ_SQ_NSC_11hip_rocprim7__merge17predicate_wrapperIffNSC_4lessIfEEEEEE10hipError_tPvRmT0_T1_T2_T3_T4_T5_mmT6_P12ihipStream_tbEUlT_E_NS1_11comp_targetILNS1_3genE2ELNS1_11target_archE906ELNS1_3gpuE6ELNS1_3repE0EEENS1_30default_config_static_selectorELNS0_4arch9wavefront6targetE0EEEvS11_
	.globl	_ZN7rocprim17ROCPRIM_400000_NS6detail17trampoline_kernelINS0_14default_configENS1_21merge_config_selectorINS0_5tupleIJffEEENS0_10empty_typeEEEZNS1_10merge_implIS3_NS0_12zip_iteratorINS5_IJN6thrust23THRUST_200600_302600_NS6detail15normal_iteratorINSC_10device_ptrIKfEEEESI_EEEEESK_NSA_INS5_IJNSC_16discard_iteratorINSC_11use_defaultEEESN_EEEEEPS7_SQ_SQ_NSC_11hip_rocprim7__merge17predicate_wrapperIffNSC_4lessIfEEEEEE10hipError_tPvRmT0_T1_T2_T3_T4_T5_mmT6_P12ihipStream_tbEUlT_E_NS1_11comp_targetILNS1_3genE2ELNS1_11target_archE906ELNS1_3gpuE6ELNS1_3repE0EEENS1_30default_config_static_selectorELNS0_4arch9wavefront6targetE0EEEvS11_
	.p2align	8
	.type	_ZN7rocprim17ROCPRIM_400000_NS6detail17trampoline_kernelINS0_14default_configENS1_21merge_config_selectorINS0_5tupleIJffEEENS0_10empty_typeEEEZNS1_10merge_implIS3_NS0_12zip_iteratorINS5_IJN6thrust23THRUST_200600_302600_NS6detail15normal_iteratorINSC_10device_ptrIKfEEEESI_EEEEESK_NSA_INS5_IJNSC_16discard_iteratorINSC_11use_defaultEEESN_EEEEEPS7_SQ_SQ_NSC_11hip_rocprim7__merge17predicate_wrapperIffNSC_4lessIfEEEEEE10hipError_tPvRmT0_T1_T2_T3_T4_T5_mmT6_P12ihipStream_tbEUlT_E_NS1_11comp_targetILNS1_3genE2ELNS1_11target_archE906ELNS1_3gpuE6ELNS1_3repE0EEENS1_30default_config_static_selectorELNS0_4arch9wavefront6targetE0EEEvS11_,@function
_ZN7rocprim17ROCPRIM_400000_NS6detail17trampoline_kernelINS0_14default_configENS1_21merge_config_selectorINS0_5tupleIJffEEENS0_10empty_typeEEEZNS1_10merge_implIS3_NS0_12zip_iteratorINS5_IJN6thrust23THRUST_200600_302600_NS6detail15normal_iteratorINSC_10device_ptrIKfEEEESI_EEEEESK_NSA_INS5_IJNSC_16discard_iteratorINSC_11use_defaultEEESN_EEEEEPS7_SQ_SQ_NSC_11hip_rocprim7__merge17predicate_wrapperIffNSC_4lessIfEEEEEE10hipError_tPvRmT0_T1_T2_T3_T4_T5_mmT6_P12ihipStream_tbEUlT_E_NS1_11comp_targetILNS1_3genE2ELNS1_11target_archE906ELNS1_3gpuE6ELNS1_3repE0EEENS1_30default_config_static_selectorELNS0_4arch9wavefront6targetE0EEEvS11_: ; @_ZN7rocprim17ROCPRIM_400000_NS6detail17trampoline_kernelINS0_14default_configENS1_21merge_config_selectorINS0_5tupleIJffEEENS0_10empty_typeEEEZNS1_10merge_implIS3_NS0_12zip_iteratorINS5_IJN6thrust23THRUST_200600_302600_NS6detail15normal_iteratorINSC_10device_ptrIKfEEEESI_EEEEESK_NSA_INS5_IJNSC_16discard_iteratorINSC_11use_defaultEEESN_EEEEEPS7_SQ_SQ_NSC_11hip_rocprim7__merge17predicate_wrapperIffNSC_4lessIfEEEEEE10hipError_tPvRmT0_T1_T2_T3_T4_T5_mmT6_P12ihipStream_tbEUlT_E_NS1_11comp_targetILNS1_3genE2ELNS1_11target_archE906ELNS1_3gpuE6ELNS1_3repE0EEENS1_30default_config_static_selectorELNS0_4arch9wavefront6targetE0EEEvS11_
; %bb.0:
	.section	.rodata,"a",@progbits
	.p2align	6, 0x0
	.amdhsa_kernel _ZN7rocprim17ROCPRIM_400000_NS6detail17trampoline_kernelINS0_14default_configENS1_21merge_config_selectorINS0_5tupleIJffEEENS0_10empty_typeEEEZNS1_10merge_implIS3_NS0_12zip_iteratorINS5_IJN6thrust23THRUST_200600_302600_NS6detail15normal_iteratorINSC_10device_ptrIKfEEEESI_EEEEESK_NSA_INS5_IJNSC_16discard_iteratorINSC_11use_defaultEEESN_EEEEEPS7_SQ_SQ_NSC_11hip_rocprim7__merge17predicate_wrapperIffNSC_4lessIfEEEEEE10hipError_tPvRmT0_T1_T2_T3_T4_T5_mmT6_P12ihipStream_tbEUlT_E_NS1_11comp_targetILNS1_3genE2ELNS1_11target_archE906ELNS1_3gpuE6ELNS1_3repE0EEENS1_30default_config_static_selectorELNS0_4arch9wavefront6targetE0EEEvS11_
		.amdhsa_group_segment_fixed_size 0
		.amdhsa_private_segment_fixed_size 0
		.amdhsa_kernarg_size 64
		.amdhsa_user_sgpr_count 2
		.amdhsa_user_sgpr_dispatch_ptr 0
		.amdhsa_user_sgpr_queue_ptr 0
		.amdhsa_user_sgpr_kernarg_segment_ptr 1
		.amdhsa_user_sgpr_dispatch_id 0
		.amdhsa_user_sgpr_kernarg_preload_length 0
		.amdhsa_user_sgpr_kernarg_preload_offset 0
		.amdhsa_user_sgpr_private_segment_size 0
		.amdhsa_wavefront_size32 1
		.amdhsa_uses_dynamic_stack 0
		.amdhsa_enable_private_segment 0
		.amdhsa_system_sgpr_workgroup_id_x 1
		.amdhsa_system_sgpr_workgroup_id_y 0
		.amdhsa_system_sgpr_workgroup_id_z 0
		.amdhsa_system_sgpr_workgroup_info 0
		.amdhsa_system_vgpr_workitem_id 0
		.amdhsa_next_free_vgpr 1
		.amdhsa_next_free_sgpr 1
		.amdhsa_named_barrier_count 0
		.amdhsa_reserve_vcc 0
		.amdhsa_float_round_mode_32 0
		.amdhsa_float_round_mode_16_64 0
		.amdhsa_float_denorm_mode_32 3
		.amdhsa_float_denorm_mode_16_64 3
		.amdhsa_fp16_overflow 0
		.amdhsa_memory_ordered 1
		.amdhsa_forward_progress 1
		.amdhsa_inst_pref_size 0
		.amdhsa_round_robin_scheduling 0
		.amdhsa_exception_fp_ieee_invalid_op 0
		.amdhsa_exception_fp_denorm_src 0
		.amdhsa_exception_fp_ieee_div_zero 0
		.amdhsa_exception_fp_ieee_overflow 0
		.amdhsa_exception_fp_ieee_underflow 0
		.amdhsa_exception_fp_ieee_inexact 0
		.amdhsa_exception_int_div_zero 0
	.end_amdhsa_kernel
	.section	.text._ZN7rocprim17ROCPRIM_400000_NS6detail17trampoline_kernelINS0_14default_configENS1_21merge_config_selectorINS0_5tupleIJffEEENS0_10empty_typeEEEZNS1_10merge_implIS3_NS0_12zip_iteratorINS5_IJN6thrust23THRUST_200600_302600_NS6detail15normal_iteratorINSC_10device_ptrIKfEEEESI_EEEEESK_NSA_INS5_IJNSC_16discard_iteratorINSC_11use_defaultEEESN_EEEEEPS7_SQ_SQ_NSC_11hip_rocprim7__merge17predicate_wrapperIffNSC_4lessIfEEEEEE10hipError_tPvRmT0_T1_T2_T3_T4_T5_mmT6_P12ihipStream_tbEUlT_E_NS1_11comp_targetILNS1_3genE2ELNS1_11target_archE906ELNS1_3gpuE6ELNS1_3repE0EEENS1_30default_config_static_selectorELNS0_4arch9wavefront6targetE0EEEvS11_,"axG",@progbits,_ZN7rocprim17ROCPRIM_400000_NS6detail17trampoline_kernelINS0_14default_configENS1_21merge_config_selectorINS0_5tupleIJffEEENS0_10empty_typeEEEZNS1_10merge_implIS3_NS0_12zip_iteratorINS5_IJN6thrust23THRUST_200600_302600_NS6detail15normal_iteratorINSC_10device_ptrIKfEEEESI_EEEEESK_NSA_INS5_IJNSC_16discard_iteratorINSC_11use_defaultEEESN_EEEEEPS7_SQ_SQ_NSC_11hip_rocprim7__merge17predicate_wrapperIffNSC_4lessIfEEEEEE10hipError_tPvRmT0_T1_T2_T3_T4_T5_mmT6_P12ihipStream_tbEUlT_E_NS1_11comp_targetILNS1_3genE2ELNS1_11target_archE906ELNS1_3gpuE6ELNS1_3repE0EEENS1_30default_config_static_selectorELNS0_4arch9wavefront6targetE0EEEvS11_,comdat
.Lfunc_end501:
	.size	_ZN7rocprim17ROCPRIM_400000_NS6detail17trampoline_kernelINS0_14default_configENS1_21merge_config_selectorINS0_5tupleIJffEEENS0_10empty_typeEEEZNS1_10merge_implIS3_NS0_12zip_iteratorINS5_IJN6thrust23THRUST_200600_302600_NS6detail15normal_iteratorINSC_10device_ptrIKfEEEESI_EEEEESK_NSA_INS5_IJNSC_16discard_iteratorINSC_11use_defaultEEESN_EEEEEPS7_SQ_SQ_NSC_11hip_rocprim7__merge17predicate_wrapperIffNSC_4lessIfEEEEEE10hipError_tPvRmT0_T1_T2_T3_T4_T5_mmT6_P12ihipStream_tbEUlT_E_NS1_11comp_targetILNS1_3genE2ELNS1_11target_archE906ELNS1_3gpuE6ELNS1_3repE0EEENS1_30default_config_static_selectorELNS0_4arch9wavefront6targetE0EEEvS11_, .Lfunc_end501-_ZN7rocprim17ROCPRIM_400000_NS6detail17trampoline_kernelINS0_14default_configENS1_21merge_config_selectorINS0_5tupleIJffEEENS0_10empty_typeEEEZNS1_10merge_implIS3_NS0_12zip_iteratorINS5_IJN6thrust23THRUST_200600_302600_NS6detail15normal_iteratorINSC_10device_ptrIKfEEEESI_EEEEESK_NSA_INS5_IJNSC_16discard_iteratorINSC_11use_defaultEEESN_EEEEEPS7_SQ_SQ_NSC_11hip_rocprim7__merge17predicate_wrapperIffNSC_4lessIfEEEEEE10hipError_tPvRmT0_T1_T2_T3_T4_T5_mmT6_P12ihipStream_tbEUlT_E_NS1_11comp_targetILNS1_3genE2ELNS1_11target_archE906ELNS1_3gpuE6ELNS1_3repE0EEENS1_30default_config_static_selectorELNS0_4arch9wavefront6targetE0EEEvS11_
                                        ; -- End function
	.set _ZN7rocprim17ROCPRIM_400000_NS6detail17trampoline_kernelINS0_14default_configENS1_21merge_config_selectorINS0_5tupleIJffEEENS0_10empty_typeEEEZNS1_10merge_implIS3_NS0_12zip_iteratorINS5_IJN6thrust23THRUST_200600_302600_NS6detail15normal_iteratorINSC_10device_ptrIKfEEEESI_EEEEESK_NSA_INS5_IJNSC_16discard_iteratorINSC_11use_defaultEEESN_EEEEEPS7_SQ_SQ_NSC_11hip_rocprim7__merge17predicate_wrapperIffNSC_4lessIfEEEEEE10hipError_tPvRmT0_T1_T2_T3_T4_T5_mmT6_P12ihipStream_tbEUlT_E_NS1_11comp_targetILNS1_3genE2ELNS1_11target_archE906ELNS1_3gpuE6ELNS1_3repE0EEENS1_30default_config_static_selectorELNS0_4arch9wavefront6targetE0EEEvS11_.num_vgpr, 0
	.set _ZN7rocprim17ROCPRIM_400000_NS6detail17trampoline_kernelINS0_14default_configENS1_21merge_config_selectorINS0_5tupleIJffEEENS0_10empty_typeEEEZNS1_10merge_implIS3_NS0_12zip_iteratorINS5_IJN6thrust23THRUST_200600_302600_NS6detail15normal_iteratorINSC_10device_ptrIKfEEEESI_EEEEESK_NSA_INS5_IJNSC_16discard_iteratorINSC_11use_defaultEEESN_EEEEEPS7_SQ_SQ_NSC_11hip_rocprim7__merge17predicate_wrapperIffNSC_4lessIfEEEEEE10hipError_tPvRmT0_T1_T2_T3_T4_T5_mmT6_P12ihipStream_tbEUlT_E_NS1_11comp_targetILNS1_3genE2ELNS1_11target_archE906ELNS1_3gpuE6ELNS1_3repE0EEENS1_30default_config_static_selectorELNS0_4arch9wavefront6targetE0EEEvS11_.num_agpr, 0
	.set _ZN7rocprim17ROCPRIM_400000_NS6detail17trampoline_kernelINS0_14default_configENS1_21merge_config_selectorINS0_5tupleIJffEEENS0_10empty_typeEEEZNS1_10merge_implIS3_NS0_12zip_iteratorINS5_IJN6thrust23THRUST_200600_302600_NS6detail15normal_iteratorINSC_10device_ptrIKfEEEESI_EEEEESK_NSA_INS5_IJNSC_16discard_iteratorINSC_11use_defaultEEESN_EEEEEPS7_SQ_SQ_NSC_11hip_rocprim7__merge17predicate_wrapperIffNSC_4lessIfEEEEEE10hipError_tPvRmT0_T1_T2_T3_T4_T5_mmT6_P12ihipStream_tbEUlT_E_NS1_11comp_targetILNS1_3genE2ELNS1_11target_archE906ELNS1_3gpuE6ELNS1_3repE0EEENS1_30default_config_static_selectorELNS0_4arch9wavefront6targetE0EEEvS11_.numbered_sgpr, 0
	.set _ZN7rocprim17ROCPRIM_400000_NS6detail17trampoline_kernelINS0_14default_configENS1_21merge_config_selectorINS0_5tupleIJffEEENS0_10empty_typeEEEZNS1_10merge_implIS3_NS0_12zip_iteratorINS5_IJN6thrust23THRUST_200600_302600_NS6detail15normal_iteratorINSC_10device_ptrIKfEEEESI_EEEEESK_NSA_INS5_IJNSC_16discard_iteratorINSC_11use_defaultEEESN_EEEEEPS7_SQ_SQ_NSC_11hip_rocprim7__merge17predicate_wrapperIffNSC_4lessIfEEEEEE10hipError_tPvRmT0_T1_T2_T3_T4_T5_mmT6_P12ihipStream_tbEUlT_E_NS1_11comp_targetILNS1_3genE2ELNS1_11target_archE906ELNS1_3gpuE6ELNS1_3repE0EEENS1_30default_config_static_selectorELNS0_4arch9wavefront6targetE0EEEvS11_.num_named_barrier, 0
	.set _ZN7rocprim17ROCPRIM_400000_NS6detail17trampoline_kernelINS0_14default_configENS1_21merge_config_selectorINS0_5tupleIJffEEENS0_10empty_typeEEEZNS1_10merge_implIS3_NS0_12zip_iteratorINS5_IJN6thrust23THRUST_200600_302600_NS6detail15normal_iteratorINSC_10device_ptrIKfEEEESI_EEEEESK_NSA_INS5_IJNSC_16discard_iteratorINSC_11use_defaultEEESN_EEEEEPS7_SQ_SQ_NSC_11hip_rocprim7__merge17predicate_wrapperIffNSC_4lessIfEEEEEE10hipError_tPvRmT0_T1_T2_T3_T4_T5_mmT6_P12ihipStream_tbEUlT_E_NS1_11comp_targetILNS1_3genE2ELNS1_11target_archE906ELNS1_3gpuE6ELNS1_3repE0EEENS1_30default_config_static_selectorELNS0_4arch9wavefront6targetE0EEEvS11_.private_seg_size, 0
	.set _ZN7rocprim17ROCPRIM_400000_NS6detail17trampoline_kernelINS0_14default_configENS1_21merge_config_selectorINS0_5tupleIJffEEENS0_10empty_typeEEEZNS1_10merge_implIS3_NS0_12zip_iteratorINS5_IJN6thrust23THRUST_200600_302600_NS6detail15normal_iteratorINSC_10device_ptrIKfEEEESI_EEEEESK_NSA_INS5_IJNSC_16discard_iteratorINSC_11use_defaultEEESN_EEEEEPS7_SQ_SQ_NSC_11hip_rocprim7__merge17predicate_wrapperIffNSC_4lessIfEEEEEE10hipError_tPvRmT0_T1_T2_T3_T4_T5_mmT6_P12ihipStream_tbEUlT_E_NS1_11comp_targetILNS1_3genE2ELNS1_11target_archE906ELNS1_3gpuE6ELNS1_3repE0EEENS1_30default_config_static_selectorELNS0_4arch9wavefront6targetE0EEEvS11_.uses_vcc, 0
	.set _ZN7rocprim17ROCPRIM_400000_NS6detail17trampoline_kernelINS0_14default_configENS1_21merge_config_selectorINS0_5tupleIJffEEENS0_10empty_typeEEEZNS1_10merge_implIS3_NS0_12zip_iteratorINS5_IJN6thrust23THRUST_200600_302600_NS6detail15normal_iteratorINSC_10device_ptrIKfEEEESI_EEEEESK_NSA_INS5_IJNSC_16discard_iteratorINSC_11use_defaultEEESN_EEEEEPS7_SQ_SQ_NSC_11hip_rocprim7__merge17predicate_wrapperIffNSC_4lessIfEEEEEE10hipError_tPvRmT0_T1_T2_T3_T4_T5_mmT6_P12ihipStream_tbEUlT_E_NS1_11comp_targetILNS1_3genE2ELNS1_11target_archE906ELNS1_3gpuE6ELNS1_3repE0EEENS1_30default_config_static_selectorELNS0_4arch9wavefront6targetE0EEEvS11_.uses_flat_scratch, 0
	.set _ZN7rocprim17ROCPRIM_400000_NS6detail17trampoline_kernelINS0_14default_configENS1_21merge_config_selectorINS0_5tupleIJffEEENS0_10empty_typeEEEZNS1_10merge_implIS3_NS0_12zip_iteratorINS5_IJN6thrust23THRUST_200600_302600_NS6detail15normal_iteratorINSC_10device_ptrIKfEEEESI_EEEEESK_NSA_INS5_IJNSC_16discard_iteratorINSC_11use_defaultEEESN_EEEEEPS7_SQ_SQ_NSC_11hip_rocprim7__merge17predicate_wrapperIffNSC_4lessIfEEEEEE10hipError_tPvRmT0_T1_T2_T3_T4_T5_mmT6_P12ihipStream_tbEUlT_E_NS1_11comp_targetILNS1_3genE2ELNS1_11target_archE906ELNS1_3gpuE6ELNS1_3repE0EEENS1_30default_config_static_selectorELNS0_4arch9wavefront6targetE0EEEvS11_.has_dyn_sized_stack, 0
	.set _ZN7rocprim17ROCPRIM_400000_NS6detail17trampoline_kernelINS0_14default_configENS1_21merge_config_selectorINS0_5tupleIJffEEENS0_10empty_typeEEEZNS1_10merge_implIS3_NS0_12zip_iteratorINS5_IJN6thrust23THRUST_200600_302600_NS6detail15normal_iteratorINSC_10device_ptrIKfEEEESI_EEEEESK_NSA_INS5_IJNSC_16discard_iteratorINSC_11use_defaultEEESN_EEEEEPS7_SQ_SQ_NSC_11hip_rocprim7__merge17predicate_wrapperIffNSC_4lessIfEEEEEE10hipError_tPvRmT0_T1_T2_T3_T4_T5_mmT6_P12ihipStream_tbEUlT_E_NS1_11comp_targetILNS1_3genE2ELNS1_11target_archE906ELNS1_3gpuE6ELNS1_3repE0EEENS1_30default_config_static_selectorELNS0_4arch9wavefront6targetE0EEEvS11_.has_recursion, 0
	.set _ZN7rocprim17ROCPRIM_400000_NS6detail17trampoline_kernelINS0_14default_configENS1_21merge_config_selectorINS0_5tupleIJffEEENS0_10empty_typeEEEZNS1_10merge_implIS3_NS0_12zip_iteratorINS5_IJN6thrust23THRUST_200600_302600_NS6detail15normal_iteratorINSC_10device_ptrIKfEEEESI_EEEEESK_NSA_INS5_IJNSC_16discard_iteratorINSC_11use_defaultEEESN_EEEEEPS7_SQ_SQ_NSC_11hip_rocprim7__merge17predicate_wrapperIffNSC_4lessIfEEEEEE10hipError_tPvRmT0_T1_T2_T3_T4_T5_mmT6_P12ihipStream_tbEUlT_E_NS1_11comp_targetILNS1_3genE2ELNS1_11target_archE906ELNS1_3gpuE6ELNS1_3repE0EEENS1_30default_config_static_selectorELNS0_4arch9wavefront6targetE0EEEvS11_.has_indirect_call, 0
	.section	.AMDGPU.csdata,"",@progbits
; Kernel info:
; codeLenInByte = 0
; TotalNumSgprs: 0
; NumVgprs: 0
; ScratchSize: 0
; MemoryBound: 0
; FloatMode: 240
; IeeeMode: 1
; LDSByteSize: 0 bytes/workgroup (compile time only)
; SGPRBlocks: 0
; VGPRBlocks: 0
; NumSGPRsForWavesPerEU: 1
; NumVGPRsForWavesPerEU: 1
; NamedBarCnt: 0
; Occupancy: 16
; WaveLimiterHint : 0
; COMPUTE_PGM_RSRC2:SCRATCH_EN: 0
; COMPUTE_PGM_RSRC2:USER_SGPR: 2
; COMPUTE_PGM_RSRC2:TRAP_HANDLER: 0
; COMPUTE_PGM_RSRC2:TGID_X_EN: 1
; COMPUTE_PGM_RSRC2:TGID_Y_EN: 0
; COMPUTE_PGM_RSRC2:TGID_Z_EN: 0
; COMPUTE_PGM_RSRC2:TIDIG_COMP_CNT: 0
	.section	.text._ZN7rocprim17ROCPRIM_400000_NS6detail17trampoline_kernelINS0_14default_configENS1_21merge_config_selectorINS0_5tupleIJffEEENS0_10empty_typeEEEZNS1_10merge_implIS3_NS0_12zip_iteratorINS5_IJN6thrust23THRUST_200600_302600_NS6detail15normal_iteratorINSC_10device_ptrIKfEEEESI_EEEEESK_NSA_INS5_IJNSC_16discard_iteratorINSC_11use_defaultEEESN_EEEEEPS7_SQ_SQ_NSC_11hip_rocprim7__merge17predicate_wrapperIffNSC_4lessIfEEEEEE10hipError_tPvRmT0_T1_T2_T3_T4_T5_mmT6_P12ihipStream_tbEUlT_E_NS1_11comp_targetILNS1_3genE10ELNS1_11target_archE1201ELNS1_3gpuE5ELNS1_3repE0EEENS1_30default_config_static_selectorELNS0_4arch9wavefront6targetE0EEEvS11_,"axG",@progbits,_ZN7rocprim17ROCPRIM_400000_NS6detail17trampoline_kernelINS0_14default_configENS1_21merge_config_selectorINS0_5tupleIJffEEENS0_10empty_typeEEEZNS1_10merge_implIS3_NS0_12zip_iteratorINS5_IJN6thrust23THRUST_200600_302600_NS6detail15normal_iteratorINSC_10device_ptrIKfEEEESI_EEEEESK_NSA_INS5_IJNSC_16discard_iteratorINSC_11use_defaultEEESN_EEEEEPS7_SQ_SQ_NSC_11hip_rocprim7__merge17predicate_wrapperIffNSC_4lessIfEEEEEE10hipError_tPvRmT0_T1_T2_T3_T4_T5_mmT6_P12ihipStream_tbEUlT_E_NS1_11comp_targetILNS1_3genE10ELNS1_11target_archE1201ELNS1_3gpuE5ELNS1_3repE0EEENS1_30default_config_static_selectorELNS0_4arch9wavefront6targetE0EEEvS11_,comdat
	.protected	_ZN7rocprim17ROCPRIM_400000_NS6detail17trampoline_kernelINS0_14default_configENS1_21merge_config_selectorINS0_5tupleIJffEEENS0_10empty_typeEEEZNS1_10merge_implIS3_NS0_12zip_iteratorINS5_IJN6thrust23THRUST_200600_302600_NS6detail15normal_iteratorINSC_10device_ptrIKfEEEESI_EEEEESK_NSA_INS5_IJNSC_16discard_iteratorINSC_11use_defaultEEESN_EEEEEPS7_SQ_SQ_NSC_11hip_rocprim7__merge17predicate_wrapperIffNSC_4lessIfEEEEEE10hipError_tPvRmT0_T1_T2_T3_T4_T5_mmT6_P12ihipStream_tbEUlT_E_NS1_11comp_targetILNS1_3genE10ELNS1_11target_archE1201ELNS1_3gpuE5ELNS1_3repE0EEENS1_30default_config_static_selectorELNS0_4arch9wavefront6targetE0EEEvS11_ ; -- Begin function _ZN7rocprim17ROCPRIM_400000_NS6detail17trampoline_kernelINS0_14default_configENS1_21merge_config_selectorINS0_5tupleIJffEEENS0_10empty_typeEEEZNS1_10merge_implIS3_NS0_12zip_iteratorINS5_IJN6thrust23THRUST_200600_302600_NS6detail15normal_iteratorINSC_10device_ptrIKfEEEESI_EEEEESK_NSA_INS5_IJNSC_16discard_iteratorINSC_11use_defaultEEESN_EEEEEPS7_SQ_SQ_NSC_11hip_rocprim7__merge17predicate_wrapperIffNSC_4lessIfEEEEEE10hipError_tPvRmT0_T1_T2_T3_T4_T5_mmT6_P12ihipStream_tbEUlT_E_NS1_11comp_targetILNS1_3genE10ELNS1_11target_archE1201ELNS1_3gpuE5ELNS1_3repE0EEENS1_30default_config_static_selectorELNS0_4arch9wavefront6targetE0EEEvS11_
	.globl	_ZN7rocprim17ROCPRIM_400000_NS6detail17trampoline_kernelINS0_14default_configENS1_21merge_config_selectorINS0_5tupleIJffEEENS0_10empty_typeEEEZNS1_10merge_implIS3_NS0_12zip_iteratorINS5_IJN6thrust23THRUST_200600_302600_NS6detail15normal_iteratorINSC_10device_ptrIKfEEEESI_EEEEESK_NSA_INS5_IJNSC_16discard_iteratorINSC_11use_defaultEEESN_EEEEEPS7_SQ_SQ_NSC_11hip_rocprim7__merge17predicate_wrapperIffNSC_4lessIfEEEEEE10hipError_tPvRmT0_T1_T2_T3_T4_T5_mmT6_P12ihipStream_tbEUlT_E_NS1_11comp_targetILNS1_3genE10ELNS1_11target_archE1201ELNS1_3gpuE5ELNS1_3repE0EEENS1_30default_config_static_selectorELNS0_4arch9wavefront6targetE0EEEvS11_
	.p2align	8
	.type	_ZN7rocprim17ROCPRIM_400000_NS6detail17trampoline_kernelINS0_14default_configENS1_21merge_config_selectorINS0_5tupleIJffEEENS0_10empty_typeEEEZNS1_10merge_implIS3_NS0_12zip_iteratorINS5_IJN6thrust23THRUST_200600_302600_NS6detail15normal_iteratorINSC_10device_ptrIKfEEEESI_EEEEESK_NSA_INS5_IJNSC_16discard_iteratorINSC_11use_defaultEEESN_EEEEEPS7_SQ_SQ_NSC_11hip_rocprim7__merge17predicate_wrapperIffNSC_4lessIfEEEEEE10hipError_tPvRmT0_T1_T2_T3_T4_T5_mmT6_P12ihipStream_tbEUlT_E_NS1_11comp_targetILNS1_3genE10ELNS1_11target_archE1201ELNS1_3gpuE5ELNS1_3repE0EEENS1_30default_config_static_selectorELNS0_4arch9wavefront6targetE0EEEvS11_,@function
_ZN7rocprim17ROCPRIM_400000_NS6detail17trampoline_kernelINS0_14default_configENS1_21merge_config_selectorINS0_5tupleIJffEEENS0_10empty_typeEEEZNS1_10merge_implIS3_NS0_12zip_iteratorINS5_IJN6thrust23THRUST_200600_302600_NS6detail15normal_iteratorINSC_10device_ptrIKfEEEESI_EEEEESK_NSA_INS5_IJNSC_16discard_iteratorINSC_11use_defaultEEESN_EEEEEPS7_SQ_SQ_NSC_11hip_rocprim7__merge17predicate_wrapperIffNSC_4lessIfEEEEEE10hipError_tPvRmT0_T1_T2_T3_T4_T5_mmT6_P12ihipStream_tbEUlT_E_NS1_11comp_targetILNS1_3genE10ELNS1_11target_archE1201ELNS1_3gpuE5ELNS1_3repE0EEENS1_30default_config_static_selectorELNS0_4arch9wavefront6targetE0EEEvS11_: ; @_ZN7rocprim17ROCPRIM_400000_NS6detail17trampoline_kernelINS0_14default_configENS1_21merge_config_selectorINS0_5tupleIJffEEENS0_10empty_typeEEEZNS1_10merge_implIS3_NS0_12zip_iteratorINS5_IJN6thrust23THRUST_200600_302600_NS6detail15normal_iteratorINSC_10device_ptrIKfEEEESI_EEEEESK_NSA_INS5_IJNSC_16discard_iteratorINSC_11use_defaultEEESN_EEEEEPS7_SQ_SQ_NSC_11hip_rocprim7__merge17predicate_wrapperIffNSC_4lessIfEEEEEE10hipError_tPvRmT0_T1_T2_T3_T4_T5_mmT6_P12ihipStream_tbEUlT_E_NS1_11comp_targetILNS1_3genE10ELNS1_11target_archE1201ELNS1_3gpuE5ELNS1_3repE0EEENS1_30default_config_static_selectorELNS0_4arch9wavefront6targetE0EEEvS11_
; %bb.0:
	.section	.rodata,"a",@progbits
	.p2align	6, 0x0
	.amdhsa_kernel _ZN7rocprim17ROCPRIM_400000_NS6detail17trampoline_kernelINS0_14default_configENS1_21merge_config_selectorINS0_5tupleIJffEEENS0_10empty_typeEEEZNS1_10merge_implIS3_NS0_12zip_iteratorINS5_IJN6thrust23THRUST_200600_302600_NS6detail15normal_iteratorINSC_10device_ptrIKfEEEESI_EEEEESK_NSA_INS5_IJNSC_16discard_iteratorINSC_11use_defaultEEESN_EEEEEPS7_SQ_SQ_NSC_11hip_rocprim7__merge17predicate_wrapperIffNSC_4lessIfEEEEEE10hipError_tPvRmT0_T1_T2_T3_T4_T5_mmT6_P12ihipStream_tbEUlT_E_NS1_11comp_targetILNS1_3genE10ELNS1_11target_archE1201ELNS1_3gpuE5ELNS1_3repE0EEENS1_30default_config_static_selectorELNS0_4arch9wavefront6targetE0EEEvS11_
		.amdhsa_group_segment_fixed_size 0
		.amdhsa_private_segment_fixed_size 0
		.amdhsa_kernarg_size 64
		.amdhsa_user_sgpr_count 2
		.amdhsa_user_sgpr_dispatch_ptr 0
		.amdhsa_user_sgpr_queue_ptr 0
		.amdhsa_user_sgpr_kernarg_segment_ptr 1
		.amdhsa_user_sgpr_dispatch_id 0
		.amdhsa_user_sgpr_kernarg_preload_length 0
		.amdhsa_user_sgpr_kernarg_preload_offset 0
		.amdhsa_user_sgpr_private_segment_size 0
		.amdhsa_wavefront_size32 1
		.amdhsa_uses_dynamic_stack 0
		.amdhsa_enable_private_segment 0
		.amdhsa_system_sgpr_workgroup_id_x 1
		.amdhsa_system_sgpr_workgroup_id_y 0
		.amdhsa_system_sgpr_workgroup_id_z 0
		.amdhsa_system_sgpr_workgroup_info 0
		.amdhsa_system_vgpr_workitem_id 0
		.amdhsa_next_free_vgpr 1
		.amdhsa_next_free_sgpr 1
		.amdhsa_named_barrier_count 0
		.amdhsa_reserve_vcc 0
		.amdhsa_float_round_mode_32 0
		.amdhsa_float_round_mode_16_64 0
		.amdhsa_float_denorm_mode_32 3
		.amdhsa_float_denorm_mode_16_64 3
		.amdhsa_fp16_overflow 0
		.amdhsa_memory_ordered 1
		.amdhsa_forward_progress 1
		.amdhsa_inst_pref_size 0
		.amdhsa_round_robin_scheduling 0
		.amdhsa_exception_fp_ieee_invalid_op 0
		.amdhsa_exception_fp_denorm_src 0
		.amdhsa_exception_fp_ieee_div_zero 0
		.amdhsa_exception_fp_ieee_overflow 0
		.amdhsa_exception_fp_ieee_underflow 0
		.amdhsa_exception_fp_ieee_inexact 0
		.amdhsa_exception_int_div_zero 0
	.end_amdhsa_kernel
	.section	.text._ZN7rocprim17ROCPRIM_400000_NS6detail17trampoline_kernelINS0_14default_configENS1_21merge_config_selectorINS0_5tupleIJffEEENS0_10empty_typeEEEZNS1_10merge_implIS3_NS0_12zip_iteratorINS5_IJN6thrust23THRUST_200600_302600_NS6detail15normal_iteratorINSC_10device_ptrIKfEEEESI_EEEEESK_NSA_INS5_IJNSC_16discard_iteratorINSC_11use_defaultEEESN_EEEEEPS7_SQ_SQ_NSC_11hip_rocprim7__merge17predicate_wrapperIffNSC_4lessIfEEEEEE10hipError_tPvRmT0_T1_T2_T3_T4_T5_mmT6_P12ihipStream_tbEUlT_E_NS1_11comp_targetILNS1_3genE10ELNS1_11target_archE1201ELNS1_3gpuE5ELNS1_3repE0EEENS1_30default_config_static_selectorELNS0_4arch9wavefront6targetE0EEEvS11_,"axG",@progbits,_ZN7rocprim17ROCPRIM_400000_NS6detail17trampoline_kernelINS0_14default_configENS1_21merge_config_selectorINS0_5tupleIJffEEENS0_10empty_typeEEEZNS1_10merge_implIS3_NS0_12zip_iteratorINS5_IJN6thrust23THRUST_200600_302600_NS6detail15normal_iteratorINSC_10device_ptrIKfEEEESI_EEEEESK_NSA_INS5_IJNSC_16discard_iteratorINSC_11use_defaultEEESN_EEEEEPS7_SQ_SQ_NSC_11hip_rocprim7__merge17predicate_wrapperIffNSC_4lessIfEEEEEE10hipError_tPvRmT0_T1_T2_T3_T4_T5_mmT6_P12ihipStream_tbEUlT_E_NS1_11comp_targetILNS1_3genE10ELNS1_11target_archE1201ELNS1_3gpuE5ELNS1_3repE0EEENS1_30default_config_static_selectorELNS0_4arch9wavefront6targetE0EEEvS11_,comdat
.Lfunc_end502:
	.size	_ZN7rocprim17ROCPRIM_400000_NS6detail17trampoline_kernelINS0_14default_configENS1_21merge_config_selectorINS0_5tupleIJffEEENS0_10empty_typeEEEZNS1_10merge_implIS3_NS0_12zip_iteratorINS5_IJN6thrust23THRUST_200600_302600_NS6detail15normal_iteratorINSC_10device_ptrIKfEEEESI_EEEEESK_NSA_INS5_IJNSC_16discard_iteratorINSC_11use_defaultEEESN_EEEEEPS7_SQ_SQ_NSC_11hip_rocprim7__merge17predicate_wrapperIffNSC_4lessIfEEEEEE10hipError_tPvRmT0_T1_T2_T3_T4_T5_mmT6_P12ihipStream_tbEUlT_E_NS1_11comp_targetILNS1_3genE10ELNS1_11target_archE1201ELNS1_3gpuE5ELNS1_3repE0EEENS1_30default_config_static_selectorELNS0_4arch9wavefront6targetE0EEEvS11_, .Lfunc_end502-_ZN7rocprim17ROCPRIM_400000_NS6detail17trampoline_kernelINS0_14default_configENS1_21merge_config_selectorINS0_5tupleIJffEEENS0_10empty_typeEEEZNS1_10merge_implIS3_NS0_12zip_iteratorINS5_IJN6thrust23THRUST_200600_302600_NS6detail15normal_iteratorINSC_10device_ptrIKfEEEESI_EEEEESK_NSA_INS5_IJNSC_16discard_iteratorINSC_11use_defaultEEESN_EEEEEPS7_SQ_SQ_NSC_11hip_rocprim7__merge17predicate_wrapperIffNSC_4lessIfEEEEEE10hipError_tPvRmT0_T1_T2_T3_T4_T5_mmT6_P12ihipStream_tbEUlT_E_NS1_11comp_targetILNS1_3genE10ELNS1_11target_archE1201ELNS1_3gpuE5ELNS1_3repE0EEENS1_30default_config_static_selectorELNS0_4arch9wavefront6targetE0EEEvS11_
                                        ; -- End function
	.set _ZN7rocprim17ROCPRIM_400000_NS6detail17trampoline_kernelINS0_14default_configENS1_21merge_config_selectorINS0_5tupleIJffEEENS0_10empty_typeEEEZNS1_10merge_implIS3_NS0_12zip_iteratorINS5_IJN6thrust23THRUST_200600_302600_NS6detail15normal_iteratorINSC_10device_ptrIKfEEEESI_EEEEESK_NSA_INS5_IJNSC_16discard_iteratorINSC_11use_defaultEEESN_EEEEEPS7_SQ_SQ_NSC_11hip_rocprim7__merge17predicate_wrapperIffNSC_4lessIfEEEEEE10hipError_tPvRmT0_T1_T2_T3_T4_T5_mmT6_P12ihipStream_tbEUlT_E_NS1_11comp_targetILNS1_3genE10ELNS1_11target_archE1201ELNS1_3gpuE5ELNS1_3repE0EEENS1_30default_config_static_selectorELNS0_4arch9wavefront6targetE0EEEvS11_.num_vgpr, 0
	.set _ZN7rocprim17ROCPRIM_400000_NS6detail17trampoline_kernelINS0_14default_configENS1_21merge_config_selectorINS0_5tupleIJffEEENS0_10empty_typeEEEZNS1_10merge_implIS3_NS0_12zip_iteratorINS5_IJN6thrust23THRUST_200600_302600_NS6detail15normal_iteratorINSC_10device_ptrIKfEEEESI_EEEEESK_NSA_INS5_IJNSC_16discard_iteratorINSC_11use_defaultEEESN_EEEEEPS7_SQ_SQ_NSC_11hip_rocprim7__merge17predicate_wrapperIffNSC_4lessIfEEEEEE10hipError_tPvRmT0_T1_T2_T3_T4_T5_mmT6_P12ihipStream_tbEUlT_E_NS1_11comp_targetILNS1_3genE10ELNS1_11target_archE1201ELNS1_3gpuE5ELNS1_3repE0EEENS1_30default_config_static_selectorELNS0_4arch9wavefront6targetE0EEEvS11_.num_agpr, 0
	.set _ZN7rocprim17ROCPRIM_400000_NS6detail17trampoline_kernelINS0_14default_configENS1_21merge_config_selectorINS0_5tupleIJffEEENS0_10empty_typeEEEZNS1_10merge_implIS3_NS0_12zip_iteratorINS5_IJN6thrust23THRUST_200600_302600_NS6detail15normal_iteratorINSC_10device_ptrIKfEEEESI_EEEEESK_NSA_INS5_IJNSC_16discard_iteratorINSC_11use_defaultEEESN_EEEEEPS7_SQ_SQ_NSC_11hip_rocprim7__merge17predicate_wrapperIffNSC_4lessIfEEEEEE10hipError_tPvRmT0_T1_T2_T3_T4_T5_mmT6_P12ihipStream_tbEUlT_E_NS1_11comp_targetILNS1_3genE10ELNS1_11target_archE1201ELNS1_3gpuE5ELNS1_3repE0EEENS1_30default_config_static_selectorELNS0_4arch9wavefront6targetE0EEEvS11_.numbered_sgpr, 0
	.set _ZN7rocprim17ROCPRIM_400000_NS6detail17trampoline_kernelINS0_14default_configENS1_21merge_config_selectorINS0_5tupleIJffEEENS0_10empty_typeEEEZNS1_10merge_implIS3_NS0_12zip_iteratorINS5_IJN6thrust23THRUST_200600_302600_NS6detail15normal_iteratorINSC_10device_ptrIKfEEEESI_EEEEESK_NSA_INS5_IJNSC_16discard_iteratorINSC_11use_defaultEEESN_EEEEEPS7_SQ_SQ_NSC_11hip_rocprim7__merge17predicate_wrapperIffNSC_4lessIfEEEEEE10hipError_tPvRmT0_T1_T2_T3_T4_T5_mmT6_P12ihipStream_tbEUlT_E_NS1_11comp_targetILNS1_3genE10ELNS1_11target_archE1201ELNS1_3gpuE5ELNS1_3repE0EEENS1_30default_config_static_selectorELNS0_4arch9wavefront6targetE0EEEvS11_.num_named_barrier, 0
	.set _ZN7rocprim17ROCPRIM_400000_NS6detail17trampoline_kernelINS0_14default_configENS1_21merge_config_selectorINS0_5tupleIJffEEENS0_10empty_typeEEEZNS1_10merge_implIS3_NS0_12zip_iteratorINS5_IJN6thrust23THRUST_200600_302600_NS6detail15normal_iteratorINSC_10device_ptrIKfEEEESI_EEEEESK_NSA_INS5_IJNSC_16discard_iteratorINSC_11use_defaultEEESN_EEEEEPS7_SQ_SQ_NSC_11hip_rocprim7__merge17predicate_wrapperIffNSC_4lessIfEEEEEE10hipError_tPvRmT0_T1_T2_T3_T4_T5_mmT6_P12ihipStream_tbEUlT_E_NS1_11comp_targetILNS1_3genE10ELNS1_11target_archE1201ELNS1_3gpuE5ELNS1_3repE0EEENS1_30default_config_static_selectorELNS0_4arch9wavefront6targetE0EEEvS11_.private_seg_size, 0
	.set _ZN7rocprim17ROCPRIM_400000_NS6detail17trampoline_kernelINS0_14default_configENS1_21merge_config_selectorINS0_5tupleIJffEEENS0_10empty_typeEEEZNS1_10merge_implIS3_NS0_12zip_iteratorINS5_IJN6thrust23THRUST_200600_302600_NS6detail15normal_iteratorINSC_10device_ptrIKfEEEESI_EEEEESK_NSA_INS5_IJNSC_16discard_iteratorINSC_11use_defaultEEESN_EEEEEPS7_SQ_SQ_NSC_11hip_rocprim7__merge17predicate_wrapperIffNSC_4lessIfEEEEEE10hipError_tPvRmT0_T1_T2_T3_T4_T5_mmT6_P12ihipStream_tbEUlT_E_NS1_11comp_targetILNS1_3genE10ELNS1_11target_archE1201ELNS1_3gpuE5ELNS1_3repE0EEENS1_30default_config_static_selectorELNS0_4arch9wavefront6targetE0EEEvS11_.uses_vcc, 0
	.set _ZN7rocprim17ROCPRIM_400000_NS6detail17trampoline_kernelINS0_14default_configENS1_21merge_config_selectorINS0_5tupleIJffEEENS0_10empty_typeEEEZNS1_10merge_implIS3_NS0_12zip_iteratorINS5_IJN6thrust23THRUST_200600_302600_NS6detail15normal_iteratorINSC_10device_ptrIKfEEEESI_EEEEESK_NSA_INS5_IJNSC_16discard_iteratorINSC_11use_defaultEEESN_EEEEEPS7_SQ_SQ_NSC_11hip_rocprim7__merge17predicate_wrapperIffNSC_4lessIfEEEEEE10hipError_tPvRmT0_T1_T2_T3_T4_T5_mmT6_P12ihipStream_tbEUlT_E_NS1_11comp_targetILNS1_3genE10ELNS1_11target_archE1201ELNS1_3gpuE5ELNS1_3repE0EEENS1_30default_config_static_selectorELNS0_4arch9wavefront6targetE0EEEvS11_.uses_flat_scratch, 0
	.set _ZN7rocprim17ROCPRIM_400000_NS6detail17trampoline_kernelINS0_14default_configENS1_21merge_config_selectorINS0_5tupleIJffEEENS0_10empty_typeEEEZNS1_10merge_implIS3_NS0_12zip_iteratorINS5_IJN6thrust23THRUST_200600_302600_NS6detail15normal_iteratorINSC_10device_ptrIKfEEEESI_EEEEESK_NSA_INS5_IJNSC_16discard_iteratorINSC_11use_defaultEEESN_EEEEEPS7_SQ_SQ_NSC_11hip_rocprim7__merge17predicate_wrapperIffNSC_4lessIfEEEEEE10hipError_tPvRmT0_T1_T2_T3_T4_T5_mmT6_P12ihipStream_tbEUlT_E_NS1_11comp_targetILNS1_3genE10ELNS1_11target_archE1201ELNS1_3gpuE5ELNS1_3repE0EEENS1_30default_config_static_selectorELNS0_4arch9wavefront6targetE0EEEvS11_.has_dyn_sized_stack, 0
	.set _ZN7rocprim17ROCPRIM_400000_NS6detail17trampoline_kernelINS0_14default_configENS1_21merge_config_selectorINS0_5tupleIJffEEENS0_10empty_typeEEEZNS1_10merge_implIS3_NS0_12zip_iteratorINS5_IJN6thrust23THRUST_200600_302600_NS6detail15normal_iteratorINSC_10device_ptrIKfEEEESI_EEEEESK_NSA_INS5_IJNSC_16discard_iteratorINSC_11use_defaultEEESN_EEEEEPS7_SQ_SQ_NSC_11hip_rocprim7__merge17predicate_wrapperIffNSC_4lessIfEEEEEE10hipError_tPvRmT0_T1_T2_T3_T4_T5_mmT6_P12ihipStream_tbEUlT_E_NS1_11comp_targetILNS1_3genE10ELNS1_11target_archE1201ELNS1_3gpuE5ELNS1_3repE0EEENS1_30default_config_static_selectorELNS0_4arch9wavefront6targetE0EEEvS11_.has_recursion, 0
	.set _ZN7rocprim17ROCPRIM_400000_NS6detail17trampoline_kernelINS0_14default_configENS1_21merge_config_selectorINS0_5tupleIJffEEENS0_10empty_typeEEEZNS1_10merge_implIS3_NS0_12zip_iteratorINS5_IJN6thrust23THRUST_200600_302600_NS6detail15normal_iteratorINSC_10device_ptrIKfEEEESI_EEEEESK_NSA_INS5_IJNSC_16discard_iteratorINSC_11use_defaultEEESN_EEEEEPS7_SQ_SQ_NSC_11hip_rocprim7__merge17predicate_wrapperIffNSC_4lessIfEEEEEE10hipError_tPvRmT0_T1_T2_T3_T4_T5_mmT6_P12ihipStream_tbEUlT_E_NS1_11comp_targetILNS1_3genE10ELNS1_11target_archE1201ELNS1_3gpuE5ELNS1_3repE0EEENS1_30default_config_static_selectorELNS0_4arch9wavefront6targetE0EEEvS11_.has_indirect_call, 0
	.section	.AMDGPU.csdata,"",@progbits
; Kernel info:
; codeLenInByte = 0
; TotalNumSgprs: 0
; NumVgprs: 0
; ScratchSize: 0
; MemoryBound: 0
; FloatMode: 240
; IeeeMode: 1
; LDSByteSize: 0 bytes/workgroup (compile time only)
; SGPRBlocks: 0
; VGPRBlocks: 0
; NumSGPRsForWavesPerEU: 1
; NumVGPRsForWavesPerEU: 1
; NamedBarCnt: 0
; Occupancy: 16
; WaveLimiterHint : 0
; COMPUTE_PGM_RSRC2:SCRATCH_EN: 0
; COMPUTE_PGM_RSRC2:USER_SGPR: 2
; COMPUTE_PGM_RSRC2:TRAP_HANDLER: 0
; COMPUTE_PGM_RSRC2:TGID_X_EN: 1
; COMPUTE_PGM_RSRC2:TGID_Y_EN: 0
; COMPUTE_PGM_RSRC2:TGID_Z_EN: 0
; COMPUTE_PGM_RSRC2:TIDIG_COMP_CNT: 0
	.section	.text._ZN7rocprim17ROCPRIM_400000_NS6detail17trampoline_kernelINS0_14default_configENS1_21merge_config_selectorINS0_5tupleIJffEEENS0_10empty_typeEEEZNS1_10merge_implIS3_NS0_12zip_iteratorINS5_IJN6thrust23THRUST_200600_302600_NS6detail15normal_iteratorINSC_10device_ptrIKfEEEESI_EEEEESK_NSA_INS5_IJNSC_16discard_iteratorINSC_11use_defaultEEESN_EEEEEPS7_SQ_SQ_NSC_11hip_rocprim7__merge17predicate_wrapperIffNSC_4lessIfEEEEEE10hipError_tPvRmT0_T1_T2_T3_T4_T5_mmT6_P12ihipStream_tbEUlT_E_NS1_11comp_targetILNS1_3genE10ELNS1_11target_archE1200ELNS1_3gpuE4ELNS1_3repE0EEENS1_30default_config_static_selectorELNS0_4arch9wavefront6targetE0EEEvS11_,"axG",@progbits,_ZN7rocprim17ROCPRIM_400000_NS6detail17trampoline_kernelINS0_14default_configENS1_21merge_config_selectorINS0_5tupleIJffEEENS0_10empty_typeEEEZNS1_10merge_implIS3_NS0_12zip_iteratorINS5_IJN6thrust23THRUST_200600_302600_NS6detail15normal_iteratorINSC_10device_ptrIKfEEEESI_EEEEESK_NSA_INS5_IJNSC_16discard_iteratorINSC_11use_defaultEEESN_EEEEEPS7_SQ_SQ_NSC_11hip_rocprim7__merge17predicate_wrapperIffNSC_4lessIfEEEEEE10hipError_tPvRmT0_T1_T2_T3_T4_T5_mmT6_P12ihipStream_tbEUlT_E_NS1_11comp_targetILNS1_3genE10ELNS1_11target_archE1200ELNS1_3gpuE4ELNS1_3repE0EEENS1_30default_config_static_selectorELNS0_4arch9wavefront6targetE0EEEvS11_,comdat
	.protected	_ZN7rocprim17ROCPRIM_400000_NS6detail17trampoline_kernelINS0_14default_configENS1_21merge_config_selectorINS0_5tupleIJffEEENS0_10empty_typeEEEZNS1_10merge_implIS3_NS0_12zip_iteratorINS5_IJN6thrust23THRUST_200600_302600_NS6detail15normal_iteratorINSC_10device_ptrIKfEEEESI_EEEEESK_NSA_INS5_IJNSC_16discard_iteratorINSC_11use_defaultEEESN_EEEEEPS7_SQ_SQ_NSC_11hip_rocprim7__merge17predicate_wrapperIffNSC_4lessIfEEEEEE10hipError_tPvRmT0_T1_T2_T3_T4_T5_mmT6_P12ihipStream_tbEUlT_E_NS1_11comp_targetILNS1_3genE10ELNS1_11target_archE1200ELNS1_3gpuE4ELNS1_3repE0EEENS1_30default_config_static_selectorELNS0_4arch9wavefront6targetE0EEEvS11_ ; -- Begin function _ZN7rocprim17ROCPRIM_400000_NS6detail17trampoline_kernelINS0_14default_configENS1_21merge_config_selectorINS0_5tupleIJffEEENS0_10empty_typeEEEZNS1_10merge_implIS3_NS0_12zip_iteratorINS5_IJN6thrust23THRUST_200600_302600_NS6detail15normal_iteratorINSC_10device_ptrIKfEEEESI_EEEEESK_NSA_INS5_IJNSC_16discard_iteratorINSC_11use_defaultEEESN_EEEEEPS7_SQ_SQ_NSC_11hip_rocprim7__merge17predicate_wrapperIffNSC_4lessIfEEEEEE10hipError_tPvRmT0_T1_T2_T3_T4_T5_mmT6_P12ihipStream_tbEUlT_E_NS1_11comp_targetILNS1_3genE10ELNS1_11target_archE1200ELNS1_3gpuE4ELNS1_3repE0EEENS1_30default_config_static_selectorELNS0_4arch9wavefront6targetE0EEEvS11_
	.globl	_ZN7rocprim17ROCPRIM_400000_NS6detail17trampoline_kernelINS0_14default_configENS1_21merge_config_selectorINS0_5tupleIJffEEENS0_10empty_typeEEEZNS1_10merge_implIS3_NS0_12zip_iteratorINS5_IJN6thrust23THRUST_200600_302600_NS6detail15normal_iteratorINSC_10device_ptrIKfEEEESI_EEEEESK_NSA_INS5_IJNSC_16discard_iteratorINSC_11use_defaultEEESN_EEEEEPS7_SQ_SQ_NSC_11hip_rocprim7__merge17predicate_wrapperIffNSC_4lessIfEEEEEE10hipError_tPvRmT0_T1_T2_T3_T4_T5_mmT6_P12ihipStream_tbEUlT_E_NS1_11comp_targetILNS1_3genE10ELNS1_11target_archE1200ELNS1_3gpuE4ELNS1_3repE0EEENS1_30default_config_static_selectorELNS0_4arch9wavefront6targetE0EEEvS11_
	.p2align	8
	.type	_ZN7rocprim17ROCPRIM_400000_NS6detail17trampoline_kernelINS0_14default_configENS1_21merge_config_selectorINS0_5tupleIJffEEENS0_10empty_typeEEEZNS1_10merge_implIS3_NS0_12zip_iteratorINS5_IJN6thrust23THRUST_200600_302600_NS6detail15normal_iteratorINSC_10device_ptrIKfEEEESI_EEEEESK_NSA_INS5_IJNSC_16discard_iteratorINSC_11use_defaultEEESN_EEEEEPS7_SQ_SQ_NSC_11hip_rocprim7__merge17predicate_wrapperIffNSC_4lessIfEEEEEE10hipError_tPvRmT0_T1_T2_T3_T4_T5_mmT6_P12ihipStream_tbEUlT_E_NS1_11comp_targetILNS1_3genE10ELNS1_11target_archE1200ELNS1_3gpuE4ELNS1_3repE0EEENS1_30default_config_static_selectorELNS0_4arch9wavefront6targetE0EEEvS11_,@function
_ZN7rocprim17ROCPRIM_400000_NS6detail17trampoline_kernelINS0_14default_configENS1_21merge_config_selectorINS0_5tupleIJffEEENS0_10empty_typeEEEZNS1_10merge_implIS3_NS0_12zip_iteratorINS5_IJN6thrust23THRUST_200600_302600_NS6detail15normal_iteratorINSC_10device_ptrIKfEEEESI_EEEEESK_NSA_INS5_IJNSC_16discard_iteratorINSC_11use_defaultEEESN_EEEEEPS7_SQ_SQ_NSC_11hip_rocprim7__merge17predicate_wrapperIffNSC_4lessIfEEEEEE10hipError_tPvRmT0_T1_T2_T3_T4_T5_mmT6_P12ihipStream_tbEUlT_E_NS1_11comp_targetILNS1_3genE10ELNS1_11target_archE1200ELNS1_3gpuE4ELNS1_3repE0EEENS1_30default_config_static_selectorELNS0_4arch9wavefront6targetE0EEEvS11_: ; @_ZN7rocprim17ROCPRIM_400000_NS6detail17trampoline_kernelINS0_14default_configENS1_21merge_config_selectorINS0_5tupleIJffEEENS0_10empty_typeEEEZNS1_10merge_implIS3_NS0_12zip_iteratorINS5_IJN6thrust23THRUST_200600_302600_NS6detail15normal_iteratorINSC_10device_ptrIKfEEEESI_EEEEESK_NSA_INS5_IJNSC_16discard_iteratorINSC_11use_defaultEEESN_EEEEEPS7_SQ_SQ_NSC_11hip_rocprim7__merge17predicate_wrapperIffNSC_4lessIfEEEEEE10hipError_tPvRmT0_T1_T2_T3_T4_T5_mmT6_P12ihipStream_tbEUlT_E_NS1_11comp_targetILNS1_3genE10ELNS1_11target_archE1200ELNS1_3gpuE4ELNS1_3repE0EEENS1_30default_config_static_selectorELNS0_4arch9wavefront6targetE0EEEvS11_
; %bb.0:
	.section	.rodata,"a",@progbits
	.p2align	6, 0x0
	.amdhsa_kernel _ZN7rocprim17ROCPRIM_400000_NS6detail17trampoline_kernelINS0_14default_configENS1_21merge_config_selectorINS0_5tupleIJffEEENS0_10empty_typeEEEZNS1_10merge_implIS3_NS0_12zip_iteratorINS5_IJN6thrust23THRUST_200600_302600_NS6detail15normal_iteratorINSC_10device_ptrIKfEEEESI_EEEEESK_NSA_INS5_IJNSC_16discard_iteratorINSC_11use_defaultEEESN_EEEEEPS7_SQ_SQ_NSC_11hip_rocprim7__merge17predicate_wrapperIffNSC_4lessIfEEEEEE10hipError_tPvRmT0_T1_T2_T3_T4_T5_mmT6_P12ihipStream_tbEUlT_E_NS1_11comp_targetILNS1_3genE10ELNS1_11target_archE1200ELNS1_3gpuE4ELNS1_3repE0EEENS1_30default_config_static_selectorELNS0_4arch9wavefront6targetE0EEEvS11_
		.amdhsa_group_segment_fixed_size 0
		.amdhsa_private_segment_fixed_size 0
		.amdhsa_kernarg_size 64
		.amdhsa_user_sgpr_count 2
		.amdhsa_user_sgpr_dispatch_ptr 0
		.amdhsa_user_sgpr_queue_ptr 0
		.amdhsa_user_sgpr_kernarg_segment_ptr 1
		.amdhsa_user_sgpr_dispatch_id 0
		.amdhsa_user_sgpr_kernarg_preload_length 0
		.amdhsa_user_sgpr_kernarg_preload_offset 0
		.amdhsa_user_sgpr_private_segment_size 0
		.amdhsa_wavefront_size32 1
		.amdhsa_uses_dynamic_stack 0
		.amdhsa_enable_private_segment 0
		.amdhsa_system_sgpr_workgroup_id_x 1
		.amdhsa_system_sgpr_workgroup_id_y 0
		.amdhsa_system_sgpr_workgroup_id_z 0
		.amdhsa_system_sgpr_workgroup_info 0
		.amdhsa_system_vgpr_workitem_id 0
		.amdhsa_next_free_vgpr 1
		.amdhsa_next_free_sgpr 1
		.amdhsa_named_barrier_count 0
		.amdhsa_reserve_vcc 0
		.amdhsa_float_round_mode_32 0
		.amdhsa_float_round_mode_16_64 0
		.amdhsa_float_denorm_mode_32 3
		.amdhsa_float_denorm_mode_16_64 3
		.amdhsa_fp16_overflow 0
		.amdhsa_memory_ordered 1
		.amdhsa_forward_progress 1
		.amdhsa_inst_pref_size 0
		.amdhsa_round_robin_scheduling 0
		.amdhsa_exception_fp_ieee_invalid_op 0
		.amdhsa_exception_fp_denorm_src 0
		.amdhsa_exception_fp_ieee_div_zero 0
		.amdhsa_exception_fp_ieee_overflow 0
		.amdhsa_exception_fp_ieee_underflow 0
		.amdhsa_exception_fp_ieee_inexact 0
		.amdhsa_exception_int_div_zero 0
	.end_amdhsa_kernel
	.section	.text._ZN7rocprim17ROCPRIM_400000_NS6detail17trampoline_kernelINS0_14default_configENS1_21merge_config_selectorINS0_5tupleIJffEEENS0_10empty_typeEEEZNS1_10merge_implIS3_NS0_12zip_iteratorINS5_IJN6thrust23THRUST_200600_302600_NS6detail15normal_iteratorINSC_10device_ptrIKfEEEESI_EEEEESK_NSA_INS5_IJNSC_16discard_iteratorINSC_11use_defaultEEESN_EEEEEPS7_SQ_SQ_NSC_11hip_rocprim7__merge17predicate_wrapperIffNSC_4lessIfEEEEEE10hipError_tPvRmT0_T1_T2_T3_T4_T5_mmT6_P12ihipStream_tbEUlT_E_NS1_11comp_targetILNS1_3genE10ELNS1_11target_archE1200ELNS1_3gpuE4ELNS1_3repE0EEENS1_30default_config_static_selectorELNS0_4arch9wavefront6targetE0EEEvS11_,"axG",@progbits,_ZN7rocprim17ROCPRIM_400000_NS6detail17trampoline_kernelINS0_14default_configENS1_21merge_config_selectorINS0_5tupleIJffEEENS0_10empty_typeEEEZNS1_10merge_implIS3_NS0_12zip_iteratorINS5_IJN6thrust23THRUST_200600_302600_NS6detail15normal_iteratorINSC_10device_ptrIKfEEEESI_EEEEESK_NSA_INS5_IJNSC_16discard_iteratorINSC_11use_defaultEEESN_EEEEEPS7_SQ_SQ_NSC_11hip_rocprim7__merge17predicate_wrapperIffNSC_4lessIfEEEEEE10hipError_tPvRmT0_T1_T2_T3_T4_T5_mmT6_P12ihipStream_tbEUlT_E_NS1_11comp_targetILNS1_3genE10ELNS1_11target_archE1200ELNS1_3gpuE4ELNS1_3repE0EEENS1_30default_config_static_selectorELNS0_4arch9wavefront6targetE0EEEvS11_,comdat
.Lfunc_end503:
	.size	_ZN7rocprim17ROCPRIM_400000_NS6detail17trampoline_kernelINS0_14default_configENS1_21merge_config_selectorINS0_5tupleIJffEEENS0_10empty_typeEEEZNS1_10merge_implIS3_NS0_12zip_iteratorINS5_IJN6thrust23THRUST_200600_302600_NS6detail15normal_iteratorINSC_10device_ptrIKfEEEESI_EEEEESK_NSA_INS5_IJNSC_16discard_iteratorINSC_11use_defaultEEESN_EEEEEPS7_SQ_SQ_NSC_11hip_rocprim7__merge17predicate_wrapperIffNSC_4lessIfEEEEEE10hipError_tPvRmT0_T1_T2_T3_T4_T5_mmT6_P12ihipStream_tbEUlT_E_NS1_11comp_targetILNS1_3genE10ELNS1_11target_archE1200ELNS1_3gpuE4ELNS1_3repE0EEENS1_30default_config_static_selectorELNS0_4arch9wavefront6targetE0EEEvS11_, .Lfunc_end503-_ZN7rocprim17ROCPRIM_400000_NS6detail17trampoline_kernelINS0_14default_configENS1_21merge_config_selectorINS0_5tupleIJffEEENS0_10empty_typeEEEZNS1_10merge_implIS3_NS0_12zip_iteratorINS5_IJN6thrust23THRUST_200600_302600_NS6detail15normal_iteratorINSC_10device_ptrIKfEEEESI_EEEEESK_NSA_INS5_IJNSC_16discard_iteratorINSC_11use_defaultEEESN_EEEEEPS7_SQ_SQ_NSC_11hip_rocprim7__merge17predicate_wrapperIffNSC_4lessIfEEEEEE10hipError_tPvRmT0_T1_T2_T3_T4_T5_mmT6_P12ihipStream_tbEUlT_E_NS1_11comp_targetILNS1_3genE10ELNS1_11target_archE1200ELNS1_3gpuE4ELNS1_3repE0EEENS1_30default_config_static_selectorELNS0_4arch9wavefront6targetE0EEEvS11_
                                        ; -- End function
	.set _ZN7rocprim17ROCPRIM_400000_NS6detail17trampoline_kernelINS0_14default_configENS1_21merge_config_selectorINS0_5tupleIJffEEENS0_10empty_typeEEEZNS1_10merge_implIS3_NS0_12zip_iteratorINS5_IJN6thrust23THRUST_200600_302600_NS6detail15normal_iteratorINSC_10device_ptrIKfEEEESI_EEEEESK_NSA_INS5_IJNSC_16discard_iteratorINSC_11use_defaultEEESN_EEEEEPS7_SQ_SQ_NSC_11hip_rocprim7__merge17predicate_wrapperIffNSC_4lessIfEEEEEE10hipError_tPvRmT0_T1_T2_T3_T4_T5_mmT6_P12ihipStream_tbEUlT_E_NS1_11comp_targetILNS1_3genE10ELNS1_11target_archE1200ELNS1_3gpuE4ELNS1_3repE0EEENS1_30default_config_static_selectorELNS0_4arch9wavefront6targetE0EEEvS11_.num_vgpr, 0
	.set _ZN7rocprim17ROCPRIM_400000_NS6detail17trampoline_kernelINS0_14default_configENS1_21merge_config_selectorINS0_5tupleIJffEEENS0_10empty_typeEEEZNS1_10merge_implIS3_NS0_12zip_iteratorINS5_IJN6thrust23THRUST_200600_302600_NS6detail15normal_iteratorINSC_10device_ptrIKfEEEESI_EEEEESK_NSA_INS5_IJNSC_16discard_iteratorINSC_11use_defaultEEESN_EEEEEPS7_SQ_SQ_NSC_11hip_rocprim7__merge17predicate_wrapperIffNSC_4lessIfEEEEEE10hipError_tPvRmT0_T1_T2_T3_T4_T5_mmT6_P12ihipStream_tbEUlT_E_NS1_11comp_targetILNS1_3genE10ELNS1_11target_archE1200ELNS1_3gpuE4ELNS1_3repE0EEENS1_30default_config_static_selectorELNS0_4arch9wavefront6targetE0EEEvS11_.num_agpr, 0
	.set _ZN7rocprim17ROCPRIM_400000_NS6detail17trampoline_kernelINS0_14default_configENS1_21merge_config_selectorINS0_5tupleIJffEEENS0_10empty_typeEEEZNS1_10merge_implIS3_NS0_12zip_iteratorINS5_IJN6thrust23THRUST_200600_302600_NS6detail15normal_iteratorINSC_10device_ptrIKfEEEESI_EEEEESK_NSA_INS5_IJNSC_16discard_iteratorINSC_11use_defaultEEESN_EEEEEPS7_SQ_SQ_NSC_11hip_rocprim7__merge17predicate_wrapperIffNSC_4lessIfEEEEEE10hipError_tPvRmT0_T1_T2_T3_T4_T5_mmT6_P12ihipStream_tbEUlT_E_NS1_11comp_targetILNS1_3genE10ELNS1_11target_archE1200ELNS1_3gpuE4ELNS1_3repE0EEENS1_30default_config_static_selectorELNS0_4arch9wavefront6targetE0EEEvS11_.numbered_sgpr, 0
	.set _ZN7rocprim17ROCPRIM_400000_NS6detail17trampoline_kernelINS0_14default_configENS1_21merge_config_selectorINS0_5tupleIJffEEENS0_10empty_typeEEEZNS1_10merge_implIS3_NS0_12zip_iteratorINS5_IJN6thrust23THRUST_200600_302600_NS6detail15normal_iteratorINSC_10device_ptrIKfEEEESI_EEEEESK_NSA_INS5_IJNSC_16discard_iteratorINSC_11use_defaultEEESN_EEEEEPS7_SQ_SQ_NSC_11hip_rocprim7__merge17predicate_wrapperIffNSC_4lessIfEEEEEE10hipError_tPvRmT0_T1_T2_T3_T4_T5_mmT6_P12ihipStream_tbEUlT_E_NS1_11comp_targetILNS1_3genE10ELNS1_11target_archE1200ELNS1_3gpuE4ELNS1_3repE0EEENS1_30default_config_static_selectorELNS0_4arch9wavefront6targetE0EEEvS11_.num_named_barrier, 0
	.set _ZN7rocprim17ROCPRIM_400000_NS6detail17trampoline_kernelINS0_14default_configENS1_21merge_config_selectorINS0_5tupleIJffEEENS0_10empty_typeEEEZNS1_10merge_implIS3_NS0_12zip_iteratorINS5_IJN6thrust23THRUST_200600_302600_NS6detail15normal_iteratorINSC_10device_ptrIKfEEEESI_EEEEESK_NSA_INS5_IJNSC_16discard_iteratorINSC_11use_defaultEEESN_EEEEEPS7_SQ_SQ_NSC_11hip_rocprim7__merge17predicate_wrapperIffNSC_4lessIfEEEEEE10hipError_tPvRmT0_T1_T2_T3_T4_T5_mmT6_P12ihipStream_tbEUlT_E_NS1_11comp_targetILNS1_3genE10ELNS1_11target_archE1200ELNS1_3gpuE4ELNS1_3repE0EEENS1_30default_config_static_selectorELNS0_4arch9wavefront6targetE0EEEvS11_.private_seg_size, 0
	.set _ZN7rocprim17ROCPRIM_400000_NS6detail17trampoline_kernelINS0_14default_configENS1_21merge_config_selectorINS0_5tupleIJffEEENS0_10empty_typeEEEZNS1_10merge_implIS3_NS0_12zip_iteratorINS5_IJN6thrust23THRUST_200600_302600_NS6detail15normal_iteratorINSC_10device_ptrIKfEEEESI_EEEEESK_NSA_INS5_IJNSC_16discard_iteratorINSC_11use_defaultEEESN_EEEEEPS7_SQ_SQ_NSC_11hip_rocprim7__merge17predicate_wrapperIffNSC_4lessIfEEEEEE10hipError_tPvRmT0_T1_T2_T3_T4_T5_mmT6_P12ihipStream_tbEUlT_E_NS1_11comp_targetILNS1_3genE10ELNS1_11target_archE1200ELNS1_3gpuE4ELNS1_3repE0EEENS1_30default_config_static_selectorELNS0_4arch9wavefront6targetE0EEEvS11_.uses_vcc, 0
	.set _ZN7rocprim17ROCPRIM_400000_NS6detail17trampoline_kernelINS0_14default_configENS1_21merge_config_selectorINS0_5tupleIJffEEENS0_10empty_typeEEEZNS1_10merge_implIS3_NS0_12zip_iteratorINS5_IJN6thrust23THRUST_200600_302600_NS6detail15normal_iteratorINSC_10device_ptrIKfEEEESI_EEEEESK_NSA_INS5_IJNSC_16discard_iteratorINSC_11use_defaultEEESN_EEEEEPS7_SQ_SQ_NSC_11hip_rocprim7__merge17predicate_wrapperIffNSC_4lessIfEEEEEE10hipError_tPvRmT0_T1_T2_T3_T4_T5_mmT6_P12ihipStream_tbEUlT_E_NS1_11comp_targetILNS1_3genE10ELNS1_11target_archE1200ELNS1_3gpuE4ELNS1_3repE0EEENS1_30default_config_static_selectorELNS0_4arch9wavefront6targetE0EEEvS11_.uses_flat_scratch, 0
	.set _ZN7rocprim17ROCPRIM_400000_NS6detail17trampoline_kernelINS0_14default_configENS1_21merge_config_selectorINS0_5tupleIJffEEENS0_10empty_typeEEEZNS1_10merge_implIS3_NS0_12zip_iteratorINS5_IJN6thrust23THRUST_200600_302600_NS6detail15normal_iteratorINSC_10device_ptrIKfEEEESI_EEEEESK_NSA_INS5_IJNSC_16discard_iteratorINSC_11use_defaultEEESN_EEEEEPS7_SQ_SQ_NSC_11hip_rocprim7__merge17predicate_wrapperIffNSC_4lessIfEEEEEE10hipError_tPvRmT0_T1_T2_T3_T4_T5_mmT6_P12ihipStream_tbEUlT_E_NS1_11comp_targetILNS1_3genE10ELNS1_11target_archE1200ELNS1_3gpuE4ELNS1_3repE0EEENS1_30default_config_static_selectorELNS0_4arch9wavefront6targetE0EEEvS11_.has_dyn_sized_stack, 0
	.set _ZN7rocprim17ROCPRIM_400000_NS6detail17trampoline_kernelINS0_14default_configENS1_21merge_config_selectorINS0_5tupleIJffEEENS0_10empty_typeEEEZNS1_10merge_implIS3_NS0_12zip_iteratorINS5_IJN6thrust23THRUST_200600_302600_NS6detail15normal_iteratorINSC_10device_ptrIKfEEEESI_EEEEESK_NSA_INS5_IJNSC_16discard_iteratorINSC_11use_defaultEEESN_EEEEEPS7_SQ_SQ_NSC_11hip_rocprim7__merge17predicate_wrapperIffNSC_4lessIfEEEEEE10hipError_tPvRmT0_T1_T2_T3_T4_T5_mmT6_P12ihipStream_tbEUlT_E_NS1_11comp_targetILNS1_3genE10ELNS1_11target_archE1200ELNS1_3gpuE4ELNS1_3repE0EEENS1_30default_config_static_selectorELNS0_4arch9wavefront6targetE0EEEvS11_.has_recursion, 0
	.set _ZN7rocprim17ROCPRIM_400000_NS6detail17trampoline_kernelINS0_14default_configENS1_21merge_config_selectorINS0_5tupleIJffEEENS0_10empty_typeEEEZNS1_10merge_implIS3_NS0_12zip_iteratorINS5_IJN6thrust23THRUST_200600_302600_NS6detail15normal_iteratorINSC_10device_ptrIKfEEEESI_EEEEESK_NSA_INS5_IJNSC_16discard_iteratorINSC_11use_defaultEEESN_EEEEEPS7_SQ_SQ_NSC_11hip_rocprim7__merge17predicate_wrapperIffNSC_4lessIfEEEEEE10hipError_tPvRmT0_T1_T2_T3_T4_T5_mmT6_P12ihipStream_tbEUlT_E_NS1_11comp_targetILNS1_3genE10ELNS1_11target_archE1200ELNS1_3gpuE4ELNS1_3repE0EEENS1_30default_config_static_selectorELNS0_4arch9wavefront6targetE0EEEvS11_.has_indirect_call, 0
	.section	.AMDGPU.csdata,"",@progbits
; Kernel info:
; codeLenInByte = 0
; TotalNumSgprs: 0
; NumVgprs: 0
; ScratchSize: 0
; MemoryBound: 0
; FloatMode: 240
; IeeeMode: 1
; LDSByteSize: 0 bytes/workgroup (compile time only)
; SGPRBlocks: 0
; VGPRBlocks: 0
; NumSGPRsForWavesPerEU: 1
; NumVGPRsForWavesPerEU: 1
; NamedBarCnt: 0
; Occupancy: 16
; WaveLimiterHint : 0
; COMPUTE_PGM_RSRC2:SCRATCH_EN: 0
; COMPUTE_PGM_RSRC2:USER_SGPR: 2
; COMPUTE_PGM_RSRC2:TRAP_HANDLER: 0
; COMPUTE_PGM_RSRC2:TGID_X_EN: 1
; COMPUTE_PGM_RSRC2:TGID_Y_EN: 0
; COMPUTE_PGM_RSRC2:TGID_Z_EN: 0
; COMPUTE_PGM_RSRC2:TIDIG_COMP_CNT: 0
	.section	.text._ZN7rocprim17ROCPRIM_400000_NS6detail17trampoline_kernelINS0_14default_configENS1_21merge_config_selectorINS0_5tupleIJffEEENS0_10empty_typeEEEZNS1_10merge_implIS3_NS0_12zip_iteratorINS5_IJN6thrust23THRUST_200600_302600_NS6detail15normal_iteratorINSC_10device_ptrIKfEEEESI_EEEEESK_NSA_INS5_IJNSC_16discard_iteratorINSC_11use_defaultEEESN_EEEEEPS7_SQ_SQ_NSC_11hip_rocprim7__merge17predicate_wrapperIffNSC_4lessIfEEEEEE10hipError_tPvRmT0_T1_T2_T3_T4_T5_mmT6_P12ihipStream_tbEUlT_E_NS1_11comp_targetILNS1_3genE9ELNS1_11target_archE1100ELNS1_3gpuE3ELNS1_3repE0EEENS1_30default_config_static_selectorELNS0_4arch9wavefront6targetE0EEEvS11_,"axG",@progbits,_ZN7rocprim17ROCPRIM_400000_NS6detail17trampoline_kernelINS0_14default_configENS1_21merge_config_selectorINS0_5tupleIJffEEENS0_10empty_typeEEEZNS1_10merge_implIS3_NS0_12zip_iteratorINS5_IJN6thrust23THRUST_200600_302600_NS6detail15normal_iteratorINSC_10device_ptrIKfEEEESI_EEEEESK_NSA_INS5_IJNSC_16discard_iteratorINSC_11use_defaultEEESN_EEEEEPS7_SQ_SQ_NSC_11hip_rocprim7__merge17predicate_wrapperIffNSC_4lessIfEEEEEE10hipError_tPvRmT0_T1_T2_T3_T4_T5_mmT6_P12ihipStream_tbEUlT_E_NS1_11comp_targetILNS1_3genE9ELNS1_11target_archE1100ELNS1_3gpuE3ELNS1_3repE0EEENS1_30default_config_static_selectorELNS0_4arch9wavefront6targetE0EEEvS11_,comdat
	.protected	_ZN7rocprim17ROCPRIM_400000_NS6detail17trampoline_kernelINS0_14default_configENS1_21merge_config_selectorINS0_5tupleIJffEEENS0_10empty_typeEEEZNS1_10merge_implIS3_NS0_12zip_iteratorINS5_IJN6thrust23THRUST_200600_302600_NS6detail15normal_iteratorINSC_10device_ptrIKfEEEESI_EEEEESK_NSA_INS5_IJNSC_16discard_iteratorINSC_11use_defaultEEESN_EEEEEPS7_SQ_SQ_NSC_11hip_rocprim7__merge17predicate_wrapperIffNSC_4lessIfEEEEEE10hipError_tPvRmT0_T1_T2_T3_T4_T5_mmT6_P12ihipStream_tbEUlT_E_NS1_11comp_targetILNS1_3genE9ELNS1_11target_archE1100ELNS1_3gpuE3ELNS1_3repE0EEENS1_30default_config_static_selectorELNS0_4arch9wavefront6targetE0EEEvS11_ ; -- Begin function _ZN7rocprim17ROCPRIM_400000_NS6detail17trampoline_kernelINS0_14default_configENS1_21merge_config_selectorINS0_5tupleIJffEEENS0_10empty_typeEEEZNS1_10merge_implIS3_NS0_12zip_iteratorINS5_IJN6thrust23THRUST_200600_302600_NS6detail15normal_iteratorINSC_10device_ptrIKfEEEESI_EEEEESK_NSA_INS5_IJNSC_16discard_iteratorINSC_11use_defaultEEESN_EEEEEPS7_SQ_SQ_NSC_11hip_rocprim7__merge17predicate_wrapperIffNSC_4lessIfEEEEEE10hipError_tPvRmT0_T1_T2_T3_T4_T5_mmT6_P12ihipStream_tbEUlT_E_NS1_11comp_targetILNS1_3genE9ELNS1_11target_archE1100ELNS1_3gpuE3ELNS1_3repE0EEENS1_30default_config_static_selectorELNS0_4arch9wavefront6targetE0EEEvS11_
	.globl	_ZN7rocprim17ROCPRIM_400000_NS6detail17trampoline_kernelINS0_14default_configENS1_21merge_config_selectorINS0_5tupleIJffEEENS0_10empty_typeEEEZNS1_10merge_implIS3_NS0_12zip_iteratorINS5_IJN6thrust23THRUST_200600_302600_NS6detail15normal_iteratorINSC_10device_ptrIKfEEEESI_EEEEESK_NSA_INS5_IJNSC_16discard_iteratorINSC_11use_defaultEEESN_EEEEEPS7_SQ_SQ_NSC_11hip_rocprim7__merge17predicate_wrapperIffNSC_4lessIfEEEEEE10hipError_tPvRmT0_T1_T2_T3_T4_T5_mmT6_P12ihipStream_tbEUlT_E_NS1_11comp_targetILNS1_3genE9ELNS1_11target_archE1100ELNS1_3gpuE3ELNS1_3repE0EEENS1_30default_config_static_selectorELNS0_4arch9wavefront6targetE0EEEvS11_
	.p2align	8
	.type	_ZN7rocprim17ROCPRIM_400000_NS6detail17trampoline_kernelINS0_14default_configENS1_21merge_config_selectorINS0_5tupleIJffEEENS0_10empty_typeEEEZNS1_10merge_implIS3_NS0_12zip_iteratorINS5_IJN6thrust23THRUST_200600_302600_NS6detail15normal_iteratorINSC_10device_ptrIKfEEEESI_EEEEESK_NSA_INS5_IJNSC_16discard_iteratorINSC_11use_defaultEEESN_EEEEEPS7_SQ_SQ_NSC_11hip_rocprim7__merge17predicate_wrapperIffNSC_4lessIfEEEEEE10hipError_tPvRmT0_T1_T2_T3_T4_T5_mmT6_P12ihipStream_tbEUlT_E_NS1_11comp_targetILNS1_3genE9ELNS1_11target_archE1100ELNS1_3gpuE3ELNS1_3repE0EEENS1_30default_config_static_selectorELNS0_4arch9wavefront6targetE0EEEvS11_,@function
_ZN7rocprim17ROCPRIM_400000_NS6detail17trampoline_kernelINS0_14default_configENS1_21merge_config_selectorINS0_5tupleIJffEEENS0_10empty_typeEEEZNS1_10merge_implIS3_NS0_12zip_iteratorINS5_IJN6thrust23THRUST_200600_302600_NS6detail15normal_iteratorINSC_10device_ptrIKfEEEESI_EEEEESK_NSA_INS5_IJNSC_16discard_iteratorINSC_11use_defaultEEESN_EEEEEPS7_SQ_SQ_NSC_11hip_rocprim7__merge17predicate_wrapperIffNSC_4lessIfEEEEEE10hipError_tPvRmT0_T1_T2_T3_T4_T5_mmT6_P12ihipStream_tbEUlT_E_NS1_11comp_targetILNS1_3genE9ELNS1_11target_archE1100ELNS1_3gpuE3ELNS1_3repE0EEENS1_30default_config_static_selectorELNS0_4arch9wavefront6targetE0EEEvS11_: ; @_ZN7rocprim17ROCPRIM_400000_NS6detail17trampoline_kernelINS0_14default_configENS1_21merge_config_selectorINS0_5tupleIJffEEENS0_10empty_typeEEEZNS1_10merge_implIS3_NS0_12zip_iteratorINS5_IJN6thrust23THRUST_200600_302600_NS6detail15normal_iteratorINSC_10device_ptrIKfEEEESI_EEEEESK_NSA_INS5_IJNSC_16discard_iteratorINSC_11use_defaultEEESN_EEEEEPS7_SQ_SQ_NSC_11hip_rocprim7__merge17predicate_wrapperIffNSC_4lessIfEEEEEE10hipError_tPvRmT0_T1_T2_T3_T4_T5_mmT6_P12ihipStream_tbEUlT_E_NS1_11comp_targetILNS1_3genE9ELNS1_11target_archE1100ELNS1_3gpuE3ELNS1_3repE0EEENS1_30default_config_static_selectorELNS0_4arch9wavefront6targetE0EEEvS11_
; %bb.0:
	.section	.rodata,"a",@progbits
	.p2align	6, 0x0
	.amdhsa_kernel _ZN7rocprim17ROCPRIM_400000_NS6detail17trampoline_kernelINS0_14default_configENS1_21merge_config_selectorINS0_5tupleIJffEEENS0_10empty_typeEEEZNS1_10merge_implIS3_NS0_12zip_iteratorINS5_IJN6thrust23THRUST_200600_302600_NS6detail15normal_iteratorINSC_10device_ptrIKfEEEESI_EEEEESK_NSA_INS5_IJNSC_16discard_iteratorINSC_11use_defaultEEESN_EEEEEPS7_SQ_SQ_NSC_11hip_rocprim7__merge17predicate_wrapperIffNSC_4lessIfEEEEEE10hipError_tPvRmT0_T1_T2_T3_T4_T5_mmT6_P12ihipStream_tbEUlT_E_NS1_11comp_targetILNS1_3genE9ELNS1_11target_archE1100ELNS1_3gpuE3ELNS1_3repE0EEENS1_30default_config_static_selectorELNS0_4arch9wavefront6targetE0EEEvS11_
		.amdhsa_group_segment_fixed_size 0
		.amdhsa_private_segment_fixed_size 0
		.amdhsa_kernarg_size 64
		.amdhsa_user_sgpr_count 2
		.amdhsa_user_sgpr_dispatch_ptr 0
		.amdhsa_user_sgpr_queue_ptr 0
		.amdhsa_user_sgpr_kernarg_segment_ptr 1
		.amdhsa_user_sgpr_dispatch_id 0
		.amdhsa_user_sgpr_kernarg_preload_length 0
		.amdhsa_user_sgpr_kernarg_preload_offset 0
		.amdhsa_user_sgpr_private_segment_size 0
		.amdhsa_wavefront_size32 1
		.amdhsa_uses_dynamic_stack 0
		.amdhsa_enable_private_segment 0
		.amdhsa_system_sgpr_workgroup_id_x 1
		.amdhsa_system_sgpr_workgroup_id_y 0
		.amdhsa_system_sgpr_workgroup_id_z 0
		.amdhsa_system_sgpr_workgroup_info 0
		.amdhsa_system_vgpr_workitem_id 0
		.amdhsa_next_free_vgpr 1
		.amdhsa_next_free_sgpr 1
		.amdhsa_named_barrier_count 0
		.amdhsa_reserve_vcc 0
		.amdhsa_float_round_mode_32 0
		.amdhsa_float_round_mode_16_64 0
		.amdhsa_float_denorm_mode_32 3
		.amdhsa_float_denorm_mode_16_64 3
		.amdhsa_fp16_overflow 0
		.amdhsa_memory_ordered 1
		.amdhsa_forward_progress 1
		.amdhsa_inst_pref_size 0
		.amdhsa_round_robin_scheduling 0
		.amdhsa_exception_fp_ieee_invalid_op 0
		.amdhsa_exception_fp_denorm_src 0
		.amdhsa_exception_fp_ieee_div_zero 0
		.amdhsa_exception_fp_ieee_overflow 0
		.amdhsa_exception_fp_ieee_underflow 0
		.amdhsa_exception_fp_ieee_inexact 0
		.amdhsa_exception_int_div_zero 0
	.end_amdhsa_kernel
	.section	.text._ZN7rocprim17ROCPRIM_400000_NS6detail17trampoline_kernelINS0_14default_configENS1_21merge_config_selectorINS0_5tupleIJffEEENS0_10empty_typeEEEZNS1_10merge_implIS3_NS0_12zip_iteratorINS5_IJN6thrust23THRUST_200600_302600_NS6detail15normal_iteratorINSC_10device_ptrIKfEEEESI_EEEEESK_NSA_INS5_IJNSC_16discard_iteratorINSC_11use_defaultEEESN_EEEEEPS7_SQ_SQ_NSC_11hip_rocprim7__merge17predicate_wrapperIffNSC_4lessIfEEEEEE10hipError_tPvRmT0_T1_T2_T3_T4_T5_mmT6_P12ihipStream_tbEUlT_E_NS1_11comp_targetILNS1_3genE9ELNS1_11target_archE1100ELNS1_3gpuE3ELNS1_3repE0EEENS1_30default_config_static_selectorELNS0_4arch9wavefront6targetE0EEEvS11_,"axG",@progbits,_ZN7rocprim17ROCPRIM_400000_NS6detail17trampoline_kernelINS0_14default_configENS1_21merge_config_selectorINS0_5tupleIJffEEENS0_10empty_typeEEEZNS1_10merge_implIS3_NS0_12zip_iteratorINS5_IJN6thrust23THRUST_200600_302600_NS6detail15normal_iteratorINSC_10device_ptrIKfEEEESI_EEEEESK_NSA_INS5_IJNSC_16discard_iteratorINSC_11use_defaultEEESN_EEEEEPS7_SQ_SQ_NSC_11hip_rocprim7__merge17predicate_wrapperIffNSC_4lessIfEEEEEE10hipError_tPvRmT0_T1_T2_T3_T4_T5_mmT6_P12ihipStream_tbEUlT_E_NS1_11comp_targetILNS1_3genE9ELNS1_11target_archE1100ELNS1_3gpuE3ELNS1_3repE0EEENS1_30default_config_static_selectorELNS0_4arch9wavefront6targetE0EEEvS11_,comdat
.Lfunc_end504:
	.size	_ZN7rocprim17ROCPRIM_400000_NS6detail17trampoline_kernelINS0_14default_configENS1_21merge_config_selectorINS0_5tupleIJffEEENS0_10empty_typeEEEZNS1_10merge_implIS3_NS0_12zip_iteratorINS5_IJN6thrust23THRUST_200600_302600_NS6detail15normal_iteratorINSC_10device_ptrIKfEEEESI_EEEEESK_NSA_INS5_IJNSC_16discard_iteratorINSC_11use_defaultEEESN_EEEEEPS7_SQ_SQ_NSC_11hip_rocprim7__merge17predicate_wrapperIffNSC_4lessIfEEEEEE10hipError_tPvRmT0_T1_T2_T3_T4_T5_mmT6_P12ihipStream_tbEUlT_E_NS1_11comp_targetILNS1_3genE9ELNS1_11target_archE1100ELNS1_3gpuE3ELNS1_3repE0EEENS1_30default_config_static_selectorELNS0_4arch9wavefront6targetE0EEEvS11_, .Lfunc_end504-_ZN7rocprim17ROCPRIM_400000_NS6detail17trampoline_kernelINS0_14default_configENS1_21merge_config_selectorINS0_5tupleIJffEEENS0_10empty_typeEEEZNS1_10merge_implIS3_NS0_12zip_iteratorINS5_IJN6thrust23THRUST_200600_302600_NS6detail15normal_iteratorINSC_10device_ptrIKfEEEESI_EEEEESK_NSA_INS5_IJNSC_16discard_iteratorINSC_11use_defaultEEESN_EEEEEPS7_SQ_SQ_NSC_11hip_rocprim7__merge17predicate_wrapperIffNSC_4lessIfEEEEEE10hipError_tPvRmT0_T1_T2_T3_T4_T5_mmT6_P12ihipStream_tbEUlT_E_NS1_11comp_targetILNS1_3genE9ELNS1_11target_archE1100ELNS1_3gpuE3ELNS1_3repE0EEENS1_30default_config_static_selectorELNS0_4arch9wavefront6targetE0EEEvS11_
                                        ; -- End function
	.set _ZN7rocprim17ROCPRIM_400000_NS6detail17trampoline_kernelINS0_14default_configENS1_21merge_config_selectorINS0_5tupleIJffEEENS0_10empty_typeEEEZNS1_10merge_implIS3_NS0_12zip_iteratorINS5_IJN6thrust23THRUST_200600_302600_NS6detail15normal_iteratorINSC_10device_ptrIKfEEEESI_EEEEESK_NSA_INS5_IJNSC_16discard_iteratorINSC_11use_defaultEEESN_EEEEEPS7_SQ_SQ_NSC_11hip_rocprim7__merge17predicate_wrapperIffNSC_4lessIfEEEEEE10hipError_tPvRmT0_T1_T2_T3_T4_T5_mmT6_P12ihipStream_tbEUlT_E_NS1_11comp_targetILNS1_3genE9ELNS1_11target_archE1100ELNS1_3gpuE3ELNS1_3repE0EEENS1_30default_config_static_selectorELNS0_4arch9wavefront6targetE0EEEvS11_.num_vgpr, 0
	.set _ZN7rocprim17ROCPRIM_400000_NS6detail17trampoline_kernelINS0_14default_configENS1_21merge_config_selectorINS0_5tupleIJffEEENS0_10empty_typeEEEZNS1_10merge_implIS3_NS0_12zip_iteratorINS5_IJN6thrust23THRUST_200600_302600_NS6detail15normal_iteratorINSC_10device_ptrIKfEEEESI_EEEEESK_NSA_INS5_IJNSC_16discard_iteratorINSC_11use_defaultEEESN_EEEEEPS7_SQ_SQ_NSC_11hip_rocprim7__merge17predicate_wrapperIffNSC_4lessIfEEEEEE10hipError_tPvRmT0_T1_T2_T3_T4_T5_mmT6_P12ihipStream_tbEUlT_E_NS1_11comp_targetILNS1_3genE9ELNS1_11target_archE1100ELNS1_3gpuE3ELNS1_3repE0EEENS1_30default_config_static_selectorELNS0_4arch9wavefront6targetE0EEEvS11_.num_agpr, 0
	.set _ZN7rocprim17ROCPRIM_400000_NS6detail17trampoline_kernelINS0_14default_configENS1_21merge_config_selectorINS0_5tupleIJffEEENS0_10empty_typeEEEZNS1_10merge_implIS3_NS0_12zip_iteratorINS5_IJN6thrust23THRUST_200600_302600_NS6detail15normal_iteratorINSC_10device_ptrIKfEEEESI_EEEEESK_NSA_INS5_IJNSC_16discard_iteratorINSC_11use_defaultEEESN_EEEEEPS7_SQ_SQ_NSC_11hip_rocprim7__merge17predicate_wrapperIffNSC_4lessIfEEEEEE10hipError_tPvRmT0_T1_T2_T3_T4_T5_mmT6_P12ihipStream_tbEUlT_E_NS1_11comp_targetILNS1_3genE9ELNS1_11target_archE1100ELNS1_3gpuE3ELNS1_3repE0EEENS1_30default_config_static_selectorELNS0_4arch9wavefront6targetE0EEEvS11_.numbered_sgpr, 0
	.set _ZN7rocprim17ROCPRIM_400000_NS6detail17trampoline_kernelINS0_14default_configENS1_21merge_config_selectorINS0_5tupleIJffEEENS0_10empty_typeEEEZNS1_10merge_implIS3_NS0_12zip_iteratorINS5_IJN6thrust23THRUST_200600_302600_NS6detail15normal_iteratorINSC_10device_ptrIKfEEEESI_EEEEESK_NSA_INS5_IJNSC_16discard_iteratorINSC_11use_defaultEEESN_EEEEEPS7_SQ_SQ_NSC_11hip_rocprim7__merge17predicate_wrapperIffNSC_4lessIfEEEEEE10hipError_tPvRmT0_T1_T2_T3_T4_T5_mmT6_P12ihipStream_tbEUlT_E_NS1_11comp_targetILNS1_3genE9ELNS1_11target_archE1100ELNS1_3gpuE3ELNS1_3repE0EEENS1_30default_config_static_selectorELNS0_4arch9wavefront6targetE0EEEvS11_.num_named_barrier, 0
	.set _ZN7rocprim17ROCPRIM_400000_NS6detail17trampoline_kernelINS0_14default_configENS1_21merge_config_selectorINS0_5tupleIJffEEENS0_10empty_typeEEEZNS1_10merge_implIS3_NS0_12zip_iteratorINS5_IJN6thrust23THRUST_200600_302600_NS6detail15normal_iteratorINSC_10device_ptrIKfEEEESI_EEEEESK_NSA_INS5_IJNSC_16discard_iteratorINSC_11use_defaultEEESN_EEEEEPS7_SQ_SQ_NSC_11hip_rocprim7__merge17predicate_wrapperIffNSC_4lessIfEEEEEE10hipError_tPvRmT0_T1_T2_T3_T4_T5_mmT6_P12ihipStream_tbEUlT_E_NS1_11comp_targetILNS1_3genE9ELNS1_11target_archE1100ELNS1_3gpuE3ELNS1_3repE0EEENS1_30default_config_static_selectorELNS0_4arch9wavefront6targetE0EEEvS11_.private_seg_size, 0
	.set _ZN7rocprim17ROCPRIM_400000_NS6detail17trampoline_kernelINS0_14default_configENS1_21merge_config_selectorINS0_5tupleIJffEEENS0_10empty_typeEEEZNS1_10merge_implIS3_NS0_12zip_iteratorINS5_IJN6thrust23THRUST_200600_302600_NS6detail15normal_iteratorINSC_10device_ptrIKfEEEESI_EEEEESK_NSA_INS5_IJNSC_16discard_iteratorINSC_11use_defaultEEESN_EEEEEPS7_SQ_SQ_NSC_11hip_rocprim7__merge17predicate_wrapperIffNSC_4lessIfEEEEEE10hipError_tPvRmT0_T1_T2_T3_T4_T5_mmT6_P12ihipStream_tbEUlT_E_NS1_11comp_targetILNS1_3genE9ELNS1_11target_archE1100ELNS1_3gpuE3ELNS1_3repE0EEENS1_30default_config_static_selectorELNS0_4arch9wavefront6targetE0EEEvS11_.uses_vcc, 0
	.set _ZN7rocprim17ROCPRIM_400000_NS6detail17trampoline_kernelINS0_14default_configENS1_21merge_config_selectorINS0_5tupleIJffEEENS0_10empty_typeEEEZNS1_10merge_implIS3_NS0_12zip_iteratorINS5_IJN6thrust23THRUST_200600_302600_NS6detail15normal_iteratorINSC_10device_ptrIKfEEEESI_EEEEESK_NSA_INS5_IJNSC_16discard_iteratorINSC_11use_defaultEEESN_EEEEEPS7_SQ_SQ_NSC_11hip_rocprim7__merge17predicate_wrapperIffNSC_4lessIfEEEEEE10hipError_tPvRmT0_T1_T2_T3_T4_T5_mmT6_P12ihipStream_tbEUlT_E_NS1_11comp_targetILNS1_3genE9ELNS1_11target_archE1100ELNS1_3gpuE3ELNS1_3repE0EEENS1_30default_config_static_selectorELNS0_4arch9wavefront6targetE0EEEvS11_.uses_flat_scratch, 0
	.set _ZN7rocprim17ROCPRIM_400000_NS6detail17trampoline_kernelINS0_14default_configENS1_21merge_config_selectorINS0_5tupleIJffEEENS0_10empty_typeEEEZNS1_10merge_implIS3_NS0_12zip_iteratorINS5_IJN6thrust23THRUST_200600_302600_NS6detail15normal_iteratorINSC_10device_ptrIKfEEEESI_EEEEESK_NSA_INS5_IJNSC_16discard_iteratorINSC_11use_defaultEEESN_EEEEEPS7_SQ_SQ_NSC_11hip_rocprim7__merge17predicate_wrapperIffNSC_4lessIfEEEEEE10hipError_tPvRmT0_T1_T2_T3_T4_T5_mmT6_P12ihipStream_tbEUlT_E_NS1_11comp_targetILNS1_3genE9ELNS1_11target_archE1100ELNS1_3gpuE3ELNS1_3repE0EEENS1_30default_config_static_selectorELNS0_4arch9wavefront6targetE0EEEvS11_.has_dyn_sized_stack, 0
	.set _ZN7rocprim17ROCPRIM_400000_NS6detail17trampoline_kernelINS0_14default_configENS1_21merge_config_selectorINS0_5tupleIJffEEENS0_10empty_typeEEEZNS1_10merge_implIS3_NS0_12zip_iteratorINS5_IJN6thrust23THRUST_200600_302600_NS6detail15normal_iteratorINSC_10device_ptrIKfEEEESI_EEEEESK_NSA_INS5_IJNSC_16discard_iteratorINSC_11use_defaultEEESN_EEEEEPS7_SQ_SQ_NSC_11hip_rocprim7__merge17predicate_wrapperIffNSC_4lessIfEEEEEE10hipError_tPvRmT0_T1_T2_T3_T4_T5_mmT6_P12ihipStream_tbEUlT_E_NS1_11comp_targetILNS1_3genE9ELNS1_11target_archE1100ELNS1_3gpuE3ELNS1_3repE0EEENS1_30default_config_static_selectorELNS0_4arch9wavefront6targetE0EEEvS11_.has_recursion, 0
	.set _ZN7rocprim17ROCPRIM_400000_NS6detail17trampoline_kernelINS0_14default_configENS1_21merge_config_selectorINS0_5tupleIJffEEENS0_10empty_typeEEEZNS1_10merge_implIS3_NS0_12zip_iteratorINS5_IJN6thrust23THRUST_200600_302600_NS6detail15normal_iteratorINSC_10device_ptrIKfEEEESI_EEEEESK_NSA_INS5_IJNSC_16discard_iteratorINSC_11use_defaultEEESN_EEEEEPS7_SQ_SQ_NSC_11hip_rocprim7__merge17predicate_wrapperIffNSC_4lessIfEEEEEE10hipError_tPvRmT0_T1_T2_T3_T4_T5_mmT6_P12ihipStream_tbEUlT_E_NS1_11comp_targetILNS1_3genE9ELNS1_11target_archE1100ELNS1_3gpuE3ELNS1_3repE0EEENS1_30default_config_static_selectorELNS0_4arch9wavefront6targetE0EEEvS11_.has_indirect_call, 0
	.section	.AMDGPU.csdata,"",@progbits
; Kernel info:
; codeLenInByte = 0
; TotalNumSgprs: 0
; NumVgprs: 0
; ScratchSize: 0
; MemoryBound: 0
; FloatMode: 240
; IeeeMode: 1
; LDSByteSize: 0 bytes/workgroup (compile time only)
; SGPRBlocks: 0
; VGPRBlocks: 0
; NumSGPRsForWavesPerEU: 1
; NumVGPRsForWavesPerEU: 1
; NamedBarCnt: 0
; Occupancy: 16
; WaveLimiterHint : 0
; COMPUTE_PGM_RSRC2:SCRATCH_EN: 0
; COMPUTE_PGM_RSRC2:USER_SGPR: 2
; COMPUTE_PGM_RSRC2:TRAP_HANDLER: 0
; COMPUTE_PGM_RSRC2:TGID_X_EN: 1
; COMPUTE_PGM_RSRC2:TGID_Y_EN: 0
; COMPUTE_PGM_RSRC2:TGID_Z_EN: 0
; COMPUTE_PGM_RSRC2:TIDIG_COMP_CNT: 0
	.section	.text._ZN7rocprim17ROCPRIM_400000_NS6detail17trampoline_kernelINS0_14default_configENS1_21merge_config_selectorINS0_5tupleIJffEEENS0_10empty_typeEEEZNS1_10merge_implIS3_NS0_12zip_iteratorINS5_IJN6thrust23THRUST_200600_302600_NS6detail15normal_iteratorINSC_10device_ptrIKfEEEESI_EEEEESK_NSA_INS5_IJNSC_16discard_iteratorINSC_11use_defaultEEESN_EEEEEPS7_SQ_SQ_NSC_11hip_rocprim7__merge17predicate_wrapperIffNSC_4lessIfEEEEEE10hipError_tPvRmT0_T1_T2_T3_T4_T5_mmT6_P12ihipStream_tbEUlT_E_NS1_11comp_targetILNS1_3genE8ELNS1_11target_archE1030ELNS1_3gpuE2ELNS1_3repE0EEENS1_30default_config_static_selectorELNS0_4arch9wavefront6targetE0EEEvS11_,"axG",@progbits,_ZN7rocprim17ROCPRIM_400000_NS6detail17trampoline_kernelINS0_14default_configENS1_21merge_config_selectorINS0_5tupleIJffEEENS0_10empty_typeEEEZNS1_10merge_implIS3_NS0_12zip_iteratorINS5_IJN6thrust23THRUST_200600_302600_NS6detail15normal_iteratorINSC_10device_ptrIKfEEEESI_EEEEESK_NSA_INS5_IJNSC_16discard_iteratorINSC_11use_defaultEEESN_EEEEEPS7_SQ_SQ_NSC_11hip_rocprim7__merge17predicate_wrapperIffNSC_4lessIfEEEEEE10hipError_tPvRmT0_T1_T2_T3_T4_T5_mmT6_P12ihipStream_tbEUlT_E_NS1_11comp_targetILNS1_3genE8ELNS1_11target_archE1030ELNS1_3gpuE2ELNS1_3repE0EEENS1_30default_config_static_selectorELNS0_4arch9wavefront6targetE0EEEvS11_,comdat
	.protected	_ZN7rocprim17ROCPRIM_400000_NS6detail17trampoline_kernelINS0_14default_configENS1_21merge_config_selectorINS0_5tupleIJffEEENS0_10empty_typeEEEZNS1_10merge_implIS3_NS0_12zip_iteratorINS5_IJN6thrust23THRUST_200600_302600_NS6detail15normal_iteratorINSC_10device_ptrIKfEEEESI_EEEEESK_NSA_INS5_IJNSC_16discard_iteratorINSC_11use_defaultEEESN_EEEEEPS7_SQ_SQ_NSC_11hip_rocprim7__merge17predicate_wrapperIffNSC_4lessIfEEEEEE10hipError_tPvRmT0_T1_T2_T3_T4_T5_mmT6_P12ihipStream_tbEUlT_E_NS1_11comp_targetILNS1_3genE8ELNS1_11target_archE1030ELNS1_3gpuE2ELNS1_3repE0EEENS1_30default_config_static_selectorELNS0_4arch9wavefront6targetE0EEEvS11_ ; -- Begin function _ZN7rocprim17ROCPRIM_400000_NS6detail17trampoline_kernelINS0_14default_configENS1_21merge_config_selectorINS0_5tupleIJffEEENS0_10empty_typeEEEZNS1_10merge_implIS3_NS0_12zip_iteratorINS5_IJN6thrust23THRUST_200600_302600_NS6detail15normal_iteratorINSC_10device_ptrIKfEEEESI_EEEEESK_NSA_INS5_IJNSC_16discard_iteratorINSC_11use_defaultEEESN_EEEEEPS7_SQ_SQ_NSC_11hip_rocprim7__merge17predicate_wrapperIffNSC_4lessIfEEEEEE10hipError_tPvRmT0_T1_T2_T3_T4_T5_mmT6_P12ihipStream_tbEUlT_E_NS1_11comp_targetILNS1_3genE8ELNS1_11target_archE1030ELNS1_3gpuE2ELNS1_3repE0EEENS1_30default_config_static_selectorELNS0_4arch9wavefront6targetE0EEEvS11_
	.globl	_ZN7rocprim17ROCPRIM_400000_NS6detail17trampoline_kernelINS0_14default_configENS1_21merge_config_selectorINS0_5tupleIJffEEENS0_10empty_typeEEEZNS1_10merge_implIS3_NS0_12zip_iteratorINS5_IJN6thrust23THRUST_200600_302600_NS6detail15normal_iteratorINSC_10device_ptrIKfEEEESI_EEEEESK_NSA_INS5_IJNSC_16discard_iteratorINSC_11use_defaultEEESN_EEEEEPS7_SQ_SQ_NSC_11hip_rocprim7__merge17predicate_wrapperIffNSC_4lessIfEEEEEE10hipError_tPvRmT0_T1_T2_T3_T4_T5_mmT6_P12ihipStream_tbEUlT_E_NS1_11comp_targetILNS1_3genE8ELNS1_11target_archE1030ELNS1_3gpuE2ELNS1_3repE0EEENS1_30default_config_static_selectorELNS0_4arch9wavefront6targetE0EEEvS11_
	.p2align	8
	.type	_ZN7rocprim17ROCPRIM_400000_NS6detail17trampoline_kernelINS0_14default_configENS1_21merge_config_selectorINS0_5tupleIJffEEENS0_10empty_typeEEEZNS1_10merge_implIS3_NS0_12zip_iteratorINS5_IJN6thrust23THRUST_200600_302600_NS6detail15normal_iteratorINSC_10device_ptrIKfEEEESI_EEEEESK_NSA_INS5_IJNSC_16discard_iteratorINSC_11use_defaultEEESN_EEEEEPS7_SQ_SQ_NSC_11hip_rocprim7__merge17predicate_wrapperIffNSC_4lessIfEEEEEE10hipError_tPvRmT0_T1_T2_T3_T4_T5_mmT6_P12ihipStream_tbEUlT_E_NS1_11comp_targetILNS1_3genE8ELNS1_11target_archE1030ELNS1_3gpuE2ELNS1_3repE0EEENS1_30default_config_static_selectorELNS0_4arch9wavefront6targetE0EEEvS11_,@function
_ZN7rocprim17ROCPRIM_400000_NS6detail17trampoline_kernelINS0_14default_configENS1_21merge_config_selectorINS0_5tupleIJffEEENS0_10empty_typeEEEZNS1_10merge_implIS3_NS0_12zip_iteratorINS5_IJN6thrust23THRUST_200600_302600_NS6detail15normal_iteratorINSC_10device_ptrIKfEEEESI_EEEEESK_NSA_INS5_IJNSC_16discard_iteratorINSC_11use_defaultEEESN_EEEEEPS7_SQ_SQ_NSC_11hip_rocprim7__merge17predicate_wrapperIffNSC_4lessIfEEEEEE10hipError_tPvRmT0_T1_T2_T3_T4_T5_mmT6_P12ihipStream_tbEUlT_E_NS1_11comp_targetILNS1_3genE8ELNS1_11target_archE1030ELNS1_3gpuE2ELNS1_3repE0EEENS1_30default_config_static_selectorELNS0_4arch9wavefront6targetE0EEEvS11_: ; @_ZN7rocprim17ROCPRIM_400000_NS6detail17trampoline_kernelINS0_14default_configENS1_21merge_config_selectorINS0_5tupleIJffEEENS0_10empty_typeEEEZNS1_10merge_implIS3_NS0_12zip_iteratorINS5_IJN6thrust23THRUST_200600_302600_NS6detail15normal_iteratorINSC_10device_ptrIKfEEEESI_EEEEESK_NSA_INS5_IJNSC_16discard_iteratorINSC_11use_defaultEEESN_EEEEEPS7_SQ_SQ_NSC_11hip_rocprim7__merge17predicate_wrapperIffNSC_4lessIfEEEEEE10hipError_tPvRmT0_T1_T2_T3_T4_T5_mmT6_P12ihipStream_tbEUlT_E_NS1_11comp_targetILNS1_3genE8ELNS1_11target_archE1030ELNS1_3gpuE2ELNS1_3repE0EEENS1_30default_config_static_selectorELNS0_4arch9wavefront6targetE0EEEvS11_
; %bb.0:
	.section	.rodata,"a",@progbits
	.p2align	6, 0x0
	.amdhsa_kernel _ZN7rocprim17ROCPRIM_400000_NS6detail17trampoline_kernelINS0_14default_configENS1_21merge_config_selectorINS0_5tupleIJffEEENS0_10empty_typeEEEZNS1_10merge_implIS3_NS0_12zip_iteratorINS5_IJN6thrust23THRUST_200600_302600_NS6detail15normal_iteratorINSC_10device_ptrIKfEEEESI_EEEEESK_NSA_INS5_IJNSC_16discard_iteratorINSC_11use_defaultEEESN_EEEEEPS7_SQ_SQ_NSC_11hip_rocprim7__merge17predicate_wrapperIffNSC_4lessIfEEEEEE10hipError_tPvRmT0_T1_T2_T3_T4_T5_mmT6_P12ihipStream_tbEUlT_E_NS1_11comp_targetILNS1_3genE8ELNS1_11target_archE1030ELNS1_3gpuE2ELNS1_3repE0EEENS1_30default_config_static_selectorELNS0_4arch9wavefront6targetE0EEEvS11_
		.amdhsa_group_segment_fixed_size 0
		.amdhsa_private_segment_fixed_size 0
		.amdhsa_kernarg_size 64
		.amdhsa_user_sgpr_count 2
		.amdhsa_user_sgpr_dispatch_ptr 0
		.amdhsa_user_sgpr_queue_ptr 0
		.amdhsa_user_sgpr_kernarg_segment_ptr 1
		.amdhsa_user_sgpr_dispatch_id 0
		.amdhsa_user_sgpr_kernarg_preload_length 0
		.amdhsa_user_sgpr_kernarg_preload_offset 0
		.amdhsa_user_sgpr_private_segment_size 0
		.amdhsa_wavefront_size32 1
		.amdhsa_uses_dynamic_stack 0
		.amdhsa_enable_private_segment 0
		.amdhsa_system_sgpr_workgroup_id_x 1
		.amdhsa_system_sgpr_workgroup_id_y 0
		.amdhsa_system_sgpr_workgroup_id_z 0
		.amdhsa_system_sgpr_workgroup_info 0
		.amdhsa_system_vgpr_workitem_id 0
		.amdhsa_next_free_vgpr 1
		.amdhsa_next_free_sgpr 1
		.amdhsa_named_barrier_count 0
		.amdhsa_reserve_vcc 0
		.amdhsa_float_round_mode_32 0
		.amdhsa_float_round_mode_16_64 0
		.amdhsa_float_denorm_mode_32 3
		.amdhsa_float_denorm_mode_16_64 3
		.amdhsa_fp16_overflow 0
		.amdhsa_memory_ordered 1
		.amdhsa_forward_progress 1
		.amdhsa_inst_pref_size 0
		.amdhsa_round_robin_scheduling 0
		.amdhsa_exception_fp_ieee_invalid_op 0
		.amdhsa_exception_fp_denorm_src 0
		.amdhsa_exception_fp_ieee_div_zero 0
		.amdhsa_exception_fp_ieee_overflow 0
		.amdhsa_exception_fp_ieee_underflow 0
		.amdhsa_exception_fp_ieee_inexact 0
		.amdhsa_exception_int_div_zero 0
	.end_amdhsa_kernel
	.section	.text._ZN7rocprim17ROCPRIM_400000_NS6detail17trampoline_kernelINS0_14default_configENS1_21merge_config_selectorINS0_5tupleIJffEEENS0_10empty_typeEEEZNS1_10merge_implIS3_NS0_12zip_iteratorINS5_IJN6thrust23THRUST_200600_302600_NS6detail15normal_iteratorINSC_10device_ptrIKfEEEESI_EEEEESK_NSA_INS5_IJNSC_16discard_iteratorINSC_11use_defaultEEESN_EEEEEPS7_SQ_SQ_NSC_11hip_rocprim7__merge17predicate_wrapperIffNSC_4lessIfEEEEEE10hipError_tPvRmT0_T1_T2_T3_T4_T5_mmT6_P12ihipStream_tbEUlT_E_NS1_11comp_targetILNS1_3genE8ELNS1_11target_archE1030ELNS1_3gpuE2ELNS1_3repE0EEENS1_30default_config_static_selectorELNS0_4arch9wavefront6targetE0EEEvS11_,"axG",@progbits,_ZN7rocprim17ROCPRIM_400000_NS6detail17trampoline_kernelINS0_14default_configENS1_21merge_config_selectorINS0_5tupleIJffEEENS0_10empty_typeEEEZNS1_10merge_implIS3_NS0_12zip_iteratorINS5_IJN6thrust23THRUST_200600_302600_NS6detail15normal_iteratorINSC_10device_ptrIKfEEEESI_EEEEESK_NSA_INS5_IJNSC_16discard_iteratorINSC_11use_defaultEEESN_EEEEEPS7_SQ_SQ_NSC_11hip_rocprim7__merge17predicate_wrapperIffNSC_4lessIfEEEEEE10hipError_tPvRmT0_T1_T2_T3_T4_T5_mmT6_P12ihipStream_tbEUlT_E_NS1_11comp_targetILNS1_3genE8ELNS1_11target_archE1030ELNS1_3gpuE2ELNS1_3repE0EEENS1_30default_config_static_selectorELNS0_4arch9wavefront6targetE0EEEvS11_,comdat
.Lfunc_end505:
	.size	_ZN7rocprim17ROCPRIM_400000_NS6detail17trampoline_kernelINS0_14default_configENS1_21merge_config_selectorINS0_5tupleIJffEEENS0_10empty_typeEEEZNS1_10merge_implIS3_NS0_12zip_iteratorINS5_IJN6thrust23THRUST_200600_302600_NS6detail15normal_iteratorINSC_10device_ptrIKfEEEESI_EEEEESK_NSA_INS5_IJNSC_16discard_iteratorINSC_11use_defaultEEESN_EEEEEPS7_SQ_SQ_NSC_11hip_rocprim7__merge17predicate_wrapperIffNSC_4lessIfEEEEEE10hipError_tPvRmT0_T1_T2_T3_T4_T5_mmT6_P12ihipStream_tbEUlT_E_NS1_11comp_targetILNS1_3genE8ELNS1_11target_archE1030ELNS1_3gpuE2ELNS1_3repE0EEENS1_30default_config_static_selectorELNS0_4arch9wavefront6targetE0EEEvS11_, .Lfunc_end505-_ZN7rocprim17ROCPRIM_400000_NS6detail17trampoline_kernelINS0_14default_configENS1_21merge_config_selectorINS0_5tupleIJffEEENS0_10empty_typeEEEZNS1_10merge_implIS3_NS0_12zip_iteratorINS5_IJN6thrust23THRUST_200600_302600_NS6detail15normal_iteratorINSC_10device_ptrIKfEEEESI_EEEEESK_NSA_INS5_IJNSC_16discard_iteratorINSC_11use_defaultEEESN_EEEEEPS7_SQ_SQ_NSC_11hip_rocprim7__merge17predicate_wrapperIffNSC_4lessIfEEEEEE10hipError_tPvRmT0_T1_T2_T3_T4_T5_mmT6_P12ihipStream_tbEUlT_E_NS1_11comp_targetILNS1_3genE8ELNS1_11target_archE1030ELNS1_3gpuE2ELNS1_3repE0EEENS1_30default_config_static_selectorELNS0_4arch9wavefront6targetE0EEEvS11_
                                        ; -- End function
	.set _ZN7rocprim17ROCPRIM_400000_NS6detail17trampoline_kernelINS0_14default_configENS1_21merge_config_selectorINS0_5tupleIJffEEENS0_10empty_typeEEEZNS1_10merge_implIS3_NS0_12zip_iteratorINS5_IJN6thrust23THRUST_200600_302600_NS6detail15normal_iteratorINSC_10device_ptrIKfEEEESI_EEEEESK_NSA_INS5_IJNSC_16discard_iteratorINSC_11use_defaultEEESN_EEEEEPS7_SQ_SQ_NSC_11hip_rocprim7__merge17predicate_wrapperIffNSC_4lessIfEEEEEE10hipError_tPvRmT0_T1_T2_T3_T4_T5_mmT6_P12ihipStream_tbEUlT_E_NS1_11comp_targetILNS1_3genE8ELNS1_11target_archE1030ELNS1_3gpuE2ELNS1_3repE0EEENS1_30default_config_static_selectorELNS0_4arch9wavefront6targetE0EEEvS11_.num_vgpr, 0
	.set _ZN7rocprim17ROCPRIM_400000_NS6detail17trampoline_kernelINS0_14default_configENS1_21merge_config_selectorINS0_5tupleIJffEEENS0_10empty_typeEEEZNS1_10merge_implIS3_NS0_12zip_iteratorINS5_IJN6thrust23THRUST_200600_302600_NS6detail15normal_iteratorINSC_10device_ptrIKfEEEESI_EEEEESK_NSA_INS5_IJNSC_16discard_iteratorINSC_11use_defaultEEESN_EEEEEPS7_SQ_SQ_NSC_11hip_rocprim7__merge17predicate_wrapperIffNSC_4lessIfEEEEEE10hipError_tPvRmT0_T1_T2_T3_T4_T5_mmT6_P12ihipStream_tbEUlT_E_NS1_11comp_targetILNS1_3genE8ELNS1_11target_archE1030ELNS1_3gpuE2ELNS1_3repE0EEENS1_30default_config_static_selectorELNS0_4arch9wavefront6targetE0EEEvS11_.num_agpr, 0
	.set _ZN7rocprim17ROCPRIM_400000_NS6detail17trampoline_kernelINS0_14default_configENS1_21merge_config_selectorINS0_5tupleIJffEEENS0_10empty_typeEEEZNS1_10merge_implIS3_NS0_12zip_iteratorINS5_IJN6thrust23THRUST_200600_302600_NS6detail15normal_iteratorINSC_10device_ptrIKfEEEESI_EEEEESK_NSA_INS5_IJNSC_16discard_iteratorINSC_11use_defaultEEESN_EEEEEPS7_SQ_SQ_NSC_11hip_rocprim7__merge17predicate_wrapperIffNSC_4lessIfEEEEEE10hipError_tPvRmT0_T1_T2_T3_T4_T5_mmT6_P12ihipStream_tbEUlT_E_NS1_11comp_targetILNS1_3genE8ELNS1_11target_archE1030ELNS1_3gpuE2ELNS1_3repE0EEENS1_30default_config_static_selectorELNS0_4arch9wavefront6targetE0EEEvS11_.numbered_sgpr, 0
	.set _ZN7rocprim17ROCPRIM_400000_NS6detail17trampoline_kernelINS0_14default_configENS1_21merge_config_selectorINS0_5tupleIJffEEENS0_10empty_typeEEEZNS1_10merge_implIS3_NS0_12zip_iteratorINS5_IJN6thrust23THRUST_200600_302600_NS6detail15normal_iteratorINSC_10device_ptrIKfEEEESI_EEEEESK_NSA_INS5_IJNSC_16discard_iteratorINSC_11use_defaultEEESN_EEEEEPS7_SQ_SQ_NSC_11hip_rocprim7__merge17predicate_wrapperIffNSC_4lessIfEEEEEE10hipError_tPvRmT0_T1_T2_T3_T4_T5_mmT6_P12ihipStream_tbEUlT_E_NS1_11comp_targetILNS1_3genE8ELNS1_11target_archE1030ELNS1_3gpuE2ELNS1_3repE0EEENS1_30default_config_static_selectorELNS0_4arch9wavefront6targetE0EEEvS11_.num_named_barrier, 0
	.set _ZN7rocprim17ROCPRIM_400000_NS6detail17trampoline_kernelINS0_14default_configENS1_21merge_config_selectorINS0_5tupleIJffEEENS0_10empty_typeEEEZNS1_10merge_implIS3_NS0_12zip_iteratorINS5_IJN6thrust23THRUST_200600_302600_NS6detail15normal_iteratorINSC_10device_ptrIKfEEEESI_EEEEESK_NSA_INS5_IJNSC_16discard_iteratorINSC_11use_defaultEEESN_EEEEEPS7_SQ_SQ_NSC_11hip_rocprim7__merge17predicate_wrapperIffNSC_4lessIfEEEEEE10hipError_tPvRmT0_T1_T2_T3_T4_T5_mmT6_P12ihipStream_tbEUlT_E_NS1_11comp_targetILNS1_3genE8ELNS1_11target_archE1030ELNS1_3gpuE2ELNS1_3repE0EEENS1_30default_config_static_selectorELNS0_4arch9wavefront6targetE0EEEvS11_.private_seg_size, 0
	.set _ZN7rocprim17ROCPRIM_400000_NS6detail17trampoline_kernelINS0_14default_configENS1_21merge_config_selectorINS0_5tupleIJffEEENS0_10empty_typeEEEZNS1_10merge_implIS3_NS0_12zip_iteratorINS5_IJN6thrust23THRUST_200600_302600_NS6detail15normal_iteratorINSC_10device_ptrIKfEEEESI_EEEEESK_NSA_INS5_IJNSC_16discard_iteratorINSC_11use_defaultEEESN_EEEEEPS7_SQ_SQ_NSC_11hip_rocprim7__merge17predicate_wrapperIffNSC_4lessIfEEEEEE10hipError_tPvRmT0_T1_T2_T3_T4_T5_mmT6_P12ihipStream_tbEUlT_E_NS1_11comp_targetILNS1_3genE8ELNS1_11target_archE1030ELNS1_3gpuE2ELNS1_3repE0EEENS1_30default_config_static_selectorELNS0_4arch9wavefront6targetE0EEEvS11_.uses_vcc, 0
	.set _ZN7rocprim17ROCPRIM_400000_NS6detail17trampoline_kernelINS0_14default_configENS1_21merge_config_selectorINS0_5tupleIJffEEENS0_10empty_typeEEEZNS1_10merge_implIS3_NS0_12zip_iteratorINS5_IJN6thrust23THRUST_200600_302600_NS6detail15normal_iteratorINSC_10device_ptrIKfEEEESI_EEEEESK_NSA_INS5_IJNSC_16discard_iteratorINSC_11use_defaultEEESN_EEEEEPS7_SQ_SQ_NSC_11hip_rocprim7__merge17predicate_wrapperIffNSC_4lessIfEEEEEE10hipError_tPvRmT0_T1_T2_T3_T4_T5_mmT6_P12ihipStream_tbEUlT_E_NS1_11comp_targetILNS1_3genE8ELNS1_11target_archE1030ELNS1_3gpuE2ELNS1_3repE0EEENS1_30default_config_static_selectorELNS0_4arch9wavefront6targetE0EEEvS11_.uses_flat_scratch, 0
	.set _ZN7rocprim17ROCPRIM_400000_NS6detail17trampoline_kernelINS0_14default_configENS1_21merge_config_selectorINS0_5tupleIJffEEENS0_10empty_typeEEEZNS1_10merge_implIS3_NS0_12zip_iteratorINS5_IJN6thrust23THRUST_200600_302600_NS6detail15normal_iteratorINSC_10device_ptrIKfEEEESI_EEEEESK_NSA_INS5_IJNSC_16discard_iteratorINSC_11use_defaultEEESN_EEEEEPS7_SQ_SQ_NSC_11hip_rocprim7__merge17predicate_wrapperIffNSC_4lessIfEEEEEE10hipError_tPvRmT0_T1_T2_T3_T4_T5_mmT6_P12ihipStream_tbEUlT_E_NS1_11comp_targetILNS1_3genE8ELNS1_11target_archE1030ELNS1_3gpuE2ELNS1_3repE0EEENS1_30default_config_static_selectorELNS0_4arch9wavefront6targetE0EEEvS11_.has_dyn_sized_stack, 0
	.set _ZN7rocprim17ROCPRIM_400000_NS6detail17trampoline_kernelINS0_14default_configENS1_21merge_config_selectorINS0_5tupleIJffEEENS0_10empty_typeEEEZNS1_10merge_implIS3_NS0_12zip_iteratorINS5_IJN6thrust23THRUST_200600_302600_NS6detail15normal_iteratorINSC_10device_ptrIKfEEEESI_EEEEESK_NSA_INS5_IJNSC_16discard_iteratorINSC_11use_defaultEEESN_EEEEEPS7_SQ_SQ_NSC_11hip_rocprim7__merge17predicate_wrapperIffNSC_4lessIfEEEEEE10hipError_tPvRmT0_T1_T2_T3_T4_T5_mmT6_P12ihipStream_tbEUlT_E_NS1_11comp_targetILNS1_3genE8ELNS1_11target_archE1030ELNS1_3gpuE2ELNS1_3repE0EEENS1_30default_config_static_selectorELNS0_4arch9wavefront6targetE0EEEvS11_.has_recursion, 0
	.set _ZN7rocprim17ROCPRIM_400000_NS6detail17trampoline_kernelINS0_14default_configENS1_21merge_config_selectorINS0_5tupleIJffEEENS0_10empty_typeEEEZNS1_10merge_implIS3_NS0_12zip_iteratorINS5_IJN6thrust23THRUST_200600_302600_NS6detail15normal_iteratorINSC_10device_ptrIKfEEEESI_EEEEESK_NSA_INS5_IJNSC_16discard_iteratorINSC_11use_defaultEEESN_EEEEEPS7_SQ_SQ_NSC_11hip_rocprim7__merge17predicate_wrapperIffNSC_4lessIfEEEEEE10hipError_tPvRmT0_T1_T2_T3_T4_T5_mmT6_P12ihipStream_tbEUlT_E_NS1_11comp_targetILNS1_3genE8ELNS1_11target_archE1030ELNS1_3gpuE2ELNS1_3repE0EEENS1_30default_config_static_selectorELNS0_4arch9wavefront6targetE0EEEvS11_.has_indirect_call, 0
	.section	.AMDGPU.csdata,"",@progbits
; Kernel info:
; codeLenInByte = 0
; TotalNumSgprs: 0
; NumVgprs: 0
; ScratchSize: 0
; MemoryBound: 0
; FloatMode: 240
; IeeeMode: 1
; LDSByteSize: 0 bytes/workgroup (compile time only)
; SGPRBlocks: 0
; VGPRBlocks: 0
; NumSGPRsForWavesPerEU: 1
; NumVGPRsForWavesPerEU: 1
; NamedBarCnt: 0
; Occupancy: 16
; WaveLimiterHint : 0
; COMPUTE_PGM_RSRC2:SCRATCH_EN: 0
; COMPUTE_PGM_RSRC2:USER_SGPR: 2
; COMPUTE_PGM_RSRC2:TRAP_HANDLER: 0
; COMPUTE_PGM_RSRC2:TGID_X_EN: 1
; COMPUTE_PGM_RSRC2:TGID_Y_EN: 0
; COMPUTE_PGM_RSRC2:TGID_Z_EN: 0
; COMPUTE_PGM_RSRC2:TIDIG_COMP_CNT: 0
	.section	.text._ZN7rocprim17ROCPRIM_400000_NS6detail17trampoline_kernelINS0_14default_configENS1_21merge_config_selectorINS0_5tupleIJffEEENS0_10empty_typeEEEZNS1_10merge_implIS3_NS0_12zip_iteratorINS5_IJN6thrust23THRUST_200600_302600_NS6detail15normal_iteratorINSC_10device_ptrIKfEEEESI_EEEEESK_NSA_INS5_IJNSC_16discard_iteratorINSC_11use_defaultEEESN_EEEEEPS7_SQ_SQ_NSC_11hip_rocprim7__merge17predicate_wrapperIffNSC_4lessIfEEEEEE10hipError_tPvRmT0_T1_T2_T3_T4_T5_mmT6_P12ihipStream_tbEUlT_E0_NS1_11comp_targetILNS1_3genE0ELNS1_11target_archE4294967295ELNS1_3gpuE0ELNS1_3repE0EEENS1_30default_config_static_selectorELNS0_4arch9wavefront6targetE0EEEvS11_,"axG",@progbits,_ZN7rocprim17ROCPRIM_400000_NS6detail17trampoline_kernelINS0_14default_configENS1_21merge_config_selectorINS0_5tupleIJffEEENS0_10empty_typeEEEZNS1_10merge_implIS3_NS0_12zip_iteratorINS5_IJN6thrust23THRUST_200600_302600_NS6detail15normal_iteratorINSC_10device_ptrIKfEEEESI_EEEEESK_NSA_INS5_IJNSC_16discard_iteratorINSC_11use_defaultEEESN_EEEEEPS7_SQ_SQ_NSC_11hip_rocprim7__merge17predicate_wrapperIffNSC_4lessIfEEEEEE10hipError_tPvRmT0_T1_T2_T3_T4_T5_mmT6_P12ihipStream_tbEUlT_E0_NS1_11comp_targetILNS1_3genE0ELNS1_11target_archE4294967295ELNS1_3gpuE0ELNS1_3repE0EEENS1_30default_config_static_selectorELNS0_4arch9wavefront6targetE0EEEvS11_,comdat
	.protected	_ZN7rocprim17ROCPRIM_400000_NS6detail17trampoline_kernelINS0_14default_configENS1_21merge_config_selectorINS0_5tupleIJffEEENS0_10empty_typeEEEZNS1_10merge_implIS3_NS0_12zip_iteratorINS5_IJN6thrust23THRUST_200600_302600_NS6detail15normal_iteratorINSC_10device_ptrIKfEEEESI_EEEEESK_NSA_INS5_IJNSC_16discard_iteratorINSC_11use_defaultEEESN_EEEEEPS7_SQ_SQ_NSC_11hip_rocprim7__merge17predicate_wrapperIffNSC_4lessIfEEEEEE10hipError_tPvRmT0_T1_T2_T3_T4_T5_mmT6_P12ihipStream_tbEUlT_E0_NS1_11comp_targetILNS1_3genE0ELNS1_11target_archE4294967295ELNS1_3gpuE0ELNS1_3repE0EEENS1_30default_config_static_selectorELNS0_4arch9wavefront6targetE0EEEvS11_ ; -- Begin function _ZN7rocprim17ROCPRIM_400000_NS6detail17trampoline_kernelINS0_14default_configENS1_21merge_config_selectorINS0_5tupleIJffEEENS0_10empty_typeEEEZNS1_10merge_implIS3_NS0_12zip_iteratorINS5_IJN6thrust23THRUST_200600_302600_NS6detail15normal_iteratorINSC_10device_ptrIKfEEEESI_EEEEESK_NSA_INS5_IJNSC_16discard_iteratorINSC_11use_defaultEEESN_EEEEEPS7_SQ_SQ_NSC_11hip_rocprim7__merge17predicate_wrapperIffNSC_4lessIfEEEEEE10hipError_tPvRmT0_T1_T2_T3_T4_T5_mmT6_P12ihipStream_tbEUlT_E0_NS1_11comp_targetILNS1_3genE0ELNS1_11target_archE4294967295ELNS1_3gpuE0ELNS1_3repE0EEENS1_30default_config_static_selectorELNS0_4arch9wavefront6targetE0EEEvS11_
	.globl	_ZN7rocprim17ROCPRIM_400000_NS6detail17trampoline_kernelINS0_14default_configENS1_21merge_config_selectorINS0_5tupleIJffEEENS0_10empty_typeEEEZNS1_10merge_implIS3_NS0_12zip_iteratorINS5_IJN6thrust23THRUST_200600_302600_NS6detail15normal_iteratorINSC_10device_ptrIKfEEEESI_EEEEESK_NSA_INS5_IJNSC_16discard_iteratorINSC_11use_defaultEEESN_EEEEEPS7_SQ_SQ_NSC_11hip_rocprim7__merge17predicate_wrapperIffNSC_4lessIfEEEEEE10hipError_tPvRmT0_T1_T2_T3_T4_T5_mmT6_P12ihipStream_tbEUlT_E0_NS1_11comp_targetILNS1_3genE0ELNS1_11target_archE4294967295ELNS1_3gpuE0ELNS1_3repE0EEENS1_30default_config_static_selectorELNS0_4arch9wavefront6targetE0EEEvS11_
	.p2align	8
	.type	_ZN7rocprim17ROCPRIM_400000_NS6detail17trampoline_kernelINS0_14default_configENS1_21merge_config_selectorINS0_5tupleIJffEEENS0_10empty_typeEEEZNS1_10merge_implIS3_NS0_12zip_iteratorINS5_IJN6thrust23THRUST_200600_302600_NS6detail15normal_iteratorINSC_10device_ptrIKfEEEESI_EEEEESK_NSA_INS5_IJNSC_16discard_iteratorINSC_11use_defaultEEESN_EEEEEPS7_SQ_SQ_NSC_11hip_rocprim7__merge17predicate_wrapperIffNSC_4lessIfEEEEEE10hipError_tPvRmT0_T1_T2_T3_T4_T5_mmT6_P12ihipStream_tbEUlT_E0_NS1_11comp_targetILNS1_3genE0ELNS1_11target_archE4294967295ELNS1_3gpuE0ELNS1_3repE0EEENS1_30default_config_static_selectorELNS0_4arch9wavefront6targetE0EEEvS11_,@function
_ZN7rocprim17ROCPRIM_400000_NS6detail17trampoline_kernelINS0_14default_configENS1_21merge_config_selectorINS0_5tupleIJffEEENS0_10empty_typeEEEZNS1_10merge_implIS3_NS0_12zip_iteratorINS5_IJN6thrust23THRUST_200600_302600_NS6detail15normal_iteratorINSC_10device_ptrIKfEEEESI_EEEEESK_NSA_INS5_IJNSC_16discard_iteratorINSC_11use_defaultEEESN_EEEEEPS7_SQ_SQ_NSC_11hip_rocprim7__merge17predicate_wrapperIffNSC_4lessIfEEEEEE10hipError_tPvRmT0_T1_T2_T3_T4_T5_mmT6_P12ihipStream_tbEUlT_E0_NS1_11comp_targetILNS1_3genE0ELNS1_11target_archE4294967295ELNS1_3gpuE0ELNS1_3repE0EEENS1_30default_config_static_selectorELNS0_4arch9wavefront6targetE0EEEvS11_: ; @_ZN7rocprim17ROCPRIM_400000_NS6detail17trampoline_kernelINS0_14default_configENS1_21merge_config_selectorINS0_5tupleIJffEEENS0_10empty_typeEEEZNS1_10merge_implIS3_NS0_12zip_iteratorINS5_IJN6thrust23THRUST_200600_302600_NS6detail15normal_iteratorINSC_10device_ptrIKfEEEESI_EEEEESK_NSA_INS5_IJNSC_16discard_iteratorINSC_11use_defaultEEESN_EEEEEPS7_SQ_SQ_NSC_11hip_rocprim7__merge17predicate_wrapperIffNSC_4lessIfEEEEEE10hipError_tPvRmT0_T1_T2_T3_T4_T5_mmT6_P12ihipStream_tbEUlT_E0_NS1_11comp_targetILNS1_3genE0ELNS1_11target_archE4294967295ELNS1_3gpuE0ELNS1_3repE0EEENS1_30default_config_static_selectorELNS0_4arch9wavefront6targetE0EEEvS11_
; %bb.0:
	s_clause 0x1
	s_load_b128 s[12:15], s[0:1], 0x68
	s_load_b256 s[4:11], s[0:1], 0x8
	s_bfe_u32 s2, ttmp6, 0x4000c
	s_and_b32 s3, ttmp6, 15
	s_add_co_i32 s2, s2, 1
	s_wait_kmcnt 0x0
	s_getreg_b32 s13, hwreg(HW_REG_IB_STS2, 6, 4)
	s_mul_i32 s2, ttmp9, s2
	v_mov_b32_e32 v1, 0
	s_add_co_i32 s3, s3, s2
	s_cmp_eq_u32 s13, 0
	s_cselect_b32 s2, ttmp9, s3
	s_delay_alu instid0(SALU_CYCLE_1) | instskip(SKIP_3) | instid1(SALU_CYCLE_1)
	s_mul_i32 s17, s2, 0x700
	s_add_co_i32 s16, s14, s12
	s_add_co_i32 s12, s2, 1
	s_add_co_i32 s3, s16, 0x6ff
	s_lshr_b32 s3, s3, 8
	s_delay_alu instid0(SALU_CYCLE_1) | instskip(NEXT) | instid1(SALU_CYCLE_1)
	s_mul_hi_u32 s3, s3, 0x24924925
	s_min_u32 s13, s2, s3
	s_min_u32 s3, s12, s3
	s_clause 0x1
	s_load_b32 s12, s[4:5], s13 offset:0x0 scale_offset
	s_load_b32 s20, s[4:5], s3 offset:0x0 scale_offset
	s_load_b64 s[18:19], s[0:1], 0x28
	s_wait_xcnt 0x0
	s_mov_b32 s13, 0
	s_add_co_i32 s0, s17, 0x700
	s_mov_b32 s1, s13
	s_min_u32 s21, s16, s0
	s_wait_kmcnt 0x0
	s_sub_co_i32 s0, s17, s12
	s_lshl_b64 s[14:15], s[12:13], 2
	s_lshl_b64 s[4:5], s[0:1], 2
	s_add_co_i32 s0, s0, s20
	s_sub_co_i32 s12, s20, s12
	s_sub_co_i32 s0, s21, s0
	s_add_nc_u64 s[2:3], s[10:11], s[4:5]
	s_add_nc_u64 s[4:5], s[18:19], s[4:5]
	;; [unrolled: 1-line block ×3, first 2 shown]
	s_mov_b32 s1, exec_lo
	v_cmpx_le_u32_e64 s12, v0
	s_xor_b32 s1, exec_lo, s1
	s_cbranch_execz .LBB506_4
; %bb.1:
	s_mov_b32 s18, exec_lo
	v_cmpx_gt_u64_e64 s[10:11], v[0:1]
	s_cbranch_execz .LBB506_3
; %bb.2:
	v_subrev_nc_u32_e32 v4, s12, v0
	s_clause 0x1
	global_load_b32 v2, v4, s[2:3] scale_offset
	global_load_b32 v3, v4, s[4:5] scale_offset
	s_wait_xcnt 0x0
	v_lshlrev_b32_e32 v4, 3, v0
	s_wait_loadcnt 0x0
	ds_store_b64 v4, v[2:3]
.LBB506_3:
	s_or_b32 exec_lo, exec_lo, s18
.LBB506_4:
	s_or_saveexec_b32 s1, s1
	v_lshlrev_b32_e32 v4, 3, v0
	s_add_nc_u64 s[6:7], s[6:7], s[14:15]
	s_add_nc_u64 s[8:9], s[8:9], s[14:15]
	s_xor_b32 exec_lo, exec_lo, s1
	s_cbranch_execz .LBB506_6
; %bb.5:
	s_clause 0x1
	global_load_b32 v2, v0, s[6:7] scale_offset
	global_load_b32 v3, v0, s[8:9] scale_offset
	s_wait_loadcnt 0x0
	ds_store_b64 v4, v[2:3]
.LBB506_6:
	s_or_b32 exec_lo, exec_lo, s1
	v_or_b32_e32 v2, 0x100, v0
	s_mov_b32 s1, exec_lo
	s_delay_alu instid0(VALU_DEP_1)
	v_cmpx_le_u32_e64 s12, v2
	s_xor_b32 s1, exec_lo, s1
	s_cbranch_execz .LBB506_10
; %bb.7:
	v_mov_b32_e32 v3, 0
	s_mov_b32 s14, exec_lo
	s_delay_alu instid0(VALU_DEP_1)
	v_cmpx_gt_u64_e64 s[10:11], v[2:3]
	s_cbranch_execz .LBB506_9
; %bb.8:
	v_sub_nc_u64_e64 v[2:3], v[0:1], s[12:13]
	s_delay_alu instid0(VALU_DEP_1) | instskip(NEXT) | instid1(VALU_DEP_1)
	v_lshlrev_b64_e32 v[2:3], 2, v[2:3]
	v_add_nc_u64_e32 v[6:7], s[2:3], v[2:3]
	v_add_nc_u64_e32 v[2:3], s[4:5], v[2:3]
	global_load_b32 v8, v[6:7], off offset:1024
	global_load_b32 v9, v[2:3], off offset:1024
	s_wait_loadcnt 0x0
	ds_store_b64 v4, v[8:9] offset:2048
.LBB506_9:
	s_or_b32 exec_lo, exec_lo, s14
.LBB506_10:
	s_and_not1_saveexec_b32 s1, s1
	s_cbranch_execz .LBB506_12
; %bb.11:
	s_clause 0x1
	global_load_b32 v2, v0, s[6:7] offset:1024 scale_offset
	global_load_b32 v3, v0, s[8:9] offset:1024 scale_offset
	s_wait_loadcnt 0x0
	ds_store_b64 v4, v[2:3] offset:2048
.LBB506_12:
	s_or_b32 exec_lo, exec_lo, s1
	v_or_b32_e32 v2, 0x200, v0
	s_mov_b32 s1, exec_lo
	s_delay_alu instid0(VALU_DEP_1)
	v_cmpx_le_u32_e64 s12, v2
	s_xor_b32 s1, exec_lo, s1
	s_cbranch_execz .LBB506_16
; %bb.13:
	v_mov_b32_e32 v3, 0
	s_mov_b32 s14, exec_lo
	s_delay_alu instid0(VALU_DEP_1)
	v_cmpx_gt_u64_e64 s[10:11], v[2:3]
	s_cbranch_execz .LBB506_15
; %bb.14:
	v_sub_nc_u64_e64 v[2:3], v[0:1], s[12:13]
	s_delay_alu instid0(VALU_DEP_1) | instskip(NEXT) | instid1(VALU_DEP_1)
	v_lshlrev_b64_e32 v[2:3], 2, v[2:3]
	v_add_nc_u64_e32 v[6:7], s[2:3], v[2:3]
	v_add_nc_u64_e32 v[2:3], s[4:5], v[2:3]
	global_load_b32 v8, v[6:7], off offset:2048
	global_load_b32 v9, v[2:3], off offset:2048
	s_wait_loadcnt 0x0
	ds_store_b64 v4, v[8:9] offset:4096
.LBB506_15:
	s_or_b32 exec_lo, exec_lo, s14
.LBB506_16:
	s_and_not1_saveexec_b32 s1, s1
	s_cbranch_execz .LBB506_18
; %bb.17:
	s_clause 0x1
	global_load_b32 v2, v0, s[6:7] offset:2048 scale_offset
	global_load_b32 v3, v0, s[8:9] offset:2048 scale_offset
	s_wait_loadcnt 0x0
	ds_store_b64 v4, v[2:3] offset:4096
.LBB506_18:
	;; [unrolled: 35-line block ×5, first 2 shown]
	s_or_b32 exec_lo, exec_lo, s1
	v_or_b32_e32 v2, 0x600, v0
	s_mov_b32 s1, exec_lo
	s_delay_alu instid0(VALU_DEP_1)
	v_cmpx_le_u32_e64 s12, v2
	s_xor_b32 s1, exec_lo, s1
	s_cbranch_execz .LBB506_40
; %bb.37:
	v_mov_b32_e32 v3, 0
	s_delay_alu instid0(VALU_DEP_1)
	v_cmp_gt_u64_e32 vcc_lo, s[10:11], v[2:3]
	s_and_saveexec_b32 s10, vcc_lo
	s_cbranch_execz .LBB506_39
; %bb.38:
	v_sub_nc_u64_e64 v[2:3], v[0:1], s[12:13]
	s_delay_alu instid0(VALU_DEP_1) | instskip(NEXT) | instid1(VALU_DEP_1)
	v_lshlrev_b64_e32 v[2:3], 2, v[2:3]
	v_add_nc_u64_e32 v[6:7], s[2:3], v[2:3]
	v_add_nc_u64_e32 v[2:3], s[4:5], v[2:3]
	global_load_b32 v8, v[6:7], off offset:6144
	global_load_b32 v9, v[2:3], off offset:6144
	s_wait_loadcnt 0x0
	ds_store_b64 v4, v[8:9] offset:12288
.LBB506_39:
	s_or_b32 exec_lo, exec_lo, s10
                                        ; implicit-def: $vgpr4
.LBB506_40:
	s_and_not1_saveexec_b32 s1, s1
	s_cbranch_execz .LBB506_42
; %bb.41:
	s_clause 0x1
	global_load_b32 v2, v0, s[6:7] offset:6144 scale_offset
	global_load_b32 v3, v0, s[8:9] offset:6144 scale_offset
	s_wait_loadcnt 0x0
	ds_store_b64 v4, v[2:3] offset:12288
.LBB506_42:
	s_or_b32 exec_lo, exec_lo, s1
	v_mul_u32_u24_e32 v0, 7, v0
	s_mov_b32 s1, exec_lo
	s_wait_dscnt 0x0
	s_barrier_signal -1
	s_barrier_wait -1
	v_sub_nc_u32_e64 v15, v0, s0 clamp
	v_min_u32_e32 v1, s12, v0
	v_lshlrev_b32_e32 v14, 3, v0
	s_delay_alu instid0(VALU_DEP_2)
	v_cmpx_lt_u32_e64 v15, v1
	s_cbranch_execz .LBB506_46
; %bb.43:
	s_delay_alu instid0(VALU_DEP_2)
	v_lshl_add_u32 v2, s12, 3, v14
	s_mov_b32 s2, 0
.LBB506_44:                             ; =>This Inner Loop Header: Depth=1
	v_add_nc_u32_e32 v3, v1, v15
	s_delay_alu instid0(VALU_DEP_1) | instskip(NEXT) | instid1(VALU_DEP_1)
	v_lshrrev_b32_e32 v3, 1, v3
	v_not_b32_e32 v4, v3
	v_dual_lshlrev_b32 v5, 3, v3 :: v_dual_add_nc_u32 v6, 1, v3
	s_delay_alu instid0(VALU_DEP_2)
	v_lshl_add_u32 v4, v4, 3, v2
	ds_load_b32 v5, v5
	ds_load_b32 v4, v4
	s_wait_dscnt 0x0
	v_cmp_lt_f32_e32 vcc_lo, v4, v5
	v_cndmask_b32_e32 v1, v1, v3, vcc_lo
	v_cndmask_b32_e32 v15, v6, v15, vcc_lo
	s_delay_alu instid0(VALU_DEP_1) | instskip(SKIP_1) | instid1(SALU_CYCLE_1)
	v_cmp_ge_u32_e32 vcc_lo, v15, v1
	s_or_b32 s2, vcc_lo, s2
	s_and_not1_b32 exec_lo, exec_lo, s2
	s_cbranch_execnz .LBB506_44
; %bb.45:
	s_or_b32 exec_lo, exec_lo, s2
.LBB506_46:
	s_delay_alu instid0(SALU_CYCLE_1) | instskip(SKIP_4) | instid1(VALU_DEP_3)
	s_or_b32 exec_lo, exec_lo, s1
	v_dual_mov_b32 v13, 0 :: v_dual_add_nc_u32 v0, s12, v0
	v_mov_b32_e32 v12, 0
	s_add_co_i32 s8, s0, s12
	v_cmp_ge_u32_e32 vcc_lo, s12, v15
	v_dual_mov_b32 v11, 0 :: v_dual_sub_nc_u32 v16, v0, v15
	v_dual_mov_b32 v10, 0 :: v_dual_mov_b32 v1, 0
	v_mov_b32_e32 v0, 0
	s_delay_alu instid0(VALU_DEP_3)
	v_cmp_ge_u32_e64 s0, s8, v16
	v_dual_mov_b32 v5, 0 :: v_dual_mov_b32 v4, 0
	v_dual_mov_b32 v3, 0 :: v_dual_mov_b32 v2, 0
	;; [unrolled: 1-line block ×4, first 2 shown]
	s_or_b32 s0, vcc_lo, s0
	s_delay_alu instid0(SALU_CYCLE_1)
	s_and_saveexec_b32 s7, s0
	s_cbranch_execz .LBB506_52
; %bb.47:
	v_cmp_gt_u32_e32 vcc_lo, s12, v15
	v_dual_mov_b32 v0, 0 :: v_dual_mov_b32 v2, 0
	v_mov_b32_e32 v3, 0
	s_and_saveexec_b32 s0, vcc_lo
; %bb.48:
	v_lshlrev_b32_e32 v1, 3, v15
	ds_load_b64 v[2:3], v1
; %bb.49:
	s_or_b32 exec_lo, exec_lo, s0
	v_cmp_le_u32_e64 s0, s8, v16
	v_mov_b32_e32 v1, 0
	s_mov_b32 s2, exec_lo
	v_cmpx_gt_u32_e64 s8, v16
; %bb.50:
	v_lshlrev_b32_e32 v0, 3, v16
	ds_load_b64 v[0:1], v0
; %bb.51:
	s_or_b32 exec_lo, exec_lo, s2
	s_wait_dscnt 0x0
	v_cmp_nlt_f32_e64 s1, v0, v2
	s_and_b32 s1, vcc_lo, s1
	s_delay_alu instid0(SALU_CYCLE_1) | instskip(SKIP_1) | instid1(VALU_DEP_1)
	s_or_b32 vcc_lo, s0, s1
	v_dual_mov_b32 v17, s12 :: v_dual_cndmask_b32 v4, v16, v15
	v_dual_cndmask_b32 v5, s8, v17 :: v_dual_add_nc_u32 v6, 1, v4
	s_delay_alu instid0(VALU_DEP_1) | instskip(SKIP_1) | instid1(VALU_DEP_2)
	v_add_min_u32_e64 v4, v5, -1, v6
	v_dual_cndmask_b32 v8, v15, v6 :: v_dual_cndmask_b32 v9, v6, v16
	v_lshlrev_b32_e32 v4, 3, v4
	s_delay_alu instid0(VALU_DEP_2) | instskip(NEXT) | instid1(VALU_DEP_3)
	v_cmp_gt_u32_e64 s0, s12, v8
	v_cmp_le_u32_e64 s2, s8, v9
	ds_load_b64 v[4:5], v4
	s_wait_dscnt 0x0
	v_cndmask_b32_e32 v15, v4, v0, vcc_lo
	v_cndmask_b32_e32 v4, v2, v4, vcc_lo
	s_delay_alu instid0(VALU_DEP_1) | instskip(SKIP_1) | instid1(SALU_CYCLE_1)
	v_cmp_nlt_f32_e64 s1, v15, v4
	s_and_b32 s0, s0, s1
	s_or_b32 s0, s2, s0
	s_delay_alu instid0(SALU_CYCLE_1) | instskip(NEXT) | instid1(VALU_DEP_1)
	v_cndmask_b32_e64 v6, v9, v8, s0
	v_dual_cndmask_b32 v7, s8, v17, s0 :: v_dual_add_nc_u32 v10, 1, v6
	s_delay_alu instid0(VALU_DEP_1) | instskip(SKIP_1) | instid1(VALU_DEP_2)
	v_add_min_u32_e64 v6, v7, -1, v10
	v_cndmask_b32_e64 v11, v8, v10, s0
	v_lshlrev_b32_e32 v6, 3, v6
	s_delay_alu instid0(VALU_DEP_2)
	v_cmp_gt_u32_e64 s1, s12, v11
	ds_load_b64 v[6:7], v6
	v_cndmask_b32_e32 v27, v5, v1, vcc_lo
	s_wait_dscnt 0x0
	v_dual_cndmask_b32 v5, v3, v5, vcc_lo :: v_dual_cndmask_b32 v18, v6, v15, s0
	v_dual_cndmask_b32 v19, v4, v6, s0 :: v_dual_cndmask_b32 v6, v10, v9, s0
	s_delay_alu instid0(VALU_DEP_1) | instskip(NEXT) | instid1(VALU_DEP_2)
	v_cmp_nlt_f32_e64 s2, v18, v19
	v_cmp_le_u32_e64 s3, s8, v6
	s_and_b32 s1, s1, s2
	s_delay_alu instid0(SALU_CYCLE_1) | instskip(NEXT) | instid1(SALU_CYCLE_1)
	s_or_b32 s1, s3, s1
	v_cndmask_b32_e64 v8, v6, v11, s1
	s_delay_alu instid0(VALU_DEP_1) | instskip(NEXT) | instid1(VALU_DEP_1)
	v_dual_cndmask_b32 v9, s8, v17, s1 :: v_dual_add_nc_u32 v10, 1, v8
	v_add_min_u32_e64 v8, v9, -1, v10
	v_cndmask_b32_e64 v12, v11, v10, s1
	s_delay_alu instid0(VALU_DEP_2) | instskip(NEXT) | instid1(VALU_DEP_2)
	v_dual_cndmask_b32 v6, v10, v6, s1 :: v_dual_lshlrev_b32 v8, 3, v8
	v_cmp_gt_u32_e64 s2, s12, v12
	s_delay_alu instid0(VALU_DEP_2) | instskip(SKIP_3) | instid1(VALU_DEP_1)
	v_cmp_le_u32_e64 s4, s8, v6
	ds_load_b64 v[8:9], v8
	s_wait_dscnt 0x0
	v_dual_cndmask_b32 v20, v8, v18, s1 :: v_dual_cndmask_b32 v21, v19, v8, s1
	v_cmp_nlt_f32_e64 s3, v20, v21
	s_and_b32 s2, s2, s3
	s_delay_alu instid0(SALU_CYCLE_1) | instskip(NEXT) | instid1(SALU_CYCLE_1)
	s_or_b32 s2, s4, s2
	v_cndmask_b32_e64 v8, v6, v12, s2
	s_delay_alu instid0(VALU_DEP_1) | instskip(NEXT) | instid1(VALU_DEP_1)
	v_dual_cndmask_b32 v10, s8, v17, s2 :: v_dual_add_nc_u32 v8, 1, v8
	v_add_min_u32_e64 v10, v10, -1, v8
	v_cndmask_b32_e64 v16, v12, v8, s2
	v_cndmask_b32_e64 v6, v8, v6, s2
	s_delay_alu instid0(VALU_DEP_3) | instskip(NEXT) | instid1(VALU_DEP_3)
	v_lshlrev_b32_e32 v10, 3, v10
	v_cmp_gt_u32_e64 s3, s12, v16
	s_delay_alu instid0(VALU_DEP_3) | instskip(SKIP_3) | instid1(VALU_DEP_1)
	v_cmp_le_u32_e64 s5, s8, v6
	ds_load_b64 v[10:11], v10
	s_wait_dscnt 0x0
	v_dual_cndmask_b32 v22, v10, v20, s2 :: v_dual_cndmask_b32 v10, v21, v10, s2
	v_cmp_nlt_f32_e64 s4, v22, v10
	s_and_b32 s3, s3, s4
	s_delay_alu instid0(SALU_CYCLE_1) | instskip(NEXT) | instid1(SALU_CYCLE_1)
	s_or_b32 s3, s5, s3
	v_cndmask_b32_e64 v8, v6, v16, s3
	s_delay_alu instid0(VALU_DEP_1) | instskip(NEXT) | instid1(VALU_DEP_1)
	v_dual_cndmask_b32 v12, s8, v17, s3 :: v_dual_add_nc_u32 v8, 1, v8
	v_add_min_u32_e64 v12, v12, -1, v8
	v_cndmask_b32_e64 v25, v8, v6, s3
	v_cndmask_b32_e64 v23, v16, v8, s3
	s_delay_alu instid0(VALU_DEP_3) | instskip(NEXT) | instid1(VALU_DEP_3)
	v_lshlrev_b32_e32 v12, 3, v12
	v_cmp_le_u32_e64 s6, s8, v25
	s_delay_alu instid0(VALU_DEP_3) | instskip(SKIP_3) | instid1(VALU_DEP_1)
	v_cmp_gt_u32_e64 s4, s12, v23
	ds_load_b64 v[12:13], v12
	s_wait_dscnt 0x0
	v_dual_cndmask_b32 v24, v12, v22, s3 :: v_dual_cndmask_b32 v12, v10, v12, s3
	v_cmp_nlt_f32_e64 s5, v24, v12
	s_and_b32 s4, s4, s5
	s_delay_alu instid0(SALU_CYCLE_1) | instskip(NEXT) | instid1(SALU_CYCLE_1)
	s_or_b32 s4, s6, s4
	v_cndmask_b32_e64 v6, v25, v23, s4
	s_delay_alu instid0(VALU_DEP_1) | instskip(NEXT) | instid1(VALU_DEP_1)
	v_dual_cndmask_b32 v8, s8, v17, s4 :: v_dual_add_nc_u32 v26, 1, v6
	v_add_min_u32_e64 v6, v8, -1, v26
	v_dual_cndmask_b32 v8, v15, v4, s0 :: v_dual_cndmask_b32 v4, v20, v21, s2
	s_delay_alu instid0(VALU_DEP_2) | instskip(SKIP_4) | instid1(VALU_DEP_3)
	v_lshlrev_b32_e32 v6, 3, v6
	ds_load_b64 v[16:17], v6
	v_dual_cndmask_b32 v6, v0, v2, vcc_lo :: v_dual_cndmask_b32 v29, v5, v7, s0
	v_cndmask_b32_e64 v28, v7, v27, s0
	v_cndmask_b32_e32 v7, v1, v3, vcc_lo
	v_cndmask_b32_e64 v1, v29, v9, s1
	s_delay_alu instid0(VALU_DEP_3) | instskip(SKIP_1) | instid1(VALU_DEP_2)
	v_dual_cndmask_b32 v0, v9, v28, s1 :: v_dual_cndmask_b32 v9, v27, v5, s0
	v_dual_cndmask_b32 v2, v18, v19, s1 :: v_dual_cndmask_b32 v3, v28, v29, s1
	;; [unrolled: 1-line block ×3, first 2 shown]
	s_delay_alu instid0(VALU_DEP_4) | instskip(SKIP_3) | instid1(VALU_DEP_3)
	v_dual_cndmask_b32 v11, v1, v11, s2 :: v_dual_cndmask_b32 v5, v0, v1, s2
	v_cndmask_b32_e64 v0, v22, v10, s3
	v_cndmask_b32_e64 v10, v23, v26, s4
	s_wait_dscnt 0x0
	v_dual_cndmask_b32 v1, v15, v11, s3 :: v_dual_cndmask_b32 v18, v16, v24, s4
	v_dual_cndmask_b32 v16, v12, v16, s4 :: v_dual_cndmask_b32 v15, v13, v15, s3
	s_delay_alu instid0(VALU_DEP_3) | instskip(SKIP_1) | instid1(VALU_DEP_3)
	v_cmp_gt_u32_e32 vcc_lo, s12, v10
	v_dual_cndmask_b32 v11, v11, v13, s3 :: v_dual_cndmask_b32 v10, v24, v12, s4
	v_cmp_nlt_f32_e64 s0, v18, v16
	v_cmp_le_u32_e64 s1, s8, v19
	v_cndmask_b32_e64 v13, v17, v15, s4
	s_and_b32 s0, vcc_lo, s0
	s_delay_alu instid0(SALU_CYCLE_1) | instskip(NEXT) | instid1(SALU_CYCLE_1)
	s_or_b32 vcc_lo, s1, s0
	v_dual_cndmask_b32 v17, v11, v17, s4 :: v_dual_cndmask_b32 v12, v18, v16, vcc_lo
	s_delay_alu instid0(VALU_DEP_1)
	v_dual_cndmask_b32 v11, v15, v11, s4 :: v_dual_cndmask_b32 v13, v13, v17, vcc_lo
.LBB506_52:
	s_or_b32 exec_lo, exec_lo, s7
	s_sub_co_i32 s0, s16, s17
	s_delay_alu instid0(SALU_CYCLE_1)
	s_cmp_gt_u32 s0, 0x6ff
	s_mov_b32 s0, -1
	s_barrier_signal -1
	s_barrier_wait -1
	ds_store_2addr_b64 v14, v[6:7], v[8:9] offset1:1
	ds_store_2addr_b64 v14, v[2:3], v[4:5] offset0:2 offset1:3
	ds_store_2addr_b64 v14, v[0:1], v[10:11] offset0:4 offset1:5
	ds_store_b64 v14, v[12:13] offset:48
	s_wait_dscnt 0x0
	s_cbranch_scc1 .LBB506_55
; %bb.53:
	s_and_not1_b32 vcc_lo, exec_lo, s0
	s_cbranch_vccz .LBB506_56
.LBB506_54:
	s_endpgm
.LBB506_55:
	s_barrier_signal -1
	s_barrier_wait -1
	s_cbranch_execnz .LBB506_54
.LBB506_56:
	s_barrier_signal -1
	s_barrier_wait -1
	s_endpgm
	.section	.rodata,"a",@progbits
	.p2align	6, 0x0
	.amdhsa_kernel _ZN7rocprim17ROCPRIM_400000_NS6detail17trampoline_kernelINS0_14default_configENS1_21merge_config_selectorINS0_5tupleIJffEEENS0_10empty_typeEEEZNS1_10merge_implIS3_NS0_12zip_iteratorINS5_IJN6thrust23THRUST_200600_302600_NS6detail15normal_iteratorINSC_10device_ptrIKfEEEESI_EEEEESK_NSA_INS5_IJNSC_16discard_iteratorINSC_11use_defaultEEESN_EEEEEPS7_SQ_SQ_NSC_11hip_rocprim7__merge17predicate_wrapperIffNSC_4lessIfEEEEEE10hipError_tPvRmT0_T1_T2_T3_T4_T5_mmT6_P12ihipStream_tbEUlT_E0_NS1_11comp_targetILNS1_3genE0ELNS1_11target_archE4294967295ELNS1_3gpuE0ELNS1_3repE0EEENS1_30default_config_static_selectorELNS0_4arch9wavefront6targetE0EEEvS11_
		.amdhsa_group_segment_fixed_size 14352
		.amdhsa_private_segment_fixed_size 0
		.amdhsa_kernarg_size 128
		.amdhsa_user_sgpr_count 2
		.amdhsa_user_sgpr_dispatch_ptr 0
		.amdhsa_user_sgpr_queue_ptr 0
		.amdhsa_user_sgpr_kernarg_segment_ptr 1
		.amdhsa_user_sgpr_dispatch_id 0
		.amdhsa_user_sgpr_kernarg_preload_length 0
		.amdhsa_user_sgpr_kernarg_preload_offset 0
		.amdhsa_user_sgpr_private_segment_size 0
		.amdhsa_wavefront_size32 1
		.amdhsa_uses_dynamic_stack 0
		.amdhsa_enable_private_segment 0
		.amdhsa_system_sgpr_workgroup_id_x 1
		.amdhsa_system_sgpr_workgroup_id_y 0
		.amdhsa_system_sgpr_workgroup_id_z 0
		.amdhsa_system_sgpr_workgroup_info 0
		.amdhsa_system_vgpr_workitem_id 0
		.amdhsa_next_free_vgpr 30
		.amdhsa_next_free_sgpr 22
		.amdhsa_named_barrier_count 0
		.amdhsa_reserve_vcc 1
		.amdhsa_float_round_mode_32 0
		.amdhsa_float_round_mode_16_64 0
		.amdhsa_float_denorm_mode_32 3
		.amdhsa_float_denorm_mode_16_64 3
		.amdhsa_fp16_overflow 0
		.amdhsa_memory_ordered 1
		.amdhsa_forward_progress 1
		.amdhsa_inst_pref_size 22
		.amdhsa_round_robin_scheduling 0
		.amdhsa_exception_fp_ieee_invalid_op 0
		.amdhsa_exception_fp_denorm_src 0
		.amdhsa_exception_fp_ieee_div_zero 0
		.amdhsa_exception_fp_ieee_overflow 0
		.amdhsa_exception_fp_ieee_underflow 0
		.amdhsa_exception_fp_ieee_inexact 0
		.amdhsa_exception_int_div_zero 0
	.end_amdhsa_kernel
	.section	.text._ZN7rocprim17ROCPRIM_400000_NS6detail17trampoline_kernelINS0_14default_configENS1_21merge_config_selectorINS0_5tupleIJffEEENS0_10empty_typeEEEZNS1_10merge_implIS3_NS0_12zip_iteratorINS5_IJN6thrust23THRUST_200600_302600_NS6detail15normal_iteratorINSC_10device_ptrIKfEEEESI_EEEEESK_NSA_INS5_IJNSC_16discard_iteratorINSC_11use_defaultEEESN_EEEEEPS7_SQ_SQ_NSC_11hip_rocprim7__merge17predicate_wrapperIffNSC_4lessIfEEEEEE10hipError_tPvRmT0_T1_T2_T3_T4_T5_mmT6_P12ihipStream_tbEUlT_E0_NS1_11comp_targetILNS1_3genE0ELNS1_11target_archE4294967295ELNS1_3gpuE0ELNS1_3repE0EEENS1_30default_config_static_selectorELNS0_4arch9wavefront6targetE0EEEvS11_,"axG",@progbits,_ZN7rocprim17ROCPRIM_400000_NS6detail17trampoline_kernelINS0_14default_configENS1_21merge_config_selectorINS0_5tupleIJffEEENS0_10empty_typeEEEZNS1_10merge_implIS3_NS0_12zip_iteratorINS5_IJN6thrust23THRUST_200600_302600_NS6detail15normal_iteratorINSC_10device_ptrIKfEEEESI_EEEEESK_NSA_INS5_IJNSC_16discard_iteratorINSC_11use_defaultEEESN_EEEEEPS7_SQ_SQ_NSC_11hip_rocprim7__merge17predicate_wrapperIffNSC_4lessIfEEEEEE10hipError_tPvRmT0_T1_T2_T3_T4_T5_mmT6_P12ihipStream_tbEUlT_E0_NS1_11comp_targetILNS1_3genE0ELNS1_11target_archE4294967295ELNS1_3gpuE0ELNS1_3repE0EEENS1_30default_config_static_selectorELNS0_4arch9wavefront6targetE0EEEvS11_,comdat
.Lfunc_end506:
	.size	_ZN7rocprim17ROCPRIM_400000_NS6detail17trampoline_kernelINS0_14default_configENS1_21merge_config_selectorINS0_5tupleIJffEEENS0_10empty_typeEEEZNS1_10merge_implIS3_NS0_12zip_iteratorINS5_IJN6thrust23THRUST_200600_302600_NS6detail15normal_iteratorINSC_10device_ptrIKfEEEESI_EEEEESK_NSA_INS5_IJNSC_16discard_iteratorINSC_11use_defaultEEESN_EEEEEPS7_SQ_SQ_NSC_11hip_rocprim7__merge17predicate_wrapperIffNSC_4lessIfEEEEEE10hipError_tPvRmT0_T1_T2_T3_T4_T5_mmT6_P12ihipStream_tbEUlT_E0_NS1_11comp_targetILNS1_3genE0ELNS1_11target_archE4294967295ELNS1_3gpuE0ELNS1_3repE0EEENS1_30default_config_static_selectorELNS0_4arch9wavefront6targetE0EEEvS11_, .Lfunc_end506-_ZN7rocprim17ROCPRIM_400000_NS6detail17trampoline_kernelINS0_14default_configENS1_21merge_config_selectorINS0_5tupleIJffEEENS0_10empty_typeEEEZNS1_10merge_implIS3_NS0_12zip_iteratorINS5_IJN6thrust23THRUST_200600_302600_NS6detail15normal_iteratorINSC_10device_ptrIKfEEEESI_EEEEESK_NSA_INS5_IJNSC_16discard_iteratorINSC_11use_defaultEEESN_EEEEEPS7_SQ_SQ_NSC_11hip_rocprim7__merge17predicate_wrapperIffNSC_4lessIfEEEEEE10hipError_tPvRmT0_T1_T2_T3_T4_T5_mmT6_P12ihipStream_tbEUlT_E0_NS1_11comp_targetILNS1_3genE0ELNS1_11target_archE4294967295ELNS1_3gpuE0ELNS1_3repE0EEENS1_30default_config_static_selectorELNS0_4arch9wavefront6targetE0EEEvS11_
                                        ; -- End function
	.set _ZN7rocprim17ROCPRIM_400000_NS6detail17trampoline_kernelINS0_14default_configENS1_21merge_config_selectorINS0_5tupleIJffEEENS0_10empty_typeEEEZNS1_10merge_implIS3_NS0_12zip_iteratorINS5_IJN6thrust23THRUST_200600_302600_NS6detail15normal_iteratorINSC_10device_ptrIKfEEEESI_EEEEESK_NSA_INS5_IJNSC_16discard_iteratorINSC_11use_defaultEEESN_EEEEEPS7_SQ_SQ_NSC_11hip_rocprim7__merge17predicate_wrapperIffNSC_4lessIfEEEEEE10hipError_tPvRmT0_T1_T2_T3_T4_T5_mmT6_P12ihipStream_tbEUlT_E0_NS1_11comp_targetILNS1_3genE0ELNS1_11target_archE4294967295ELNS1_3gpuE0ELNS1_3repE0EEENS1_30default_config_static_selectorELNS0_4arch9wavefront6targetE0EEEvS11_.num_vgpr, 30
	.set _ZN7rocprim17ROCPRIM_400000_NS6detail17trampoline_kernelINS0_14default_configENS1_21merge_config_selectorINS0_5tupleIJffEEENS0_10empty_typeEEEZNS1_10merge_implIS3_NS0_12zip_iteratorINS5_IJN6thrust23THRUST_200600_302600_NS6detail15normal_iteratorINSC_10device_ptrIKfEEEESI_EEEEESK_NSA_INS5_IJNSC_16discard_iteratorINSC_11use_defaultEEESN_EEEEEPS7_SQ_SQ_NSC_11hip_rocprim7__merge17predicate_wrapperIffNSC_4lessIfEEEEEE10hipError_tPvRmT0_T1_T2_T3_T4_T5_mmT6_P12ihipStream_tbEUlT_E0_NS1_11comp_targetILNS1_3genE0ELNS1_11target_archE4294967295ELNS1_3gpuE0ELNS1_3repE0EEENS1_30default_config_static_selectorELNS0_4arch9wavefront6targetE0EEEvS11_.num_agpr, 0
	.set _ZN7rocprim17ROCPRIM_400000_NS6detail17trampoline_kernelINS0_14default_configENS1_21merge_config_selectorINS0_5tupleIJffEEENS0_10empty_typeEEEZNS1_10merge_implIS3_NS0_12zip_iteratorINS5_IJN6thrust23THRUST_200600_302600_NS6detail15normal_iteratorINSC_10device_ptrIKfEEEESI_EEEEESK_NSA_INS5_IJNSC_16discard_iteratorINSC_11use_defaultEEESN_EEEEEPS7_SQ_SQ_NSC_11hip_rocprim7__merge17predicate_wrapperIffNSC_4lessIfEEEEEE10hipError_tPvRmT0_T1_T2_T3_T4_T5_mmT6_P12ihipStream_tbEUlT_E0_NS1_11comp_targetILNS1_3genE0ELNS1_11target_archE4294967295ELNS1_3gpuE0ELNS1_3repE0EEENS1_30default_config_static_selectorELNS0_4arch9wavefront6targetE0EEEvS11_.numbered_sgpr, 22
	.set _ZN7rocprim17ROCPRIM_400000_NS6detail17trampoline_kernelINS0_14default_configENS1_21merge_config_selectorINS0_5tupleIJffEEENS0_10empty_typeEEEZNS1_10merge_implIS3_NS0_12zip_iteratorINS5_IJN6thrust23THRUST_200600_302600_NS6detail15normal_iteratorINSC_10device_ptrIKfEEEESI_EEEEESK_NSA_INS5_IJNSC_16discard_iteratorINSC_11use_defaultEEESN_EEEEEPS7_SQ_SQ_NSC_11hip_rocprim7__merge17predicate_wrapperIffNSC_4lessIfEEEEEE10hipError_tPvRmT0_T1_T2_T3_T4_T5_mmT6_P12ihipStream_tbEUlT_E0_NS1_11comp_targetILNS1_3genE0ELNS1_11target_archE4294967295ELNS1_3gpuE0ELNS1_3repE0EEENS1_30default_config_static_selectorELNS0_4arch9wavefront6targetE0EEEvS11_.num_named_barrier, 0
	.set _ZN7rocprim17ROCPRIM_400000_NS6detail17trampoline_kernelINS0_14default_configENS1_21merge_config_selectorINS0_5tupleIJffEEENS0_10empty_typeEEEZNS1_10merge_implIS3_NS0_12zip_iteratorINS5_IJN6thrust23THRUST_200600_302600_NS6detail15normal_iteratorINSC_10device_ptrIKfEEEESI_EEEEESK_NSA_INS5_IJNSC_16discard_iteratorINSC_11use_defaultEEESN_EEEEEPS7_SQ_SQ_NSC_11hip_rocprim7__merge17predicate_wrapperIffNSC_4lessIfEEEEEE10hipError_tPvRmT0_T1_T2_T3_T4_T5_mmT6_P12ihipStream_tbEUlT_E0_NS1_11comp_targetILNS1_3genE0ELNS1_11target_archE4294967295ELNS1_3gpuE0ELNS1_3repE0EEENS1_30default_config_static_selectorELNS0_4arch9wavefront6targetE0EEEvS11_.private_seg_size, 0
	.set _ZN7rocprim17ROCPRIM_400000_NS6detail17trampoline_kernelINS0_14default_configENS1_21merge_config_selectorINS0_5tupleIJffEEENS0_10empty_typeEEEZNS1_10merge_implIS3_NS0_12zip_iteratorINS5_IJN6thrust23THRUST_200600_302600_NS6detail15normal_iteratorINSC_10device_ptrIKfEEEESI_EEEEESK_NSA_INS5_IJNSC_16discard_iteratorINSC_11use_defaultEEESN_EEEEEPS7_SQ_SQ_NSC_11hip_rocprim7__merge17predicate_wrapperIffNSC_4lessIfEEEEEE10hipError_tPvRmT0_T1_T2_T3_T4_T5_mmT6_P12ihipStream_tbEUlT_E0_NS1_11comp_targetILNS1_3genE0ELNS1_11target_archE4294967295ELNS1_3gpuE0ELNS1_3repE0EEENS1_30default_config_static_selectorELNS0_4arch9wavefront6targetE0EEEvS11_.uses_vcc, 1
	.set _ZN7rocprim17ROCPRIM_400000_NS6detail17trampoline_kernelINS0_14default_configENS1_21merge_config_selectorINS0_5tupleIJffEEENS0_10empty_typeEEEZNS1_10merge_implIS3_NS0_12zip_iteratorINS5_IJN6thrust23THRUST_200600_302600_NS6detail15normal_iteratorINSC_10device_ptrIKfEEEESI_EEEEESK_NSA_INS5_IJNSC_16discard_iteratorINSC_11use_defaultEEESN_EEEEEPS7_SQ_SQ_NSC_11hip_rocprim7__merge17predicate_wrapperIffNSC_4lessIfEEEEEE10hipError_tPvRmT0_T1_T2_T3_T4_T5_mmT6_P12ihipStream_tbEUlT_E0_NS1_11comp_targetILNS1_3genE0ELNS1_11target_archE4294967295ELNS1_3gpuE0ELNS1_3repE0EEENS1_30default_config_static_selectorELNS0_4arch9wavefront6targetE0EEEvS11_.uses_flat_scratch, 0
	.set _ZN7rocprim17ROCPRIM_400000_NS6detail17trampoline_kernelINS0_14default_configENS1_21merge_config_selectorINS0_5tupleIJffEEENS0_10empty_typeEEEZNS1_10merge_implIS3_NS0_12zip_iteratorINS5_IJN6thrust23THRUST_200600_302600_NS6detail15normal_iteratorINSC_10device_ptrIKfEEEESI_EEEEESK_NSA_INS5_IJNSC_16discard_iteratorINSC_11use_defaultEEESN_EEEEEPS7_SQ_SQ_NSC_11hip_rocprim7__merge17predicate_wrapperIffNSC_4lessIfEEEEEE10hipError_tPvRmT0_T1_T2_T3_T4_T5_mmT6_P12ihipStream_tbEUlT_E0_NS1_11comp_targetILNS1_3genE0ELNS1_11target_archE4294967295ELNS1_3gpuE0ELNS1_3repE0EEENS1_30default_config_static_selectorELNS0_4arch9wavefront6targetE0EEEvS11_.has_dyn_sized_stack, 0
	.set _ZN7rocprim17ROCPRIM_400000_NS6detail17trampoline_kernelINS0_14default_configENS1_21merge_config_selectorINS0_5tupleIJffEEENS0_10empty_typeEEEZNS1_10merge_implIS3_NS0_12zip_iteratorINS5_IJN6thrust23THRUST_200600_302600_NS6detail15normal_iteratorINSC_10device_ptrIKfEEEESI_EEEEESK_NSA_INS5_IJNSC_16discard_iteratorINSC_11use_defaultEEESN_EEEEEPS7_SQ_SQ_NSC_11hip_rocprim7__merge17predicate_wrapperIffNSC_4lessIfEEEEEE10hipError_tPvRmT0_T1_T2_T3_T4_T5_mmT6_P12ihipStream_tbEUlT_E0_NS1_11comp_targetILNS1_3genE0ELNS1_11target_archE4294967295ELNS1_3gpuE0ELNS1_3repE0EEENS1_30default_config_static_selectorELNS0_4arch9wavefront6targetE0EEEvS11_.has_recursion, 0
	.set _ZN7rocprim17ROCPRIM_400000_NS6detail17trampoline_kernelINS0_14default_configENS1_21merge_config_selectorINS0_5tupleIJffEEENS0_10empty_typeEEEZNS1_10merge_implIS3_NS0_12zip_iteratorINS5_IJN6thrust23THRUST_200600_302600_NS6detail15normal_iteratorINSC_10device_ptrIKfEEEESI_EEEEESK_NSA_INS5_IJNSC_16discard_iteratorINSC_11use_defaultEEESN_EEEEEPS7_SQ_SQ_NSC_11hip_rocprim7__merge17predicate_wrapperIffNSC_4lessIfEEEEEE10hipError_tPvRmT0_T1_T2_T3_T4_T5_mmT6_P12ihipStream_tbEUlT_E0_NS1_11comp_targetILNS1_3genE0ELNS1_11target_archE4294967295ELNS1_3gpuE0ELNS1_3repE0EEENS1_30default_config_static_selectorELNS0_4arch9wavefront6targetE0EEEvS11_.has_indirect_call, 0
	.section	.AMDGPU.csdata,"",@progbits
; Kernel info:
; codeLenInByte = 2748
; TotalNumSgprs: 24
; NumVgprs: 30
; ScratchSize: 0
; MemoryBound: 0
; FloatMode: 240
; IeeeMode: 1
; LDSByteSize: 14352 bytes/workgroup (compile time only)
; SGPRBlocks: 0
; VGPRBlocks: 1
; NumSGPRsForWavesPerEU: 24
; NumVGPRsForWavesPerEU: 30
; NamedBarCnt: 0
; Occupancy: 16
; WaveLimiterHint : 1
; COMPUTE_PGM_RSRC2:SCRATCH_EN: 0
; COMPUTE_PGM_RSRC2:USER_SGPR: 2
; COMPUTE_PGM_RSRC2:TRAP_HANDLER: 0
; COMPUTE_PGM_RSRC2:TGID_X_EN: 1
; COMPUTE_PGM_RSRC2:TGID_Y_EN: 0
; COMPUTE_PGM_RSRC2:TGID_Z_EN: 0
; COMPUTE_PGM_RSRC2:TIDIG_COMP_CNT: 0
	.section	.text._ZN7rocprim17ROCPRIM_400000_NS6detail17trampoline_kernelINS0_14default_configENS1_21merge_config_selectorINS0_5tupleIJffEEENS0_10empty_typeEEEZNS1_10merge_implIS3_NS0_12zip_iteratorINS5_IJN6thrust23THRUST_200600_302600_NS6detail15normal_iteratorINSC_10device_ptrIKfEEEESI_EEEEESK_NSA_INS5_IJNSC_16discard_iteratorINSC_11use_defaultEEESN_EEEEEPS7_SQ_SQ_NSC_11hip_rocprim7__merge17predicate_wrapperIffNSC_4lessIfEEEEEE10hipError_tPvRmT0_T1_T2_T3_T4_T5_mmT6_P12ihipStream_tbEUlT_E0_NS1_11comp_targetILNS1_3genE5ELNS1_11target_archE942ELNS1_3gpuE9ELNS1_3repE0EEENS1_30default_config_static_selectorELNS0_4arch9wavefront6targetE0EEEvS11_,"axG",@progbits,_ZN7rocprim17ROCPRIM_400000_NS6detail17trampoline_kernelINS0_14default_configENS1_21merge_config_selectorINS0_5tupleIJffEEENS0_10empty_typeEEEZNS1_10merge_implIS3_NS0_12zip_iteratorINS5_IJN6thrust23THRUST_200600_302600_NS6detail15normal_iteratorINSC_10device_ptrIKfEEEESI_EEEEESK_NSA_INS5_IJNSC_16discard_iteratorINSC_11use_defaultEEESN_EEEEEPS7_SQ_SQ_NSC_11hip_rocprim7__merge17predicate_wrapperIffNSC_4lessIfEEEEEE10hipError_tPvRmT0_T1_T2_T3_T4_T5_mmT6_P12ihipStream_tbEUlT_E0_NS1_11comp_targetILNS1_3genE5ELNS1_11target_archE942ELNS1_3gpuE9ELNS1_3repE0EEENS1_30default_config_static_selectorELNS0_4arch9wavefront6targetE0EEEvS11_,comdat
	.protected	_ZN7rocprim17ROCPRIM_400000_NS6detail17trampoline_kernelINS0_14default_configENS1_21merge_config_selectorINS0_5tupleIJffEEENS0_10empty_typeEEEZNS1_10merge_implIS3_NS0_12zip_iteratorINS5_IJN6thrust23THRUST_200600_302600_NS6detail15normal_iteratorINSC_10device_ptrIKfEEEESI_EEEEESK_NSA_INS5_IJNSC_16discard_iteratorINSC_11use_defaultEEESN_EEEEEPS7_SQ_SQ_NSC_11hip_rocprim7__merge17predicate_wrapperIffNSC_4lessIfEEEEEE10hipError_tPvRmT0_T1_T2_T3_T4_T5_mmT6_P12ihipStream_tbEUlT_E0_NS1_11comp_targetILNS1_3genE5ELNS1_11target_archE942ELNS1_3gpuE9ELNS1_3repE0EEENS1_30default_config_static_selectorELNS0_4arch9wavefront6targetE0EEEvS11_ ; -- Begin function _ZN7rocprim17ROCPRIM_400000_NS6detail17trampoline_kernelINS0_14default_configENS1_21merge_config_selectorINS0_5tupleIJffEEENS0_10empty_typeEEEZNS1_10merge_implIS3_NS0_12zip_iteratorINS5_IJN6thrust23THRUST_200600_302600_NS6detail15normal_iteratorINSC_10device_ptrIKfEEEESI_EEEEESK_NSA_INS5_IJNSC_16discard_iteratorINSC_11use_defaultEEESN_EEEEEPS7_SQ_SQ_NSC_11hip_rocprim7__merge17predicate_wrapperIffNSC_4lessIfEEEEEE10hipError_tPvRmT0_T1_T2_T3_T4_T5_mmT6_P12ihipStream_tbEUlT_E0_NS1_11comp_targetILNS1_3genE5ELNS1_11target_archE942ELNS1_3gpuE9ELNS1_3repE0EEENS1_30default_config_static_selectorELNS0_4arch9wavefront6targetE0EEEvS11_
	.globl	_ZN7rocprim17ROCPRIM_400000_NS6detail17trampoline_kernelINS0_14default_configENS1_21merge_config_selectorINS0_5tupleIJffEEENS0_10empty_typeEEEZNS1_10merge_implIS3_NS0_12zip_iteratorINS5_IJN6thrust23THRUST_200600_302600_NS6detail15normal_iteratorINSC_10device_ptrIKfEEEESI_EEEEESK_NSA_INS5_IJNSC_16discard_iteratorINSC_11use_defaultEEESN_EEEEEPS7_SQ_SQ_NSC_11hip_rocprim7__merge17predicate_wrapperIffNSC_4lessIfEEEEEE10hipError_tPvRmT0_T1_T2_T3_T4_T5_mmT6_P12ihipStream_tbEUlT_E0_NS1_11comp_targetILNS1_3genE5ELNS1_11target_archE942ELNS1_3gpuE9ELNS1_3repE0EEENS1_30default_config_static_selectorELNS0_4arch9wavefront6targetE0EEEvS11_
	.p2align	8
	.type	_ZN7rocprim17ROCPRIM_400000_NS6detail17trampoline_kernelINS0_14default_configENS1_21merge_config_selectorINS0_5tupleIJffEEENS0_10empty_typeEEEZNS1_10merge_implIS3_NS0_12zip_iteratorINS5_IJN6thrust23THRUST_200600_302600_NS6detail15normal_iteratorINSC_10device_ptrIKfEEEESI_EEEEESK_NSA_INS5_IJNSC_16discard_iteratorINSC_11use_defaultEEESN_EEEEEPS7_SQ_SQ_NSC_11hip_rocprim7__merge17predicate_wrapperIffNSC_4lessIfEEEEEE10hipError_tPvRmT0_T1_T2_T3_T4_T5_mmT6_P12ihipStream_tbEUlT_E0_NS1_11comp_targetILNS1_3genE5ELNS1_11target_archE942ELNS1_3gpuE9ELNS1_3repE0EEENS1_30default_config_static_selectorELNS0_4arch9wavefront6targetE0EEEvS11_,@function
_ZN7rocprim17ROCPRIM_400000_NS6detail17trampoline_kernelINS0_14default_configENS1_21merge_config_selectorINS0_5tupleIJffEEENS0_10empty_typeEEEZNS1_10merge_implIS3_NS0_12zip_iteratorINS5_IJN6thrust23THRUST_200600_302600_NS6detail15normal_iteratorINSC_10device_ptrIKfEEEESI_EEEEESK_NSA_INS5_IJNSC_16discard_iteratorINSC_11use_defaultEEESN_EEEEEPS7_SQ_SQ_NSC_11hip_rocprim7__merge17predicate_wrapperIffNSC_4lessIfEEEEEE10hipError_tPvRmT0_T1_T2_T3_T4_T5_mmT6_P12ihipStream_tbEUlT_E0_NS1_11comp_targetILNS1_3genE5ELNS1_11target_archE942ELNS1_3gpuE9ELNS1_3repE0EEENS1_30default_config_static_selectorELNS0_4arch9wavefront6targetE0EEEvS11_: ; @_ZN7rocprim17ROCPRIM_400000_NS6detail17trampoline_kernelINS0_14default_configENS1_21merge_config_selectorINS0_5tupleIJffEEENS0_10empty_typeEEEZNS1_10merge_implIS3_NS0_12zip_iteratorINS5_IJN6thrust23THRUST_200600_302600_NS6detail15normal_iteratorINSC_10device_ptrIKfEEEESI_EEEEESK_NSA_INS5_IJNSC_16discard_iteratorINSC_11use_defaultEEESN_EEEEEPS7_SQ_SQ_NSC_11hip_rocprim7__merge17predicate_wrapperIffNSC_4lessIfEEEEEE10hipError_tPvRmT0_T1_T2_T3_T4_T5_mmT6_P12ihipStream_tbEUlT_E0_NS1_11comp_targetILNS1_3genE5ELNS1_11target_archE942ELNS1_3gpuE9ELNS1_3repE0EEENS1_30default_config_static_selectorELNS0_4arch9wavefront6targetE0EEEvS11_
; %bb.0:
	.section	.rodata,"a",@progbits
	.p2align	6, 0x0
	.amdhsa_kernel _ZN7rocprim17ROCPRIM_400000_NS6detail17trampoline_kernelINS0_14default_configENS1_21merge_config_selectorINS0_5tupleIJffEEENS0_10empty_typeEEEZNS1_10merge_implIS3_NS0_12zip_iteratorINS5_IJN6thrust23THRUST_200600_302600_NS6detail15normal_iteratorINSC_10device_ptrIKfEEEESI_EEEEESK_NSA_INS5_IJNSC_16discard_iteratorINSC_11use_defaultEEESN_EEEEEPS7_SQ_SQ_NSC_11hip_rocprim7__merge17predicate_wrapperIffNSC_4lessIfEEEEEE10hipError_tPvRmT0_T1_T2_T3_T4_T5_mmT6_P12ihipStream_tbEUlT_E0_NS1_11comp_targetILNS1_3genE5ELNS1_11target_archE942ELNS1_3gpuE9ELNS1_3repE0EEENS1_30default_config_static_selectorELNS0_4arch9wavefront6targetE0EEEvS11_
		.amdhsa_group_segment_fixed_size 0
		.amdhsa_private_segment_fixed_size 0
		.amdhsa_kernarg_size 128
		.amdhsa_user_sgpr_count 2
		.amdhsa_user_sgpr_dispatch_ptr 0
		.amdhsa_user_sgpr_queue_ptr 0
		.amdhsa_user_sgpr_kernarg_segment_ptr 1
		.amdhsa_user_sgpr_dispatch_id 0
		.amdhsa_user_sgpr_kernarg_preload_length 0
		.amdhsa_user_sgpr_kernarg_preload_offset 0
		.amdhsa_user_sgpr_private_segment_size 0
		.amdhsa_wavefront_size32 1
		.amdhsa_uses_dynamic_stack 0
		.amdhsa_enable_private_segment 0
		.amdhsa_system_sgpr_workgroup_id_x 1
		.amdhsa_system_sgpr_workgroup_id_y 0
		.amdhsa_system_sgpr_workgroup_id_z 0
		.amdhsa_system_sgpr_workgroup_info 0
		.amdhsa_system_vgpr_workitem_id 0
		.amdhsa_next_free_vgpr 1
		.amdhsa_next_free_sgpr 1
		.amdhsa_named_barrier_count 0
		.amdhsa_reserve_vcc 0
		.amdhsa_float_round_mode_32 0
		.amdhsa_float_round_mode_16_64 0
		.amdhsa_float_denorm_mode_32 3
		.amdhsa_float_denorm_mode_16_64 3
		.amdhsa_fp16_overflow 0
		.amdhsa_memory_ordered 1
		.amdhsa_forward_progress 1
		.amdhsa_inst_pref_size 0
		.amdhsa_round_robin_scheduling 0
		.amdhsa_exception_fp_ieee_invalid_op 0
		.amdhsa_exception_fp_denorm_src 0
		.amdhsa_exception_fp_ieee_div_zero 0
		.amdhsa_exception_fp_ieee_overflow 0
		.amdhsa_exception_fp_ieee_underflow 0
		.amdhsa_exception_fp_ieee_inexact 0
		.amdhsa_exception_int_div_zero 0
	.end_amdhsa_kernel
	.section	.text._ZN7rocprim17ROCPRIM_400000_NS6detail17trampoline_kernelINS0_14default_configENS1_21merge_config_selectorINS0_5tupleIJffEEENS0_10empty_typeEEEZNS1_10merge_implIS3_NS0_12zip_iteratorINS5_IJN6thrust23THRUST_200600_302600_NS6detail15normal_iteratorINSC_10device_ptrIKfEEEESI_EEEEESK_NSA_INS5_IJNSC_16discard_iteratorINSC_11use_defaultEEESN_EEEEEPS7_SQ_SQ_NSC_11hip_rocprim7__merge17predicate_wrapperIffNSC_4lessIfEEEEEE10hipError_tPvRmT0_T1_T2_T3_T4_T5_mmT6_P12ihipStream_tbEUlT_E0_NS1_11comp_targetILNS1_3genE5ELNS1_11target_archE942ELNS1_3gpuE9ELNS1_3repE0EEENS1_30default_config_static_selectorELNS0_4arch9wavefront6targetE0EEEvS11_,"axG",@progbits,_ZN7rocprim17ROCPRIM_400000_NS6detail17trampoline_kernelINS0_14default_configENS1_21merge_config_selectorINS0_5tupleIJffEEENS0_10empty_typeEEEZNS1_10merge_implIS3_NS0_12zip_iteratorINS5_IJN6thrust23THRUST_200600_302600_NS6detail15normal_iteratorINSC_10device_ptrIKfEEEESI_EEEEESK_NSA_INS5_IJNSC_16discard_iteratorINSC_11use_defaultEEESN_EEEEEPS7_SQ_SQ_NSC_11hip_rocprim7__merge17predicate_wrapperIffNSC_4lessIfEEEEEE10hipError_tPvRmT0_T1_T2_T3_T4_T5_mmT6_P12ihipStream_tbEUlT_E0_NS1_11comp_targetILNS1_3genE5ELNS1_11target_archE942ELNS1_3gpuE9ELNS1_3repE0EEENS1_30default_config_static_selectorELNS0_4arch9wavefront6targetE0EEEvS11_,comdat
.Lfunc_end507:
	.size	_ZN7rocprim17ROCPRIM_400000_NS6detail17trampoline_kernelINS0_14default_configENS1_21merge_config_selectorINS0_5tupleIJffEEENS0_10empty_typeEEEZNS1_10merge_implIS3_NS0_12zip_iteratorINS5_IJN6thrust23THRUST_200600_302600_NS6detail15normal_iteratorINSC_10device_ptrIKfEEEESI_EEEEESK_NSA_INS5_IJNSC_16discard_iteratorINSC_11use_defaultEEESN_EEEEEPS7_SQ_SQ_NSC_11hip_rocprim7__merge17predicate_wrapperIffNSC_4lessIfEEEEEE10hipError_tPvRmT0_T1_T2_T3_T4_T5_mmT6_P12ihipStream_tbEUlT_E0_NS1_11comp_targetILNS1_3genE5ELNS1_11target_archE942ELNS1_3gpuE9ELNS1_3repE0EEENS1_30default_config_static_selectorELNS0_4arch9wavefront6targetE0EEEvS11_, .Lfunc_end507-_ZN7rocprim17ROCPRIM_400000_NS6detail17trampoline_kernelINS0_14default_configENS1_21merge_config_selectorINS0_5tupleIJffEEENS0_10empty_typeEEEZNS1_10merge_implIS3_NS0_12zip_iteratorINS5_IJN6thrust23THRUST_200600_302600_NS6detail15normal_iteratorINSC_10device_ptrIKfEEEESI_EEEEESK_NSA_INS5_IJNSC_16discard_iteratorINSC_11use_defaultEEESN_EEEEEPS7_SQ_SQ_NSC_11hip_rocprim7__merge17predicate_wrapperIffNSC_4lessIfEEEEEE10hipError_tPvRmT0_T1_T2_T3_T4_T5_mmT6_P12ihipStream_tbEUlT_E0_NS1_11comp_targetILNS1_3genE5ELNS1_11target_archE942ELNS1_3gpuE9ELNS1_3repE0EEENS1_30default_config_static_selectorELNS0_4arch9wavefront6targetE0EEEvS11_
                                        ; -- End function
	.set _ZN7rocprim17ROCPRIM_400000_NS6detail17trampoline_kernelINS0_14default_configENS1_21merge_config_selectorINS0_5tupleIJffEEENS0_10empty_typeEEEZNS1_10merge_implIS3_NS0_12zip_iteratorINS5_IJN6thrust23THRUST_200600_302600_NS6detail15normal_iteratorINSC_10device_ptrIKfEEEESI_EEEEESK_NSA_INS5_IJNSC_16discard_iteratorINSC_11use_defaultEEESN_EEEEEPS7_SQ_SQ_NSC_11hip_rocprim7__merge17predicate_wrapperIffNSC_4lessIfEEEEEE10hipError_tPvRmT0_T1_T2_T3_T4_T5_mmT6_P12ihipStream_tbEUlT_E0_NS1_11comp_targetILNS1_3genE5ELNS1_11target_archE942ELNS1_3gpuE9ELNS1_3repE0EEENS1_30default_config_static_selectorELNS0_4arch9wavefront6targetE0EEEvS11_.num_vgpr, 0
	.set _ZN7rocprim17ROCPRIM_400000_NS6detail17trampoline_kernelINS0_14default_configENS1_21merge_config_selectorINS0_5tupleIJffEEENS0_10empty_typeEEEZNS1_10merge_implIS3_NS0_12zip_iteratorINS5_IJN6thrust23THRUST_200600_302600_NS6detail15normal_iteratorINSC_10device_ptrIKfEEEESI_EEEEESK_NSA_INS5_IJNSC_16discard_iteratorINSC_11use_defaultEEESN_EEEEEPS7_SQ_SQ_NSC_11hip_rocprim7__merge17predicate_wrapperIffNSC_4lessIfEEEEEE10hipError_tPvRmT0_T1_T2_T3_T4_T5_mmT6_P12ihipStream_tbEUlT_E0_NS1_11comp_targetILNS1_3genE5ELNS1_11target_archE942ELNS1_3gpuE9ELNS1_3repE0EEENS1_30default_config_static_selectorELNS0_4arch9wavefront6targetE0EEEvS11_.num_agpr, 0
	.set _ZN7rocprim17ROCPRIM_400000_NS6detail17trampoline_kernelINS0_14default_configENS1_21merge_config_selectorINS0_5tupleIJffEEENS0_10empty_typeEEEZNS1_10merge_implIS3_NS0_12zip_iteratorINS5_IJN6thrust23THRUST_200600_302600_NS6detail15normal_iteratorINSC_10device_ptrIKfEEEESI_EEEEESK_NSA_INS5_IJNSC_16discard_iteratorINSC_11use_defaultEEESN_EEEEEPS7_SQ_SQ_NSC_11hip_rocprim7__merge17predicate_wrapperIffNSC_4lessIfEEEEEE10hipError_tPvRmT0_T1_T2_T3_T4_T5_mmT6_P12ihipStream_tbEUlT_E0_NS1_11comp_targetILNS1_3genE5ELNS1_11target_archE942ELNS1_3gpuE9ELNS1_3repE0EEENS1_30default_config_static_selectorELNS0_4arch9wavefront6targetE0EEEvS11_.numbered_sgpr, 0
	.set _ZN7rocprim17ROCPRIM_400000_NS6detail17trampoline_kernelINS0_14default_configENS1_21merge_config_selectorINS0_5tupleIJffEEENS0_10empty_typeEEEZNS1_10merge_implIS3_NS0_12zip_iteratorINS5_IJN6thrust23THRUST_200600_302600_NS6detail15normal_iteratorINSC_10device_ptrIKfEEEESI_EEEEESK_NSA_INS5_IJNSC_16discard_iteratorINSC_11use_defaultEEESN_EEEEEPS7_SQ_SQ_NSC_11hip_rocprim7__merge17predicate_wrapperIffNSC_4lessIfEEEEEE10hipError_tPvRmT0_T1_T2_T3_T4_T5_mmT6_P12ihipStream_tbEUlT_E0_NS1_11comp_targetILNS1_3genE5ELNS1_11target_archE942ELNS1_3gpuE9ELNS1_3repE0EEENS1_30default_config_static_selectorELNS0_4arch9wavefront6targetE0EEEvS11_.num_named_barrier, 0
	.set _ZN7rocprim17ROCPRIM_400000_NS6detail17trampoline_kernelINS0_14default_configENS1_21merge_config_selectorINS0_5tupleIJffEEENS0_10empty_typeEEEZNS1_10merge_implIS3_NS0_12zip_iteratorINS5_IJN6thrust23THRUST_200600_302600_NS6detail15normal_iteratorINSC_10device_ptrIKfEEEESI_EEEEESK_NSA_INS5_IJNSC_16discard_iteratorINSC_11use_defaultEEESN_EEEEEPS7_SQ_SQ_NSC_11hip_rocprim7__merge17predicate_wrapperIffNSC_4lessIfEEEEEE10hipError_tPvRmT0_T1_T2_T3_T4_T5_mmT6_P12ihipStream_tbEUlT_E0_NS1_11comp_targetILNS1_3genE5ELNS1_11target_archE942ELNS1_3gpuE9ELNS1_3repE0EEENS1_30default_config_static_selectorELNS0_4arch9wavefront6targetE0EEEvS11_.private_seg_size, 0
	.set _ZN7rocprim17ROCPRIM_400000_NS6detail17trampoline_kernelINS0_14default_configENS1_21merge_config_selectorINS0_5tupleIJffEEENS0_10empty_typeEEEZNS1_10merge_implIS3_NS0_12zip_iteratorINS5_IJN6thrust23THRUST_200600_302600_NS6detail15normal_iteratorINSC_10device_ptrIKfEEEESI_EEEEESK_NSA_INS5_IJNSC_16discard_iteratorINSC_11use_defaultEEESN_EEEEEPS7_SQ_SQ_NSC_11hip_rocprim7__merge17predicate_wrapperIffNSC_4lessIfEEEEEE10hipError_tPvRmT0_T1_T2_T3_T4_T5_mmT6_P12ihipStream_tbEUlT_E0_NS1_11comp_targetILNS1_3genE5ELNS1_11target_archE942ELNS1_3gpuE9ELNS1_3repE0EEENS1_30default_config_static_selectorELNS0_4arch9wavefront6targetE0EEEvS11_.uses_vcc, 0
	.set _ZN7rocprim17ROCPRIM_400000_NS6detail17trampoline_kernelINS0_14default_configENS1_21merge_config_selectorINS0_5tupleIJffEEENS0_10empty_typeEEEZNS1_10merge_implIS3_NS0_12zip_iteratorINS5_IJN6thrust23THRUST_200600_302600_NS6detail15normal_iteratorINSC_10device_ptrIKfEEEESI_EEEEESK_NSA_INS5_IJNSC_16discard_iteratorINSC_11use_defaultEEESN_EEEEEPS7_SQ_SQ_NSC_11hip_rocprim7__merge17predicate_wrapperIffNSC_4lessIfEEEEEE10hipError_tPvRmT0_T1_T2_T3_T4_T5_mmT6_P12ihipStream_tbEUlT_E0_NS1_11comp_targetILNS1_3genE5ELNS1_11target_archE942ELNS1_3gpuE9ELNS1_3repE0EEENS1_30default_config_static_selectorELNS0_4arch9wavefront6targetE0EEEvS11_.uses_flat_scratch, 0
	.set _ZN7rocprim17ROCPRIM_400000_NS6detail17trampoline_kernelINS0_14default_configENS1_21merge_config_selectorINS0_5tupleIJffEEENS0_10empty_typeEEEZNS1_10merge_implIS3_NS0_12zip_iteratorINS5_IJN6thrust23THRUST_200600_302600_NS6detail15normal_iteratorINSC_10device_ptrIKfEEEESI_EEEEESK_NSA_INS5_IJNSC_16discard_iteratorINSC_11use_defaultEEESN_EEEEEPS7_SQ_SQ_NSC_11hip_rocprim7__merge17predicate_wrapperIffNSC_4lessIfEEEEEE10hipError_tPvRmT0_T1_T2_T3_T4_T5_mmT6_P12ihipStream_tbEUlT_E0_NS1_11comp_targetILNS1_3genE5ELNS1_11target_archE942ELNS1_3gpuE9ELNS1_3repE0EEENS1_30default_config_static_selectorELNS0_4arch9wavefront6targetE0EEEvS11_.has_dyn_sized_stack, 0
	.set _ZN7rocprim17ROCPRIM_400000_NS6detail17trampoline_kernelINS0_14default_configENS1_21merge_config_selectorINS0_5tupleIJffEEENS0_10empty_typeEEEZNS1_10merge_implIS3_NS0_12zip_iteratorINS5_IJN6thrust23THRUST_200600_302600_NS6detail15normal_iteratorINSC_10device_ptrIKfEEEESI_EEEEESK_NSA_INS5_IJNSC_16discard_iteratorINSC_11use_defaultEEESN_EEEEEPS7_SQ_SQ_NSC_11hip_rocprim7__merge17predicate_wrapperIffNSC_4lessIfEEEEEE10hipError_tPvRmT0_T1_T2_T3_T4_T5_mmT6_P12ihipStream_tbEUlT_E0_NS1_11comp_targetILNS1_3genE5ELNS1_11target_archE942ELNS1_3gpuE9ELNS1_3repE0EEENS1_30default_config_static_selectorELNS0_4arch9wavefront6targetE0EEEvS11_.has_recursion, 0
	.set _ZN7rocprim17ROCPRIM_400000_NS6detail17trampoline_kernelINS0_14default_configENS1_21merge_config_selectorINS0_5tupleIJffEEENS0_10empty_typeEEEZNS1_10merge_implIS3_NS0_12zip_iteratorINS5_IJN6thrust23THRUST_200600_302600_NS6detail15normal_iteratorINSC_10device_ptrIKfEEEESI_EEEEESK_NSA_INS5_IJNSC_16discard_iteratorINSC_11use_defaultEEESN_EEEEEPS7_SQ_SQ_NSC_11hip_rocprim7__merge17predicate_wrapperIffNSC_4lessIfEEEEEE10hipError_tPvRmT0_T1_T2_T3_T4_T5_mmT6_P12ihipStream_tbEUlT_E0_NS1_11comp_targetILNS1_3genE5ELNS1_11target_archE942ELNS1_3gpuE9ELNS1_3repE0EEENS1_30default_config_static_selectorELNS0_4arch9wavefront6targetE0EEEvS11_.has_indirect_call, 0
	.section	.AMDGPU.csdata,"",@progbits
; Kernel info:
; codeLenInByte = 0
; TotalNumSgprs: 0
; NumVgprs: 0
; ScratchSize: 0
; MemoryBound: 0
; FloatMode: 240
; IeeeMode: 1
; LDSByteSize: 0 bytes/workgroup (compile time only)
; SGPRBlocks: 0
; VGPRBlocks: 0
; NumSGPRsForWavesPerEU: 1
; NumVGPRsForWavesPerEU: 1
; NamedBarCnt: 0
; Occupancy: 16
; WaveLimiterHint : 0
; COMPUTE_PGM_RSRC2:SCRATCH_EN: 0
; COMPUTE_PGM_RSRC2:USER_SGPR: 2
; COMPUTE_PGM_RSRC2:TRAP_HANDLER: 0
; COMPUTE_PGM_RSRC2:TGID_X_EN: 1
; COMPUTE_PGM_RSRC2:TGID_Y_EN: 0
; COMPUTE_PGM_RSRC2:TGID_Z_EN: 0
; COMPUTE_PGM_RSRC2:TIDIG_COMP_CNT: 0
	.section	.text._ZN7rocprim17ROCPRIM_400000_NS6detail17trampoline_kernelINS0_14default_configENS1_21merge_config_selectorINS0_5tupleIJffEEENS0_10empty_typeEEEZNS1_10merge_implIS3_NS0_12zip_iteratorINS5_IJN6thrust23THRUST_200600_302600_NS6detail15normal_iteratorINSC_10device_ptrIKfEEEESI_EEEEESK_NSA_INS5_IJNSC_16discard_iteratorINSC_11use_defaultEEESN_EEEEEPS7_SQ_SQ_NSC_11hip_rocprim7__merge17predicate_wrapperIffNSC_4lessIfEEEEEE10hipError_tPvRmT0_T1_T2_T3_T4_T5_mmT6_P12ihipStream_tbEUlT_E0_NS1_11comp_targetILNS1_3genE4ELNS1_11target_archE910ELNS1_3gpuE8ELNS1_3repE0EEENS1_30default_config_static_selectorELNS0_4arch9wavefront6targetE0EEEvS11_,"axG",@progbits,_ZN7rocprim17ROCPRIM_400000_NS6detail17trampoline_kernelINS0_14default_configENS1_21merge_config_selectorINS0_5tupleIJffEEENS0_10empty_typeEEEZNS1_10merge_implIS3_NS0_12zip_iteratorINS5_IJN6thrust23THRUST_200600_302600_NS6detail15normal_iteratorINSC_10device_ptrIKfEEEESI_EEEEESK_NSA_INS5_IJNSC_16discard_iteratorINSC_11use_defaultEEESN_EEEEEPS7_SQ_SQ_NSC_11hip_rocprim7__merge17predicate_wrapperIffNSC_4lessIfEEEEEE10hipError_tPvRmT0_T1_T2_T3_T4_T5_mmT6_P12ihipStream_tbEUlT_E0_NS1_11comp_targetILNS1_3genE4ELNS1_11target_archE910ELNS1_3gpuE8ELNS1_3repE0EEENS1_30default_config_static_selectorELNS0_4arch9wavefront6targetE0EEEvS11_,comdat
	.protected	_ZN7rocprim17ROCPRIM_400000_NS6detail17trampoline_kernelINS0_14default_configENS1_21merge_config_selectorINS0_5tupleIJffEEENS0_10empty_typeEEEZNS1_10merge_implIS3_NS0_12zip_iteratorINS5_IJN6thrust23THRUST_200600_302600_NS6detail15normal_iteratorINSC_10device_ptrIKfEEEESI_EEEEESK_NSA_INS5_IJNSC_16discard_iteratorINSC_11use_defaultEEESN_EEEEEPS7_SQ_SQ_NSC_11hip_rocprim7__merge17predicate_wrapperIffNSC_4lessIfEEEEEE10hipError_tPvRmT0_T1_T2_T3_T4_T5_mmT6_P12ihipStream_tbEUlT_E0_NS1_11comp_targetILNS1_3genE4ELNS1_11target_archE910ELNS1_3gpuE8ELNS1_3repE0EEENS1_30default_config_static_selectorELNS0_4arch9wavefront6targetE0EEEvS11_ ; -- Begin function _ZN7rocprim17ROCPRIM_400000_NS6detail17trampoline_kernelINS0_14default_configENS1_21merge_config_selectorINS0_5tupleIJffEEENS0_10empty_typeEEEZNS1_10merge_implIS3_NS0_12zip_iteratorINS5_IJN6thrust23THRUST_200600_302600_NS6detail15normal_iteratorINSC_10device_ptrIKfEEEESI_EEEEESK_NSA_INS5_IJNSC_16discard_iteratorINSC_11use_defaultEEESN_EEEEEPS7_SQ_SQ_NSC_11hip_rocprim7__merge17predicate_wrapperIffNSC_4lessIfEEEEEE10hipError_tPvRmT0_T1_T2_T3_T4_T5_mmT6_P12ihipStream_tbEUlT_E0_NS1_11comp_targetILNS1_3genE4ELNS1_11target_archE910ELNS1_3gpuE8ELNS1_3repE0EEENS1_30default_config_static_selectorELNS0_4arch9wavefront6targetE0EEEvS11_
	.globl	_ZN7rocprim17ROCPRIM_400000_NS6detail17trampoline_kernelINS0_14default_configENS1_21merge_config_selectorINS0_5tupleIJffEEENS0_10empty_typeEEEZNS1_10merge_implIS3_NS0_12zip_iteratorINS5_IJN6thrust23THRUST_200600_302600_NS6detail15normal_iteratorINSC_10device_ptrIKfEEEESI_EEEEESK_NSA_INS5_IJNSC_16discard_iteratorINSC_11use_defaultEEESN_EEEEEPS7_SQ_SQ_NSC_11hip_rocprim7__merge17predicate_wrapperIffNSC_4lessIfEEEEEE10hipError_tPvRmT0_T1_T2_T3_T4_T5_mmT6_P12ihipStream_tbEUlT_E0_NS1_11comp_targetILNS1_3genE4ELNS1_11target_archE910ELNS1_3gpuE8ELNS1_3repE0EEENS1_30default_config_static_selectorELNS0_4arch9wavefront6targetE0EEEvS11_
	.p2align	8
	.type	_ZN7rocprim17ROCPRIM_400000_NS6detail17trampoline_kernelINS0_14default_configENS1_21merge_config_selectorINS0_5tupleIJffEEENS0_10empty_typeEEEZNS1_10merge_implIS3_NS0_12zip_iteratorINS5_IJN6thrust23THRUST_200600_302600_NS6detail15normal_iteratorINSC_10device_ptrIKfEEEESI_EEEEESK_NSA_INS5_IJNSC_16discard_iteratorINSC_11use_defaultEEESN_EEEEEPS7_SQ_SQ_NSC_11hip_rocprim7__merge17predicate_wrapperIffNSC_4lessIfEEEEEE10hipError_tPvRmT0_T1_T2_T3_T4_T5_mmT6_P12ihipStream_tbEUlT_E0_NS1_11comp_targetILNS1_3genE4ELNS1_11target_archE910ELNS1_3gpuE8ELNS1_3repE0EEENS1_30default_config_static_selectorELNS0_4arch9wavefront6targetE0EEEvS11_,@function
_ZN7rocprim17ROCPRIM_400000_NS6detail17trampoline_kernelINS0_14default_configENS1_21merge_config_selectorINS0_5tupleIJffEEENS0_10empty_typeEEEZNS1_10merge_implIS3_NS0_12zip_iteratorINS5_IJN6thrust23THRUST_200600_302600_NS6detail15normal_iteratorINSC_10device_ptrIKfEEEESI_EEEEESK_NSA_INS5_IJNSC_16discard_iteratorINSC_11use_defaultEEESN_EEEEEPS7_SQ_SQ_NSC_11hip_rocprim7__merge17predicate_wrapperIffNSC_4lessIfEEEEEE10hipError_tPvRmT0_T1_T2_T3_T4_T5_mmT6_P12ihipStream_tbEUlT_E0_NS1_11comp_targetILNS1_3genE4ELNS1_11target_archE910ELNS1_3gpuE8ELNS1_3repE0EEENS1_30default_config_static_selectorELNS0_4arch9wavefront6targetE0EEEvS11_: ; @_ZN7rocprim17ROCPRIM_400000_NS6detail17trampoline_kernelINS0_14default_configENS1_21merge_config_selectorINS0_5tupleIJffEEENS0_10empty_typeEEEZNS1_10merge_implIS3_NS0_12zip_iteratorINS5_IJN6thrust23THRUST_200600_302600_NS6detail15normal_iteratorINSC_10device_ptrIKfEEEESI_EEEEESK_NSA_INS5_IJNSC_16discard_iteratorINSC_11use_defaultEEESN_EEEEEPS7_SQ_SQ_NSC_11hip_rocprim7__merge17predicate_wrapperIffNSC_4lessIfEEEEEE10hipError_tPvRmT0_T1_T2_T3_T4_T5_mmT6_P12ihipStream_tbEUlT_E0_NS1_11comp_targetILNS1_3genE4ELNS1_11target_archE910ELNS1_3gpuE8ELNS1_3repE0EEENS1_30default_config_static_selectorELNS0_4arch9wavefront6targetE0EEEvS11_
; %bb.0:
	.section	.rodata,"a",@progbits
	.p2align	6, 0x0
	.amdhsa_kernel _ZN7rocprim17ROCPRIM_400000_NS6detail17trampoline_kernelINS0_14default_configENS1_21merge_config_selectorINS0_5tupleIJffEEENS0_10empty_typeEEEZNS1_10merge_implIS3_NS0_12zip_iteratorINS5_IJN6thrust23THRUST_200600_302600_NS6detail15normal_iteratorINSC_10device_ptrIKfEEEESI_EEEEESK_NSA_INS5_IJNSC_16discard_iteratorINSC_11use_defaultEEESN_EEEEEPS7_SQ_SQ_NSC_11hip_rocprim7__merge17predicate_wrapperIffNSC_4lessIfEEEEEE10hipError_tPvRmT0_T1_T2_T3_T4_T5_mmT6_P12ihipStream_tbEUlT_E0_NS1_11comp_targetILNS1_3genE4ELNS1_11target_archE910ELNS1_3gpuE8ELNS1_3repE0EEENS1_30default_config_static_selectorELNS0_4arch9wavefront6targetE0EEEvS11_
		.amdhsa_group_segment_fixed_size 0
		.amdhsa_private_segment_fixed_size 0
		.amdhsa_kernarg_size 128
		.amdhsa_user_sgpr_count 2
		.amdhsa_user_sgpr_dispatch_ptr 0
		.amdhsa_user_sgpr_queue_ptr 0
		.amdhsa_user_sgpr_kernarg_segment_ptr 1
		.amdhsa_user_sgpr_dispatch_id 0
		.amdhsa_user_sgpr_kernarg_preload_length 0
		.amdhsa_user_sgpr_kernarg_preload_offset 0
		.amdhsa_user_sgpr_private_segment_size 0
		.amdhsa_wavefront_size32 1
		.amdhsa_uses_dynamic_stack 0
		.amdhsa_enable_private_segment 0
		.amdhsa_system_sgpr_workgroup_id_x 1
		.amdhsa_system_sgpr_workgroup_id_y 0
		.amdhsa_system_sgpr_workgroup_id_z 0
		.amdhsa_system_sgpr_workgroup_info 0
		.amdhsa_system_vgpr_workitem_id 0
		.amdhsa_next_free_vgpr 1
		.amdhsa_next_free_sgpr 1
		.amdhsa_named_barrier_count 0
		.amdhsa_reserve_vcc 0
		.amdhsa_float_round_mode_32 0
		.amdhsa_float_round_mode_16_64 0
		.amdhsa_float_denorm_mode_32 3
		.amdhsa_float_denorm_mode_16_64 3
		.amdhsa_fp16_overflow 0
		.amdhsa_memory_ordered 1
		.amdhsa_forward_progress 1
		.amdhsa_inst_pref_size 0
		.amdhsa_round_robin_scheduling 0
		.amdhsa_exception_fp_ieee_invalid_op 0
		.amdhsa_exception_fp_denorm_src 0
		.amdhsa_exception_fp_ieee_div_zero 0
		.amdhsa_exception_fp_ieee_overflow 0
		.amdhsa_exception_fp_ieee_underflow 0
		.amdhsa_exception_fp_ieee_inexact 0
		.amdhsa_exception_int_div_zero 0
	.end_amdhsa_kernel
	.section	.text._ZN7rocprim17ROCPRIM_400000_NS6detail17trampoline_kernelINS0_14default_configENS1_21merge_config_selectorINS0_5tupleIJffEEENS0_10empty_typeEEEZNS1_10merge_implIS3_NS0_12zip_iteratorINS5_IJN6thrust23THRUST_200600_302600_NS6detail15normal_iteratorINSC_10device_ptrIKfEEEESI_EEEEESK_NSA_INS5_IJNSC_16discard_iteratorINSC_11use_defaultEEESN_EEEEEPS7_SQ_SQ_NSC_11hip_rocprim7__merge17predicate_wrapperIffNSC_4lessIfEEEEEE10hipError_tPvRmT0_T1_T2_T3_T4_T5_mmT6_P12ihipStream_tbEUlT_E0_NS1_11comp_targetILNS1_3genE4ELNS1_11target_archE910ELNS1_3gpuE8ELNS1_3repE0EEENS1_30default_config_static_selectorELNS0_4arch9wavefront6targetE0EEEvS11_,"axG",@progbits,_ZN7rocprim17ROCPRIM_400000_NS6detail17trampoline_kernelINS0_14default_configENS1_21merge_config_selectorINS0_5tupleIJffEEENS0_10empty_typeEEEZNS1_10merge_implIS3_NS0_12zip_iteratorINS5_IJN6thrust23THRUST_200600_302600_NS6detail15normal_iteratorINSC_10device_ptrIKfEEEESI_EEEEESK_NSA_INS5_IJNSC_16discard_iteratorINSC_11use_defaultEEESN_EEEEEPS7_SQ_SQ_NSC_11hip_rocprim7__merge17predicate_wrapperIffNSC_4lessIfEEEEEE10hipError_tPvRmT0_T1_T2_T3_T4_T5_mmT6_P12ihipStream_tbEUlT_E0_NS1_11comp_targetILNS1_3genE4ELNS1_11target_archE910ELNS1_3gpuE8ELNS1_3repE0EEENS1_30default_config_static_selectorELNS0_4arch9wavefront6targetE0EEEvS11_,comdat
.Lfunc_end508:
	.size	_ZN7rocprim17ROCPRIM_400000_NS6detail17trampoline_kernelINS0_14default_configENS1_21merge_config_selectorINS0_5tupleIJffEEENS0_10empty_typeEEEZNS1_10merge_implIS3_NS0_12zip_iteratorINS5_IJN6thrust23THRUST_200600_302600_NS6detail15normal_iteratorINSC_10device_ptrIKfEEEESI_EEEEESK_NSA_INS5_IJNSC_16discard_iteratorINSC_11use_defaultEEESN_EEEEEPS7_SQ_SQ_NSC_11hip_rocprim7__merge17predicate_wrapperIffNSC_4lessIfEEEEEE10hipError_tPvRmT0_T1_T2_T3_T4_T5_mmT6_P12ihipStream_tbEUlT_E0_NS1_11comp_targetILNS1_3genE4ELNS1_11target_archE910ELNS1_3gpuE8ELNS1_3repE0EEENS1_30default_config_static_selectorELNS0_4arch9wavefront6targetE0EEEvS11_, .Lfunc_end508-_ZN7rocprim17ROCPRIM_400000_NS6detail17trampoline_kernelINS0_14default_configENS1_21merge_config_selectorINS0_5tupleIJffEEENS0_10empty_typeEEEZNS1_10merge_implIS3_NS0_12zip_iteratorINS5_IJN6thrust23THRUST_200600_302600_NS6detail15normal_iteratorINSC_10device_ptrIKfEEEESI_EEEEESK_NSA_INS5_IJNSC_16discard_iteratorINSC_11use_defaultEEESN_EEEEEPS7_SQ_SQ_NSC_11hip_rocprim7__merge17predicate_wrapperIffNSC_4lessIfEEEEEE10hipError_tPvRmT0_T1_T2_T3_T4_T5_mmT6_P12ihipStream_tbEUlT_E0_NS1_11comp_targetILNS1_3genE4ELNS1_11target_archE910ELNS1_3gpuE8ELNS1_3repE0EEENS1_30default_config_static_selectorELNS0_4arch9wavefront6targetE0EEEvS11_
                                        ; -- End function
	.set _ZN7rocprim17ROCPRIM_400000_NS6detail17trampoline_kernelINS0_14default_configENS1_21merge_config_selectorINS0_5tupleIJffEEENS0_10empty_typeEEEZNS1_10merge_implIS3_NS0_12zip_iteratorINS5_IJN6thrust23THRUST_200600_302600_NS6detail15normal_iteratorINSC_10device_ptrIKfEEEESI_EEEEESK_NSA_INS5_IJNSC_16discard_iteratorINSC_11use_defaultEEESN_EEEEEPS7_SQ_SQ_NSC_11hip_rocprim7__merge17predicate_wrapperIffNSC_4lessIfEEEEEE10hipError_tPvRmT0_T1_T2_T3_T4_T5_mmT6_P12ihipStream_tbEUlT_E0_NS1_11comp_targetILNS1_3genE4ELNS1_11target_archE910ELNS1_3gpuE8ELNS1_3repE0EEENS1_30default_config_static_selectorELNS0_4arch9wavefront6targetE0EEEvS11_.num_vgpr, 0
	.set _ZN7rocprim17ROCPRIM_400000_NS6detail17trampoline_kernelINS0_14default_configENS1_21merge_config_selectorINS0_5tupleIJffEEENS0_10empty_typeEEEZNS1_10merge_implIS3_NS0_12zip_iteratorINS5_IJN6thrust23THRUST_200600_302600_NS6detail15normal_iteratorINSC_10device_ptrIKfEEEESI_EEEEESK_NSA_INS5_IJNSC_16discard_iteratorINSC_11use_defaultEEESN_EEEEEPS7_SQ_SQ_NSC_11hip_rocprim7__merge17predicate_wrapperIffNSC_4lessIfEEEEEE10hipError_tPvRmT0_T1_T2_T3_T4_T5_mmT6_P12ihipStream_tbEUlT_E0_NS1_11comp_targetILNS1_3genE4ELNS1_11target_archE910ELNS1_3gpuE8ELNS1_3repE0EEENS1_30default_config_static_selectorELNS0_4arch9wavefront6targetE0EEEvS11_.num_agpr, 0
	.set _ZN7rocprim17ROCPRIM_400000_NS6detail17trampoline_kernelINS0_14default_configENS1_21merge_config_selectorINS0_5tupleIJffEEENS0_10empty_typeEEEZNS1_10merge_implIS3_NS0_12zip_iteratorINS5_IJN6thrust23THRUST_200600_302600_NS6detail15normal_iteratorINSC_10device_ptrIKfEEEESI_EEEEESK_NSA_INS5_IJNSC_16discard_iteratorINSC_11use_defaultEEESN_EEEEEPS7_SQ_SQ_NSC_11hip_rocprim7__merge17predicate_wrapperIffNSC_4lessIfEEEEEE10hipError_tPvRmT0_T1_T2_T3_T4_T5_mmT6_P12ihipStream_tbEUlT_E0_NS1_11comp_targetILNS1_3genE4ELNS1_11target_archE910ELNS1_3gpuE8ELNS1_3repE0EEENS1_30default_config_static_selectorELNS0_4arch9wavefront6targetE0EEEvS11_.numbered_sgpr, 0
	.set _ZN7rocprim17ROCPRIM_400000_NS6detail17trampoline_kernelINS0_14default_configENS1_21merge_config_selectorINS0_5tupleIJffEEENS0_10empty_typeEEEZNS1_10merge_implIS3_NS0_12zip_iteratorINS5_IJN6thrust23THRUST_200600_302600_NS6detail15normal_iteratorINSC_10device_ptrIKfEEEESI_EEEEESK_NSA_INS5_IJNSC_16discard_iteratorINSC_11use_defaultEEESN_EEEEEPS7_SQ_SQ_NSC_11hip_rocprim7__merge17predicate_wrapperIffNSC_4lessIfEEEEEE10hipError_tPvRmT0_T1_T2_T3_T4_T5_mmT6_P12ihipStream_tbEUlT_E0_NS1_11comp_targetILNS1_3genE4ELNS1_11target_archE910ELNS1_3gpuE8ELNS1_3repE0EEENS1_30default_config_static_selectorELNS0_4arch9wavefront6targetE0EEEvS11_.num_named_barrier, 0
	.set _ZN7rocprim17ROCPRIM_400000_NS6detail17trampoline_kernelINS0_14default_configENS1_21merge_config_selectorINS0_5tupleIJffEEENS0_10empty_typeEEEZNS1_10merge_implIS3_NS0_12zip_iteratorINS5_IJN6thrust23THRUST_200600_302600_NS6detail15normal_iteratorINSC_10device_ptrIKfEEEESI_EEEEESK_NSA_INS5_IJNSC_16discard_iteratorINSC_11use_defaultEEESN_EEEEEPS7_SQ_SQ_NSC_11hip_rocprim7__merge17predicate_wrapperIffNSC_4lessIfEEEEEE10hipError_tPvRmT0_T1_T2_T3_T4_T5_mmT6_P12ihipStream_tbEUlT_E0_NS1_11comp_targetILNS1_3genE4ELNS1_11target_archE910ELNS1_3gpuE8ELNS1_3repE0EEENS1_30default_config_static_selectorELNS0_4arch9wavefront6targetE0EEEvS11_.private_seg_size, 0
	.set _ZN7rocprim17ROCPRIM_400000_NS6detail17trampoline_kernelINS0_14default_configENS1_21merge_config_selectorINS0_5tupleIJffEEENS0_10empty_typeEEEZNS1_10merge_implIS3_NS0_12zip_iteratorINS5_IJN6thrust23THRUST_200600_302600_NS6detail15normal_iteratorINSC_10device_ptrIKfEEEESI_EEEEESK_NSA_INS5_IJNSC_16discard_iteratorINSC_11use_defaultEEESN_EEEEEPS7_SQ_SQ_NSC_11hip_rocprim7__merge17predicate_wrapperIffNSC_4lessIfEEEEEE10hipError_tPvRmT0_T1_T2_T3_T4_T5_mmT6_P12ihipStream_tbEUlT_E0_NS1_11comp_targetILNS1_3genE4ELNS1_11target_archE910ELNS1_3gpuE8ELNS1_3repE0EEENS1_30default_config_static_selectorELNS0_4arch9wavefront6targetE0EEEvS11_.uses_vcc, 0
	.set _ZN7rocprim17ROCPRIM_400000_NS6detail17trampoline_kernelINS0_14default_configENS1_21merge_config_selectorINS0_5tupleIJffEEENS0_10empty_typeEEEZNS1_10merge_implIS3_NS0_12zip_iteratorINS5_IJN6thrust23THRUST_200600_302600_NS6detail15normal_iteratorINSC_10device_ptrIKfEEEESI_EEEEESK_NSA_INS5_IJNSC_16discard_iteratorINSC_11use_defaultEEESN_EEEEEPS7_SQ_SQ_NSC_11hip_rocprim7__merge17predicate_wrapperIffNSC_4lessIfEEEEEE10hipError_tPvRmT0_T1_T2_T3_T4_T5_mmT6_P12ihipStream_tbEUlT_E0_NS1_11comp_targetILNS1_3genE4ELNS1_11target_archE910ELNS1_3gpuE8ELNS1_3repE0EEENS1_30default_config_static_selectorELNS0_4arch9wavefront6targetE0EEEvS11_.uses_flat_scratch, 0
	.set _ZN7rocprim17ROCPRIM_400000_NS6detail17trampoline_kernelINS0_14default_configENS1_21merge_config_selectorINS0_5tupleIJffEEENS0_10empty_typeEEEZNS1_10merge_implIS3_NS0_12zip_iteratorINS5_IJN6thrust23THRUST_200600_302600_NS6detail15normal_iteratorINSC_10device_ptrIKfEEEESI_EEEEESK_NSA_INS5_IJNSC_16discard_iteratorINSC_11use_defaultEEESN_EEEEEPS7_SQ_SQ_NSC_11hip_rocprim7__merge17predicate_wrapperIffNSC_4lessIfEEEEEE10hipError_tPvRmT0_T1_T2_T3_T4_T5_mmT6_P12ihipStream_tbEUlT_E0_NS1_11comp_targetILNS1_3genE4ELNS1_11target_archE910ELNS1_3gpuE8ELNS1_3repE0EEENS1_30default_config_static_selectorELNS0_4arch9wavefront6targetE0EEEvS11_.has_dyn_sized_stack, 0
	.set _ZN7rocprim17ROCPRIM_400000_NS6detail17trampoline_kernelINS0_14default_configENS1_21merge_config_selectorINS0_5tupleIJffEEENS0_10empty_typeEEEZNS1_10merge_implIS3_NS0_12zip_iteratorINS5_IJN6thrust23THRUST_200600_302600_NS6detail15normal_iteratorINSC_10device_ptrIKfEEEESI_EEEEESK_NSA_INS5_IJNSC_16discard_iteratorINSC_11use_defaultEEESN_EEEEEPS7_SQ_SQ_NSC_11hip_rocprim7__merge17predicate_wrapperIffNSC_4lessIfEEEEEE10hipError_tPvRmT0_T1_T2_T3_T4_T5_mmT6_P12ihipStream_tbEUlT_E0_NS1_11comp_targetILNS1_3genE4ELNS1_11target_archE910ELNS1_3gpuE8ELNS1_3repE0EEENS1_30default_config_static_selectorELNS0_4arch9wavefront6targetE0EEEvS11_.has_recursion, 0
	.set _ZN7rocprim17ROCPRIM_400000_NS6detail17trampoline_kernelINS0_14default_configENS1_21merge_config_selectorINS0_5tupleIJffEEENS0_10empty_typeEEEZNS1_10merge_implIS3_NS0_12zip_iteratorINS5_IJN6thrust23THRUST_200600_302600_NS6detail15normal_iteratorINSC_10device_ptrIKfEEEESI_EEEEESK_NSA_INS5_IJNSC_16discard_iteratorINSC_11use_defaultEEESN_EEEEEPS7_SQ_SQ_NSC_11hip_rocprim7__merge17predicate_wrapperIffNSC_4lessIfEEEEEE10hipError_tPvRmT0_T1_T2_T3_T4_T5_mmT6_P12ihipStream_tbEUlT_E0_NS1_11comp_targetILNS1_3genE4ELNS1_11target_archE910ELNS1_3gpuE8ELNS1_3repE0EEENS1_30default_config_static_selectorELNS0_4arch9wavefront6targetE0EEEvS11_.has_indirect_call, 0
	.section	.AMDGPU.csdata,"",@progbits
; Kernel info:
; codeLenInByte = 0
; TotalNumSgprs: 0
; NumVgprs: 0
; ScratchSize: 0
; MemoryBound: 0
; FloatMode: 240
; IeeeMode: 1
; LDSByteSize: 0 bytes/workgroup (compile time only)
; SGPRBlocks: 0
; VGPRBlocks: 0
; NumSGPRsForWavesPerEU: 1
; NumVGPRsForWavesPerEU: 1
; NamedBarCnt: 0
; Occupancy: 16
; WaveLimiterHint : 0
; COMPUTE_PGM_RSRC2:SCRATCH_EN: 0
; COMPUTE_PGM_RSRC2:USER_SGPR: 2
; COMPUTE_PGM_RSRC2:TRAP_HANDLER: 0
; COMPUTE_PGM_RSRC2:TGID_X_EN: 1
; COMPUTE_PGM_RSRC2:TGID_Y_EN: 0
; COMPUTE_PGM_RSRC2:TGID_Z_EN: 0
; COMPUTE_PGM_RSRC2:TIDIG_COMP_CNT: 0
	.section	.text._ZN7rocprim17ROCPRIM_400000_NS6detail17trampoline_kernelINS0_14default_configENS1_21merge_config_selectorINS0_5tupleIJffEEENS0_10empty_typeEEEZNS1_10merge_implIS3_NS0_12zip_iteratorINS5_IJN6thrust23THRUST_200600_302600_NS6detail15normal_iteratorINSC_10device_ptrIKfEEEESI_EEEEESK_NSA_INS5_IJNSC_16discard_iteratorINSC_11use_defaultEEESN_EEEEEPS7_SQ_SQ_NSC_11hip_rocprim7__merge17predicate_wrapperIffNSC_4lessIfEEEEEE10hipError_tPvRmT0_T1_T2_T3_T4_T5_mmT6_P12ihipStream_tbEUlT_E0_NS1_11comp_targetILNS1_3genE3ELNS1_11target_archE908ELNS1_3gpuE7ELNS1_3repE0EEENS1_30default_config_static_selectorELNS0_4arch9wavefront6targetE0EEEvS11_,"axG",@progbits,_ZN7rocprim17ROCPRIM_400000_NS6detail17trampoline_kernelINS0_14default_configENS1_21merge_config_selectorINS0_5tupleIJffEEENS0_10empty_typeEEEZNS1_10merge_implIS3_NS0_12zip_iteratorINS5_IJN6thrust23THRUST_200600_302600_NS6detail15normal_iteratorINSC_10device_ptrIKfEEEESI_EEEEESK_NSA_INS5_IJNSC_16discard_iteratorINSC_11use_defaultEEESN_EEEEEPS7_SQ_SQ_NSC_11hip_rocprim7__merge17predicate_wrapperIffNSC_4lessIfEEEEEE10hipError_tPvRmT0_T1_T2_T3_T4_T5_mmT6_P12ihipStream_tbEUlT_E0_NS1_11comp_targetILNS1_3genE3ELNS1_11target_archE908ELNS1_3gpuE7ELNS1_3repE0EEENS1_30default_config_static_selectorELNS0_4arch9wavefront6targetE0EEEvS11_,comdat
	.protected	_ZN7rocprim17ROCPRIM_400000_NS6detail17trampoline_kernelINS0_14default_configENS1_21merge_config_selectorINS0_5tupleIJffEEENS0_10empty_typeEEEZNS1_10merge_implIS3_NS0_12zip_iteratorINS5_IJN6thrust23THRUST_200600_302600_NS6detail15normal_iteratorINSC_10device_ptrIKfEEEESI_EEEEESK_NSA_INS5_IJNSC_16discard_iteratorINSC_11use_defaultEEESN_EEEEEPS7_SQ_SQ_NSC_11hip_rocprim7__merge17predicate_wrapperIffNSC_4lessIfEEEEEE10hipError_tPvRmT0_T1_T2_T3_T4_T5_mmT6_P12ihipStream_tbEUlT_E0_NS1_11comp_targetILNS1_3genE3ELNS1_11target_archE908ELNS1_3gpuE7ELNS1_3repE0EEENS1_30default_config_static_selectorELNS0_4arch9wavefront6targetE0EEEvS11_ ; -- Begin function _ZN7rocprim17ROCPRIM_400000_NS6detail17trampoline_kernelINS0_14default_configENS1_21merge_config_selectorINS0_5tupleIJffEEENS0_10empty_typeEEEZNS1_10merge_implIS3_NS0_12zip_iteratorINS5_IJN6thrust23THRUST_200600_302600_NS6detail15normal_iteratorINSC_10device_ptrIKfEEEESI_EEEEESK_NSA_INS5_IJNSC_16discard_iteratorINSC_11use_defaultEEESN_EEEEEPS7_SQ_SQ_NSC_11hip_rocprim7__merge17predicate_wrapperIffNSC_4lessIfEEEEEE10hipError_tPvRmT0_T1_T2_T3_T4_T5_mmT6_P12ihipStream_tbEUlT_E0_NS1_11comp_targetILNS1_3genE3ELNS1_11target_archE908ELNS1_3gpuE7ELNS1_3repE0EEENS1_30default_config_static_selectorELNS0_4arch9wavefront6targetE0EEEvS11_
	.globl	_ZN7rocprim17ROCPRIM_400000_NS6detail17trampoline_kernelINS0_14default_configENS1_21merge_config_selectorINS0_5tupleIJffEEENS0_10empty_typeEEEZNS1_10merge_implIS3_NS0_12zip_iteratorINS5_IJN6thrust23THRUST_200600_302600_NS6detail15normal_iteratorINSC_10device_ptrIKfEEEESI_EEEEESK_NSA_INS5_IJNSC_16discard_iteratorINSC_11use_defaultEEESN_EEEEEPS7_SQ_SQ_NSC_11hip_rocprim7__merge17predicate_wrapperIffNSC_4lessIfEEEEEE10hipError_tPvRmT0_T1_T2_T3_T4_T5_mmT6_P12ihipStream_tbEUlT_E0_NS1_11comp_targetILNS1_3genE3ELNS1_11target_archE908ELNS1_3gpuE7ELNS1_3repE0EEENS1_30default_config_static_selectorELNS0_4arch9wavefront6targetE0EEEvS11_
	.p2align	8
	.type	_ZN7rocprim17ROCPRIM_400000_NS6detail17trampoline_kernelINS0_14default_configENS1_21merge_config_selectorINS0_5tupleIJffEEENS0_10empty_typeEEEZNS1_10merge_implIS3_NS0_12zip_iteratorINS5_IJN6thrust23THRUST_200600_302600_NS6detail15normal_iteratorINSC_10device_ptrIKfEEEESI_EEEEESK_NSA_INS5_IJNSC_16discard_iteratorINSC_11use_defaultEEESN_EEEEEPS7_SQ_SQ_NSC_11hip_rocprim7__merge17predicate_wrapperIffNSC_4lessIfEEEEEE10hipError_tPvRmT0_T1_T2_T3_T4_T5_mmT6_P12ihipStream_tbEUlT_E0_NS1_11comp_targetILNS1_3genE3ELNS1_11target_archE908ELNS1_3gpuE7ELNS1_3repE0EEENS1_30default_config_static_selectorELNS0_4arch9wavefront6targetE0EEEvS11_,@function
_ZN7rocprim17ROCPRIM_400000_NS6detail17trampoline_kernelINS0_14default_configENS1_21merge_config_selectorINS0_5tupleIJffEEENS0_10empty_typeEEEZNS1_10merge_implIS3_NS0_12zip_iteratorINS5_IJN6thrust23THRUST_200600_302600_NS6detail15normal_iteratorINSC_10device_ptrIKfEEEESI_EEEEESK_NSA_INS5_IJNSC_16discard_iteratorINSC_11use_defaultEEESN_EEEEEPS7_SQ_SQ_NSC_11hip_rocprim7__merge17predicate_wrapperIffNSC_4lessIfEEEEEE10hipError_tPvRmT0_T1_T2_T3_T4_T5_mmT6_P12ihipStream_tbEUlT_E0_NS1_11comp_targetILNS1_3genE3ELNS1_11target_archE908ELNS1_3gpuE7ELNS1_3repE0EEENS1_30default_config_static_selectorELNS0_4arch9wavefront6targetE0EEEvS11_: ; @_ZN7rocprim17ROCPRIM_400000_NS6detail17trampoline_kernelINS0_14default_configENS1_21merge_config_selectorINS0_5tupleIJffEEENS0_10empty_typeEEEZNS1_10merge_implIS3_NS0_12zip_iteratorINS5_IJN6thrust23THRUST_200600_302600_NS6detail15normal_iteratorINSC_10device_ptrIKfEEEESI_EEEEESK_NSA_INS5_IJNSC_16discard_iteratorINSC_11use_defaultEEESN_EEEEEPS7_SQ_SQ_NSC_11hip_rocprim7__merge17predicate_wrapperIffNSC_4lessIfEEEEEE10hipError_tPvRmT0_T1_T2_T3_T4_T5_mmT6_P12ihipStream_tbEUlT_E0_NS1_11comp_targetILNS1_3genE3ELNS1_11target_archE908ELNS1_3gpuE7ELNS1_3repE0EEENS1_30default_config_static_selectorELNS0_4arch9wavefront6targetE0EEEvS11_
; %bb.0:
	.section	.rodata,"a",@progbits
	.p2align	6, 0x0
	.amdhsa_kernel _ZN7rocprim17ROCPRIM_400000_NS6detail17trampoline_kernelINS0_14default_configENS1_21merge_config_selectorINS0_5tupleIJffEEENS0_10empty_typeEEEZNS1_10merge_implIS3_NS0_12zip_iteratorINS5_IJN6thrust23THRUST_200600_302600_NS6detail15normal_iteratorINSC_10device_ptrIKfEEEESI_EEEEESK_NSA_INS5_IJNSC_16discard_iteratorINSC_11use_defaultEEESN_EEEEEPS7_SQ_SQ_NSC_11hip_rocprim7__merge17predicate_wrapperIffNSC_4lessIfEEEEEE10hipError_tPvRmT0_T1_T2_T3_T4_T5_mmT6_P12ihipStream_tbEUlT_E0_NS1_11comp_targetILNS1_3genE3ELNS1_11target_archE908ELNS1_3gpuE7ELNS1_3repE0EEENS1_30default_config_static_selectorELNS0_4arch9wavefront6targetE0EEEvS11_
		.amdhsa_group_segment_fixed_size 0
		.amdhsa_private_segment_fixed_size 0
		.amdhsa_kernarg_size 128
		.amdhsa_user_sgpr_count 2
		.amdhsa_user_sgpr_dispatch_ptr 0
		.amdhsa_user_sgpr_queue_ptr 0
		.amdhsa_user_sgpr_kernarg_segment_ptr 1
		.amdhsa_user_sgpr_dispatch_id 0
		.amdhsa_user_sgpr_kernarg_preload_length 0
		.amdhsa_user_sgpr_kernarg_preload_offset 0
		.amdhsa_user_sgpr_private_segment_size 0
		.amdhsa_wavefront_size32 1
		.amdhsa_uses_dynamic_stack 0
		.amdhsa_enable_private_segment 0
		.amdhsa_system_sgpr_workgroup_id_x 1
		.amdhsa_system_sgpr_workgroup_id_y 0
		.amdhsa_system_sgpr_workgroup_id_z 0
		.amdhsa_system_sgpr_workgroup_info 0
		.amdhsa_system_vgpr_workitem_id 0
		.amdhsa_next_free_vgpr 1
		.amdhsa_next_free_sgpr 1
		.amdhsa_named_barrier_count 0
		.amdhsa_reserve_vcc 0
		.amdhsa_float_round_mode_32 0
		.amdhsa_float_round_mode_16_64 0
		.amdhsa_float_denorm_mode_32 3
		.amdhsa_float_denorm_mode_16_64 3
		.amdhsa_fp16_overflow 0
		.amdhsa_memory_ordered 1
		.amdhsa_forward_progress 1
		.amdhsa_inst_pref_size 0
		.amdhsa_round_robin_scheduling 0
		.amdhsa_exception_fp_ieee_invalid_op 0
		.amdhsa_exception_fp_denorm_src 0
		.amdhsa_exception_fp_ieee_div_zero 0
		.amdhsa_exception_fp_ieee_overflow 0
		.amdhsa_exception_fp_ieee_underflow 0
		.amdhsa_exception_fp_ieee_inexact 0
		.amdhsa_exception_int_div_zero 0
	.end_amdhsa_kernel
	.section	.text._ZN7rocprim17ROCPRIM_400000_NS6detail17trampoline_kernelINS0_14default_configENS1_21merge_config_selectorINS0_5tupleIJffEEENS0_10empty_typeEEEZNS1_10merge_implIS3_NS0_12zip_iteratorINS5_IJN6thrust23THRUST_200600_302600_NS6detail15normal_iteratorINSC_10device_ptrIKfEEEESI_EEEEESK_NSA_INS5_IJNSC_16discard_iteratorINSC_11use_defaultEEESN_EEEEEPS7_SQ_SQ_NSC_11hip_rocprim7__merge17predicate_wrapperIffNSC_4lessIfEEEEEE10hipError_tPvRmT0_T1_T2_T3_T4_T5_mmT6_P12ihipStream_tbEUlT_E0_NS1_11comp_targetILNS1_3genE3ELNS1_11target_archE908ELNS1_3gpuE7ELNS1_3repE0EEENS1_30default_config_static_selectorELNS0_4arch9wavefront6targetE0EEEvS11_,"axG",@progbits,_ZN7rocprim17ROCPRIM_400000_NS6detail17trampoline_kernelINS0_14default_configENS1_21merge_config_selectorINS0_5tupleIJffEEENS0_10empty_typeEEEZNS1_10merge_implIS3_NS0_12zip_iteratorINS5_IJN6thrust23THRUST_200600_302600_NS6detail15normal_iteratorINSC_10device_ptrIKfEEEESI_EEEEESK_NSA_INS5_IJNSC_16discard_iteratorINSC_11use_defaultEEESN_EEEEEPS7_SQ_SQ_NSC_11hip_rocprim7__merge17predicate_wrapperIffNSC_4lessIfEEEEEE10hipError_tPvRmT0_T1_T2_T3_T4_T5_mmT6_P12ihipStream_tbEUlT_E0_NS1_11comp_targetILNS1_3genE3ELNS1_11target_archE908ELNS1_3gpuE7ELNS1_3repE0EEENS1_30default_config_static_selectorELNS0_4arch9wavefront6targetE0EEEvS11_,comdat
.Lfunc_end509:
	.size	_ZN7rocprim17ROCPRIM_400000_NS6detail17trampoline_kernelINS0_14default_configENS1_21merge_config_selectorINS0_5tupleIJffEEENS0_10empty_typeEEEZNS1_10merge_implIS3_NS0_12zip_iteratorINS5_IJN6thrust23THRUST_200600_302600_NS6detail15normal_iteratorINSC_10device_ptrIKfEEEESI_EEEEESK_NSA_INS5_IJNSC_16discard_iteratorINSC_11use_defaultEEESN_EEEEEPS7_SQ_SQ_NSC_11hip_rocprim7__merge17predicate_wrapperIffNSC_4lessIfEEEEEE10hipError_tPvRmT0_T1_T2_T3_T4_T5_mmT6_P12ihipStream_tbEUlT_E0_NS1_11comp_targetILNS1_3genE3ELNS1_11target_archE908ELNS1_3gpuE7ELNS1_3repE0EEENS1_30default_config_static_selectorELNS0_4arch9wavefront6targetE0EEEvS11_, .Lfunc_end509-_ZN7rocprim17ROCPRIM_400000_NS6detail17trampoline_kernelINS0_14default_configENS1_21merge_config_selectorINS0_5tupleIJffEEENS0_10empty_typeEEEZNS1_10merge_implIS3_NS0_12zip_iteratorINS5_IJN6thrust23THRUST_200600_302600_NS6detail15normal_iteratorINSC_10device_ptrIKfEEEESI_EEEEESK_NSA_INS5_IJNSC_16discard_iteratorINSC_11use_defaultEEESN_EEEEEPS7_SQ_SQ_NSC_11hip_rocprim7__merge17predicate_wrapperIffNSC_4lessIfEEEEEE10hipError_tPvRmT0_T1_T2_T3_T4_T5_mmT6_P12ihipStream_tbEUlT_E0_NS1_11comp_targetILNS1_3genE3ELNS1_11target_archE908ELNS1_3gpuE7ELNS1_3repE0EEENS1_30default_config_static_selectorELNS0_4arch9wavefront6targetE0EEEvS11_
                                        ; -- End function
	.set _ZN7rocprim17ROCPRIM_400000_NS6detail17trampoline_kernelINS0_14default_configENS1_21merge_config_selectorINS0_5tupleIJffEEENS0_10empty_typeEEEZNS1_10merge_implIS3_NS0_12zip_iteratorINS5_IJN6thrust23THRUST_200600_302600_NS6detail15normal_iteratorINSC_10device_ptrIKfEEEESI_EEEEESK_NSA_INS5_IJNSC_16discard_iteratorINSC_11use_defaultEEESN_EEEEEPS7_SQ_SQ_NSC_11hip_rocprim7__merge17predicate_wrapperIffNSC_4lessIfEEEEEE10hipError_tPvRmT0_T1_T2_T3_T4_T5_mmT6_P12ihipStream_tbEUlT_E0_NS1_11comp_targetILNS1_3genE3ELNS1_11target_archE908ELNS1_3gpuE7ELNS1_3repE0EEENS1_30default_config_static_selectorELNS0_4arch9wavefront6targetE0EEEvS11_.num_vgpr, 0
	.set _ZN7rocprim17ROCPRIM_400000_NS6detail17trampoline_kernelINS0_14default_configENS1_21merge_config_selectorINS0_5tupleIJffEEENS0_10empty_typeEEEZNS1_10merge_implIS3_NS0_12zip_iteratorINS5_IJN6thrust23THRUST_200600_302600_NS6detail15normal_iteratorINSC_10device_ptrIKfEEEESI_EEEEESK_NSA_INS5_IJNSC_16discard_iteratorINSC_11use_defaultEEESN_EEEEEPS7_SQ_SQ_NSC_11hip_rocprim7__merge17predicate_wrapperIffNSC_4lessIfEEEEEE10hipError_tPvRmT0_T1_T2_T3_T4_T5_mmT6_P12ihipStream_tbEUlT_E0_NS1_11comp_targetILNS1_3genE3ELNS1_11target_archE908ELNS1_3gpuE7ELNS1_3repE0EEENS1_30default_config_static_selectorELNS0_4arch9wavefront6targetE0EEEvS11_.num_agpr, 0
	.set _ZN7rocprim17ROCPRIM_400000_NS6detail17trampoline_kernelINS0_14default_configENS1_21merge_config_selectorINS0_5tupleIJffEEENS0_10empty_typeEEEZNS1_10merge_implIS3_NS0_12zip_iteratorINS5_IJN6thrust23THRUST_200600_302600_NS6detail15normal_iteratorINSC_10device_ptrIKfEEEESI_EEEEESK_NSA_INS5_IJNSC_16discard_iteratorINSC_11use_defaultEEESN_EEEEEPS7_SQ_SQ_NSC_11hip_rocprim7__merge17predicate_wrapperIffNSC_4lessIfEEEEEE10hipError_tPvRmT0_T1_T2_T3_T4_T5_mmT6_P12ihipStream_tbEUlT_E0_NS1_11comp_targetILNS1_3genE3ELNS1_11target_archE908ELNS1_3gpuE7ELNS1_3repE0EEENS1_30default_config_static_selectorELNS0_4arch9wavefront6targetE0EEEvS11_.numbered_sgpr, 0
	.set _ZN7rocprim17ROCPRIM_400000_NS6detail17trampoline_kernelINS0_14default_configENS1_21merge_config_selectorINS0_5tupleIJffEEENS0_10empty_typeEEEZNS1_10merge_implIS3_NS0_12zip_iteratorINS5_IJN6thrust23THRUST_200600_302600_NS6detail15normal_iteratorINSC_10device_ptrIKfEEEESI_EEEEESK_NSA_INS5_IJNSC_16discard_iteratorINSC_11use_defaultEEESN_EEEEEPS7_SQ_SQ_NSC_11hip_rocprim7__merge17predicate_wrapperIffNSC_4lessIfEEEEEE10hipError_tPvRmT0_T1_T2_T3_T4_T5_mmT6_P12ihipStream_tbEUlT_E0_NS1_11comp_targetILNS1_3genE3ELNS1_11target_archE908ELNS1_3gpuE7ELNS1_3repE0EEENS1_30default_config_static_selectorELNS0_4arch9wavefront6targetE0EEEvS11_.num_named_barrier, 0
	.set _ZN7rocprim17ROCPRIM_400000_NS6detail17trampoline_kernelINS0_14default_configENS1_21merge_config_selectorINS0_5tupleIJffEEENS0_10empty_typeEEEZNS1_10merge_implIS3_NS0_12zip_iteratorINS5_IJN6thrust23THRUST_200600_302600_NS6detail15normal_iteratorINSC_10device_ptrIKfEEEESI_EEEEESK_NSA_INS5_IJNSC_16discard_iteratorINSC_11use_defaultEEESN_EEEEEPS7_SQ_SQ_NSC_11hip_rocprim7__merge17predicate_wrapperIffNSC_4lessIfEEEEEE10hipError_tPvRmT0_T1_T2_T3_T4_T5_mmT6_P12ihipStream_tbEUlT_E0_NS1_11comp_targetILNS1_3genE3ELNS1_11target_archE908ELNS1_3gpuE7ELNS1_3repE0EEENS1_30default_config_static_selectorELNS0_4arch9wavefront6targetE0EEEvS11_.private_seg_size, 0
	.set _ZN7rocprim17ROCPRIM_400000_NS6detail17trampoline_kernelINS0_14default_configENS1_21merge_config_selectorINS0_5tupleIJffEEENS0_10empty_typeEEEZNS1_10merge_implIS3_NS0_12zip_iteratorINS5_IJN6thrust23THRUST_200600_302600_NS6detail15normal_iteratorINSC_10device_ptrIKfEEEESI_EEEEESK_NSA_INS5_IJNSC_16discard_iteratorINSC_11use_defaultEEESN_EEEEEPS7_SQ_SQ_NSC_11hip_rocprim7__merge17predicate_wrapperIffNSC_4lessIfEEEEEE10hipError_tPvRmT0_T1_T2_T3_T4_T5_mmT6_P12ihipStream_tbEUlT_E0_NS1_11comp_targetILNS1_3genE3ELNS1_11target_archE908ELNS1_3gpuE7ELNS1_3repE0EEENS1_30default_config_static_selectorELNS0_4arch9wavefront6targetE0EEEvS11_.uses_vcc, 0
	.set _ZN7rocprim17ROCPRIM_400000_NS6detail17trampoline_kernelINS0_14default_configENS1_21merge_config_selectorINS0_5tupleIJffEEENS0_10empty_typeEEEZNS1_10merge_implIS3_NS0_12zip_iteratorINS5_IJN6thrust23THRUST_200600_302600_NS6detail15normal_iteratorINSC_10device_ptrIKfEEEESI_EEEEESK_NSA_INS5_IJNSC_16discard_iteratorINSC_11use_defaultEEESN_EEEEEPS7_SQ_SQ_NSC_11hip_rocprim7__merge17predicate_wrapperIffNSC_4lessIfEEEEEE10hipError_tPvRmT0_T1_T2_T3_T4_T5_mmT6_P12ihipStream_tbEUlT_E0_NS1_11comp_targetILNS1_3genE3ELNS1_11target_archE908ELNS1_3gpuE7ELNS1_3repE0EEENS1_30default_config_static_selectorELNS0_4arch9wavefront6targetE0EEEvS11_.uses_flat_scratch, 0
	.set _ZN7rocprim17ROCPRIM_400000_NS6detail17trampoline_kernelINS0_14default_configENS1_21merge_config_selectorINS0_5tupleIJffEEENS0_10empty_typeEEEZNS1_10merge_implIS3_NS0_12zip_iteratorINS5_IJN6thrust23THRUST_200600_302600_NS6detail15normal_iteratorINSC_10device_ptrIKfEEEESI_EEEEESK_NSA_INS5_IJNSC_16discard_iteratorINSC_11use_defaultEEESN_EEEEEPS7_SQ_SQ_NSC_11hip_rocprim7__merge17predicate_wrapperIffNSC_4lessIfEEEEEE10hipError_tPvRmT0_T1_T2_T3_T4_T5_mmT6_P12ihipStream_tbEUlT_E0_NS1_11comp_targetILNS1_3genE3ELNS1_11target_archE908ELNS1_3gpuE7ELNS1_3repE0EEENS1_30default_config_static_selectorELNS0_4arch9wavefront6targetE0EEEvS11_.has_dyn_sized_stack, 0
	.set _ZN7rocprim17ROCPRIM_400000_NS6detail17trampoline_kernelINS0_14default_configENS1_21merge_config_selectorINS0_5tupleIJffEEENS0_10empty_typeEEEZNS1_10merge_implIS3_NS0_12zip_iteratorINS5_IJN6thrust23THRUST_200600_302600_NS6detail15normal_iteratorINSC_10device_ptrIKfEEEESI_EEEEESK_NSA_INS5_IJNSC_16discard_iteratorINSC_11use_defaultEEESN_EEEEEPS7_SQ_SQ_NSC_11hip_rocprim7__merge17predicate_wrapperIffNSC_4lessIfEEEEEE10hipError_tPvRmT0_T1_T2_T3_T4_T5_mmT6_P12ihipStream_tbEUlT_E0_NS1_11comp_targetILNS1_3genE3ELNS1_11target_archE908ELNS1_3gpuE7ELNS1_3repE0EEENS1_30default_config_static_selectorELNS0_4arch9wavefront6targetE0EEEvS11_.has_recursion, 0
	.set _ZN7rocprim17ROCPRIM_400000_NS6detail17trampoline_kernelINS0_14default_configENS1_21merge_config_selectorINS0_5tupleIJffEEENS0_10empty_typeEEEZNS1_10merge_implIS3_NS0_12zip_iteratorINS5_IJN6thrust23THRUST_200600_302600_NS6detail15normal_iteratorINSC_10device_ptrIKfEEEESI_EEEEESK_NSA_INS5_IJNSC_16discard_iteratorINSC_11use_defaultEEESN_EEEEEPS7_SQ_SQ_NSC_11hip_rocprim7__merge17predicate_wrapperIffNSC_4lessIfEEEEEE10hipError_tPvRmT0_T1_T2_T3_T4_T5_mmT6_P12ihipStream_tbEUlT_E0_NS1_11comp_targetILNS1_3genE3ELNS1_11target_archE908ELNS1_3gpuE7ELNS1_3repE0EEENS1_30default_config_static_selectorELNS0_4arch9wavefront6targetE0EEEvS11_.has_indirect_call, 0
	.section	.AMDGPU.csdata,"",@progbits
; Kernel info:
; codeLenInByte = 0
; TotalNumSgprs: 0
; NumVgprs: 0
; ScratchSize: 0
; MemoryBound: 0
; FloatMode: 240
; IeeeMode: 1
; LDSByteSize: 0 bytes/workgroup (compile time only)
; SGPRBlocks: 0
; VGPRBlocks: 0
; NumSGPRsForWavesPerEU: 1
; NumVGPRsForWavesPerEU: 1
; NamedBarCnt: 0
; Occupancy: 16
; WaveLimiterHint : 0
; COMPUTE_PGM_RSRC2:SCRATCH_EN: 0
; COMPUTE_PGM_RSRC2:USER_SGPR: 2
; COMPUTE_PGM_RSRC2:TRAP_HANDLER: 0
; COMPUTE_PGM_RSRC2:TGID_X_EN: 1
; COMPUTE_PGM_RSRC2:TGID_Y_EN: 0
; COMPUTE_PGM_RSRC2:TGID_Z_EN: 0
; COMPUTE_PGM_RSRC2:TIDIG_COMP_CNT: 0
	.section	.text._ZN7rocprim17ROCPRIM_400000_NS6detail17trampoline_kernelINS0_14default_configENS1_21merge_config_selectorINS0_5tupleIJffEEENS0_10empty_typeEEEZNS1_10merge_implIS3_NS0_12zip_iteratorINS5_IJN6thrust23THRUST_200600_302600_NS6detail15normal_iteratorINSC_10device_ptrIKfEEEESI_EEEEESK_NSA_INS5_IJNSC_16discard_iteratorINSC_11use_defaultEEESN_EEEEEPS7_SQ_SQ_NSC_11hip_rocprim7__merge17predicate_wrapperIffNSC_4lessIfEEEEEE10hipError_tPvRmT0_T1_T2_T3_T4_T5_mmT6_P12ihipStream_tbEUlT_E0_NS1_11comp_targetILNS1_3genE2ELNS1_11target_archE906ELNS1_3gpuE6ELNS1_3repE0EEENS1_30default_config_static_selectorELNS0_4arch9wavefront6targetE0EEEvS11_,"axG",@progbits,_ZN7rocprim17ROCPRIM_400000_NS6detail17trampoline_kernelINS0_14default_configENS1_21merge_config_selectorINS0_5tupleIJffEEENS0_10empty_typeEEEZNS1_10merge_implIS3_NS0_12zip_iteratorINS5_IJN6thrust23THRUST_200600_302600_NS6detail15normal_iteratorINSC_10device_ptrIKfEEEESI_EEEEESK_NSA_INS5_IJNSC_16discard_iteratorINSC_11use_defaultEEESN_EEEEEPS7_SQ_SQ_NSC_11hip_rocprim7__merge17predicate_wrapperIffNSC_4lessIfEEEEEE10hipError_tPvRmT0_T1_T2_T3_T4_T5_mmT6_P12ihipStream_tbEUlT_E0_NS1_11comp_targetILNS1_3genE2ELNS1_11target_archE906ELNS1_3gpuE6ELNS1_3repE0EEENS1_30default_config_static_selectorELNS0_4arch9wavefront6targetE0EEEvS11_,comdat
	.protected	_ZN7rocprim17ROCPRIM_400000_NS6detail17trampoline_kernelINS0_14default_configENS1_21merge_config_selectorINS0_5tupleIJffEEENS0_10empty_typeEEEZNS1_10merge_implIS3_NS0_12zip_iteratorINS5_IJN6thrust23THRUST_200600_302600_NS6detail15normal_iteratorINSC_10device_ptrIKfEEEESI_EEEEESK_NSA_INS5_IJNSC_16discard_iteratorINSC_11use_defaultEEESN_EEEEEPS7_SQ_SQ_NSC_11hip_rocprim7__merge17predicate_wrapperIffNSC_4lessIfEEEEEE10hipError_tPvRmT0_T1_T2_T3_T4_T5_mmT6_P12ihipStream_tbEUlT_E0_NS1_11comp_targetILNS1_3genE2ELNS1_11target_archE906ELNS1_3gpuE6ELNS1_3repE0EEENS1_30default_config_static_selectorELNS0_4arch9wavefront6targetE0EEEvS11_ ; -- Begin function _ZN7rocprim17ROCPRIM_400000_NS6detail17trampoline_kernelINS0_14default_configENS1_21merge_config_selectorINS0_5tupleIJffEEENS0_10empty_typeEEEZNS1_10merge_implIS3_NS0_12zip_iteratorINS5_IJN6thrust23THRUST_200600_302600_NS6detail15normal_iteratorINSC_10device_ptrIKfEEEESI_EEEEESK_NSA_INS5_IJNSC_16discard_iteratorINSC_11use_defaultEEESN_EEEEEPS7_SQ_SQ_NSC_11hip_rocprim7__merge17predicate_wrapperIffNSC_4lessIfEEEEEE10hipError_tPvRmT0_T1_T2_T3_T4_T5_mmT6_P12ihipStream_tbEUlT_E0_NS1_11comp_targetILNS1_3genE2ELNS1_11target_archE906ELNS1_3gpuE6ELNS1_3repE0EEENS1_30default_config_static_selectorELNS0_4arch9wavefront6targetE0EEEvS11_
	.globl	_ZN7rocprim17ROCPRIM_400000_NS6detail17trampoline_kernelINS0_14default_configENS1_21merge_config_selectorINS0_5tupleIJffEEENS0_10empty_typeEEEZNS1_10merge_implIS3_NS0_12zip_iteratorINS5_IJN6thrust23THRUST_200600_302600_NS6detail15normal_iteratorINSC_10device_ptrIKfEEEESI_EEEEESK_NSA_INS5_IJNSC_16discard_iteratorINSC_11use_defaultEEESN_EEEEEPS7_SQ_SQ_NSC_11hip_rocprim7__merge17predicate_wrapperIffNSC_4lessIfEEEEEE10hipError_tPvRmT0_T1_T2_T3_T4_T5_mmT6_P12ihipStream_tbEUlT_E0_NS1_11comp_targetILNS1_3genE2ELNS1_11target_archE906ELNS1_3gpuE6ELNS1_3repE0EEENS1_30default_config_static_selectorELNS0_4arch9wavefront6targetE0EEEvS11_
	.p2align	8
	.type	_ZN7rocprim17ROCPRIM_400000_NS6detail17trampoline_kernelINS0_14default_configENS1_21merge_config_selectorINS0_5tupleIJffEEENS0_10empty_typeEEEZNS1_10merge_implIS3_NS0_12zip_iteratorINS5_IJN6thrust23THRUST_200600_302600_NS6detail15normal_iteratorINSC_10device_ptrIKfEEEESI_EEEEESK_NSA_INS5_IJNSC_16discard_iteratorINSC_11use_defaultEEESN_EEEEEPS7_SQ_SQ_NSC_11hip_rocprim7__merge17predicate_wrapperIffNSC_4lessIfEEEEEE10hipError_tPvRmT0_T1_T2_T3_T4_T5_mmT6_P12ihipStream_tbEUlT_E0_NS1_11comp_targetILNS1_3genE2ELNS1_11target_archE906ELNS1_3gpuE6ELNS1_3repE0EEENS1_30default_config_static_selectorELNS0_4arch9wavefront6targetE0EEEvS11_,@function
_ZN7rocprim17ROCPRIM_400000_NS6detail17trampoline_kernelINS0_14default_configENS1_21merge_config_selectorINS0_5tupleIJffEEENS0_10empty_typeEEEZNS1_10merge_implIS3_NS0_12zip_iteratorINS5_IJN6thrust23THRUST_200600_302600_NS6detail15normal_iteratorINSC_10device_ptrIKfEEEESI_EEEEESK_NSA_INS5_IJNSC_16discard_iteratorINSC_11use_defaultEEESN_EEEEEPS7_SQ_SQ_NSC_11hip_rocprim7__merge17predicate_wrapperIffNSC_4lessIfEEEEEE10hipError_tPvRmT0_T1_T2_T3_T4_T5_mmT6_P12ihipStream_tbEUlT_E0_NS1_11comp_targetILNS1_3genE2ELNS1_11target_archE906ELNS1_3gpuE6ELNS1_3repE0EEENS1_30default_config_static_selectorELNS0_4arch9wavefront6targetE0EEEvS11_: ; @_ZN7rocprim17ROCPRIM_400000_NS6detail17trampoline_kernelINS0_14default_configENS1_21merge_config_selectorINS0_5tupleIJffEEENS0_10empty_typeEEEZNS1_10merge_implIS3_NS0_12zip_iteratorINS5_IJN6thrust23THRUST_200600_302600_NS6detail15normal_iteratorINSC_10device_ptrIKfEEEESI_EEEEESK_NSA_INS5_IJNSC_16discard_iteratorINSC_11use_defaultEEESN_EEEEEPS7_SQ_SQ_NSC_11hip_rocprim7__merge17predicate_wrapperIffNSC_4lessIfEEEEEE10hipError_tPvRmT0_T1_T2_T3_T4_T5_mmT6_P12ihipStream_tbEUlT_E0_NS1_11comp_targetILNS1_3genE2ELNS1_11target_archE906ELNS1_3gpuE6ELNS1_3repE0EEENS1_30default_config_static_selectorELNS0_4arch9wavefront6targetE0EEEvS11_
; %bb.0:
	.section	.rodata,"a",@progbits
	.p2align	6, 0x0
	.amdhsa_kernel _ZN7rocprim17ROCPRIM_400000_NS6detail17trampoline_kernelINS0_14default_configENS1_21merge_config_selectorINS0_5tupleIJffEEENS0_10empty_typeEEEZNS1_10merge_implIS3_NS0_12zip_iteratorINS5_IJN6thrust23THRUST_200600_302600_NS6detail15normal_iteratorINSC_10device_ptrIKfEEEESI_EEEEESK_NSA_INS5_IJNSC_16discard_iteratorINSC_11use_defaultEEESN_EEEEEPS7_SQ_SQ_NSC_11hip_rocprim7__merge17predicate_wrapperIffNSC_4lessIfEEEEEE10hipError_tPvRmT0_T1_T2_T3_T4_T5_mmT6_P12ihipStream_tbEUlT_E0_NS1_11comp_targetILNS1_3genE2ELNS1_11target_archE906ELNS1_3gpuE6ELNS1_3repE0EEENS1_30default_config_static_selectorELNS0_4arch9wavefront6targetE0EEEvS11_
		.amdhsa_group_segment_fixed_size 0
		.amdhsa_private_segment_fixed_size 0
		.amdhsa_kernarg_size 128
		.amdhsa_user_sgpr_count 2
		.amdhsa_user_sgpr_dispatch_ptr 0
		.amdhsa_user_sgpr_queue_ptr 0
		.amdhsa_user_sgpr_kernarg_segment_ptr 1
		.amdhsa_user_sgpr_dispatch_id 0
		.amdhsa_user_sgpr_kernarg_preload_length 0
		.amdhsa_user_sgpr_kernarg_preload_offset 0
		.amdhsa_user_sgpr_private_segment_size 0
		.amdhsa_wavefront_size32 1
		.amdhsa_uses_dynamic_stack 0
		.amdhsa_enable_private_segment 0
		.amdhsa_system_sgpr_workgroup_id_x 1
		.amdhsa_system_sgpr_workgroup_id_y 0
		.amdhsa_system_sgpr_workgroup_id_z 0
		.amdhsa_system_sgpr_workgroup_info 0
		.amdhsa_system_vgpr_workitem_id 0
		.amdhsa_next_free_vgpr 1
		.amdhsa_next_free_sgpr 1
		.amdhsa_named_barrier_count 0
		.amdhsa_reserve_vcc 0
		.amdhsa_float_round_mode_32 0
		.amdhsa_float_round_mode_16_64 0
		.amdhsa_float_denorm_mode_32 3
		.amdhsa_float_denorm_mode_16_64 3
		.amdhsa_fp16_overflow 0
		.amdhsa_memory_ordered 1
		.amdhsa_forward_progress 1
		.amdhsa_inst_pref_size 0
		.amdhsa_round_robin_scheduling 0
		.amdhsa_exception_fp_ieee_invalid_op 0
		.amdhsa_exception_fp_denorm_src 0
		.amdhsa_exception_fp_ieee_div_zero 0
		.amdhsa_exception_fp_ieee_overflow 0
		.amdhsa_exception_fp_ieee_underflow 0
		.amdhsa_exception_fp_ieee_inexact 0
		.amdhsa_exception_int_div_zero 0
	.end_amdhsa_kernel
	.section	.text._ZN7rocprim17ROCPRIM_400000_NS6detail17trampoline_kernelINS0_14default_configENS1_21merge_config_selectorINS0_5tupleIJffEEENS0_10empty_typeEEEZNS1_10merge_implIS3_NS0_12zip_iteratorINS5_IJN6thrust23THRUST_200600_302600_NS6detail15normal_iteratorINSC_10device_ptrIKfEEEESI_EEEEESK_NSA_INS5_IJNSC_16discard_iteratorINSC_11use_defaultEEESN_EEEEEPS7_SQ_SQ_NSC_11hip_rocprim7__merge17predicate_wrapperIffNSC_4lessIfEEEEEE10hipError_tPvRmT0_T1_T2_T3_T4_T5_mmT6_P12ihipStream_tbEUlT_E0_NS1_11comp_targetILNS1_3genE2ELNS1_11target_archE906ELNS1_3gpuE6ELNS1_3repE0EEENS1_30default_config_static_selectorELNS0_4arch9wavefront6targetE0EEEvS11_,"axG",@progbits,_ZN7rocprim17ROCPRIM_400000_NS6detail17trampoline_kernelINS0_14default_configENS1_21merge_config_selectorINS0_5tupleIJffEEENS0_10empty_typeEEEZNS1_10merge_implIS3_NS0_12zip_iteratorINS5_IJN6thrust23THRUST_200600_302600_NS6detail15normal_iteratorINSC_10device_ptrIKfEEEESI_EEEEESK_NSA_INS5_IJNSC_16discard_iteratorINSC_11use_defaultEEESN_EEEEEPS7_SQ_SQ_NSC_11hip_rocprim7__merge17predicate_wrapperIffNSC_4lessIfEEEEEE10hipError_tPvRmT0_T1_T2_T3_T4_T5_mmT6_P12ihipStream_tbEUlT_E0_NS1_11comp_targetILNS1_3genE2ELNS1_11target_archE906ELNS1_3gpuE6ELNS1_3repE0EEENS1_30default_config_static_selectorELNS0_4arch9wavefront6targetE0EEEvS11_,comdat
.Lfunc_end510:
	.size	_ZN7rocprim17ROCPRIM_400000_NS6detail17trampoline_kernelINS0_14default_configENS1_21merge_config_selectorINS0_5tupleIJffEEENS0_10empty_typeEEEZNS1_10merge_implIS3_NS0_12zip_iteratorINS5_IJN6thrust23THRUST_200600_302600_NS6detail15normal_iteratorINSC_10device_ptrIKfEEEESI_EEEEESK_NSA_INS5_IJNSC_16discard_iteratorINSC_11use_defaultEEESN_EEEEEPS7_SQ_SQ_NSC_11hip_rocprim7__merge17predicate_wrapperIffNSC_4lessIfEEEEEE10hipError_tPvRmT0_T1_T2_T3_T4_T5_mmT6_P12ihipStream_tbEUlT_E0_NS1_11comp_targetILNS1_3genE2ELNS1_11target_archE906ELNS1_3gpuE6ELNS1_3repE0EEENS1_30default_config_static_selectorELNS0_4arch9wavefront6targetE0EEEvS11_, .Lfunc_end510-_ZN7rocprim17ROCPRIM_400000_NS6detail17trampoline_kernelINS0_14default_configENS1_21merge_config_selectorINS0_5tupleIJffEEENS0_10empty_typeEEEZNS1_10merge_implIS3_NS0_12zip_iteratorINS5_IJN6thrust23THRUST_200600_302600_NS6detail15normal_iteratorINSC_10device_ptrIKfEEEESI_EEEEESK_NSA_INS5_IJNSC_16discard_iteratorINSC_11use_defaultEEESN_EEEEEPS7_SQ_SQ_NSC_11hip_rocprim7__merge17predicate_wrapperIffNSC_4lessIfEEEEEE10hipError_tPvRmT0_T1_T2_T3_T4_T5_mmT6_P12ihipStream_tbEUlT_E0_NS1_11comp_targetILNS1_3genE2ELNS1_11target_archE906ELNS1_3gpuE6ELNS1_3repE0EEENS1_30default_config_static_selectorELNS0_4arch9wavefront6targetE0EEEvS11_
                                        ; -- End function
	.set _ZN7rocprim17ROCPRIM_400000_NS6detail17trampoline_kernelINS0_14default_configENS1_21merge_config_selectorINS0_5tupleIJffEEENS0_10empty_typeEEEZNS1_10merge_implIS3_NS0_12zip_iteratorINS5_IJN6thrust23THRUST_200600_302600_NS6detail15normal_iteratorINSC_10device_ptrIKfEEEESI_EEEEESK_NSA_INS5_IJNSC_16discard_iteratorINSC_11use_defaultEEESN_EEEEEPS7_SQ_SQ_NSC_11hip_rocprim7__merge17predicate_wrapperIffNSC_4lessIfEEEEEE10hipError_tPvRmT0_T1_T2_T3_T4_T5_mmT6_P12ihipStream_tbEUlT_E0_NS1_11comp_targetILNS1_3genE2ELNS1_11target_archE906ELNS1_3gpuE6ELNS1_3repE0EEENS1_30default_config_static_selectorELNS0_4arch9wavefront6targetE0EEEvS11_.num_vgpr, 0
	.set _ZN7rocprim17ROCPRIM_400000_NS6detail17trampoline_kernelINS0_14default_configENS1_21merge_config_selectorINS0_5tupleIJffEEENS0_10empty_typeEEEZNS1_10merge_implIS3_NS0_12zip_iteratorINS5_IJN6thrust23THRUST_200600_302600_NS6detail15normal_iteratorINSC_10device_ptrIKfEEEESI_EEEEESK_NSA_INS5_IJNSC_16discard_iteratorINSC_11use_defaultEEESN_EEEEEPS7_SQ_SQ_NSC_11hip_rocprim7__merge17predicate_wrapperIffNSC_4lessIfEEEEEE10hipError_tPvRmT0_T1_T2_T3_T4_T5_mmT6_P12ihipStream_tbEUlT_E0_NS1_11comp_targetILNS1_3genE2ELNS1_11target_archE906ELNS1_3gpuE6ELNS1_3repE0EEENS1_30default_config_static_selectorELNS0_4arch9wavefront6targetE0EEEvS11_.num_agpr, 0
	.set _ZN7rocprim17ROCPRIM_400000_NS6detail17trampoline_kernelINS0_14default_configENS1_21merge_config_selectorINS0_5tupleIJffEEENS0_10empty_typeEEEZNS1_10merge_implIS3_NS0_12zip_iteratorINS5_IJN6thrust23THRUST_200600_302600_NS6detail15normal_iteratorINSC_10device_ptrIKfEEEESI_EEEEESK_NSA_INS5_IJNSC_16discard_iteratorINSC_11use_defaultEEESN_EEEEEPS7_SQ_SQ_NSC_11hip_rocprim7__merge17predicate_wrapperIffNSC_4lessIfEEEEEE10hipError_tPvRmT0_T1_T2_T3_T4_T5_mmT6_P12ihipStream_tbEUlT_E0_NS1_11comp_targetILNS1_3genE2ELNS1_11target_archE906ELNS1_3gpuE6ELNS1_3repE0EEENS1_30default_config_static_selectorELNS0_4arch9wavefront6targetE0EEEvS11_.numbered_sgpr, 0
	.set _ZN7rocprim17ROCPRIM_400000_NS6detail17trampoline_kernelINS0_14default_configENS1_21merge_config_selectorINS0_5tupleIJffEEENS0_10empty_typeEEEZNS1_10merge_implIS3_NS0_12zip_iteratorINS5_IJN6thrust23THRUST_200600_302600_NS6detail15normal_iteratorINSC_10device_ptrIKfEEEESI_EEEEESK_NSA_INS5_IJNSC_16discard_iteratorINSC_11use_defaultEEESN_EEEEEPS7_SQ_SQ_NSC_11hip_rocprim7__merge17predicate_wrapperIffNSC_4lessIfEEEEEE10hipError_tPvRmT0_T1_T2_T3_T4_T5_mmT6_P12ihipStream_tbEUlT_E0_NS1_11comp_targetILNS1_3genE2ELNS1_11target_archE906ELNS1_3gpuE6ELNS1_3repE0EEENS1_30default_config_static_selectorELNS0_4arch9wavefront6targetE0EEEvS11_.num_named_barrier, 0
	.set _ZN7rocprim17ROCPRIM_400000_NS6detail17trampoline_kernelINS0_14default_configENS1_21merge_config_selectorINS0_5tupleIJffEEENS0_10empty_typeEEEZNS1_10merge_implIS3_NS0_12zip_iteratorINS5_IJN6thrust23THRUST_200600_302600_NS6detail15normal_iteratorINSC_10device_ptrIKfEEEESI_EEEEESK_NSA_INS5_IJNSC_16discard_iteratorINSC_11use_defaultEEESN_EEEEEPS7_SQ_SQ_NSC_11hip_rocprim7__merge17predicate_wrapperIffNSC_4lessIfEEEEEE10hipError_tPvRmT0_T1_T2_T3_T4_T5_mmT6_P12ihipStream_tbEUlT_E0_NS1_11comp_targetILNS1_3genE2ELNS1_11target_archE906ELNS1_3gpuE6ELNS1_3repE0EEENS1_30default_config_static_selectorELNS0_4arch9wavefront6targetE0EEEvS11_.private_seg_size, 0
	.set _ZN7rocprim17ROCPRIM_400000_NS6detail17trampoline_kernelINS0_14default_configENS1_21merge_config_selectorINS0_5tupleIJffEEENS0_10empty_typeEEEZNS1_10merge_implIS3_NS0_12zip_iteratorINS5_IJN6thrust23THRUST_200600_302600_NS6detail15normal_iteratorINSC_10device_ptrIKfEEEESI_EEEEESK_NSA_INS5_IJNSC_16discard_iteratorINSC_11use_defaultEEESN_EEEEEPS7_SQ_SQ_NSC_11hip_rocprim7__merge17predicate_wrapperIffNSC_4lessIfEEEEEE10hipError_tPvRmT0_T1_T2_T3_T4_T5_mmT6_P12ihipStream_tbEUlT_E0_NS1_11comp_targetILNS1_3genE2ELNS1_11target_archE906ELNS1_3gpuE6ELNS1_3repE0EEENS1_30default_config_static_selectorELNS0_4arch9wavefront6targetE0EEEvS11_.uses_vcc, 0
	.set _ZN7rocprim17ROCPRIM_400000_NS6detail17trampoline_kernelINS0_14default_configENS1_21merge_config_selectorINS0_5tupleIJffEEENS0_10empty_typeEEEZNS1_10merge_implIS3_NS0_12zip_iteratorINS5_IJN6thrust23THRUST_200600_302600_NS6detail15normal_iteratorINSC_10device_ptrIKfEEEESI_EEEEESK_NSA_INS5_IJNSC_16discard_iteratorINSC_11use_defaultEEESN_EEEEEPS7_SQ_SQ_NSC_11hip_rocprim7__merge17predicate_wrapperIffNSC_4lessIfEEEEEE10hipError_tPvRmT0_T1_T2_T3_T4_T5_mmT6_P12ihipStream_tbEUlT_E0_NS1_11comp_targetILNS1_3genE2ELNS1_11target_archE906ELNS1_3gpuE6ELNS1_3repE0EEENS1_30default_config_static_selectorELNS0_4arch9wavefront6targetE0EEEvS11_.uses_flat_scratch, 0
	.set _ZN7rocprim17ROCPRIM_400000_NS6detail17trampoline_kernelINS0_14default_configENS1_21merge_config_selectorINS0_5tupleIJffEEENS0_10empty_typeEEEZNS1_10merge_implIS3_NS0_12zip_iteratorINS5_IJN6thrust23THRUST_200600_302600_NS6detail15normal_iteratorINSC_10device_ptrIKfEEEESI_EEEEESK_NSA_INS5_IJNSC_16discard_iteratorINSC_11use_defaultEEESN_EEEEEPS7_SQ_SQ_NSC_11hip_rocprim7__merge17predicate_wrapperIffNSC_4lessIfEEEEEE10hipError_tPvRmT0_T1_T2_T3_T4_T5_mmT6_P12ihipStream_tbEUlT_E0_NS1_11comp_targetILNS1_3genE2ELNS1_11target_archE906ELNS1_3gpuE6ELNS1_3repE0EEENS1_30default_config_static_selectorELNS0_4arch9wavefront6targetE0EEEvS11_.has_dyn_sized_stack, 0
	.set _ZN7rocprim17ROCPRIM_400000_NS6detail17trampoline_kernelINS0_14default_configENS1_21merge_config_selectorINS0_5tupleIJffEEENS0_10empty_typeEEEZNS1_10merge_implIS3_NS0_12zip_iteratorINS5_IJN6thrust23THRUST_200600_302600_NS6detail15normal_iteratorINSC_10device_ptrIKfEEEESI_EEEEESK_NSA_INS5_IJNSC_16discard_iteratorINSC_11use_defaultEEESN_EEEEEPS7_SQ_SQ_NSC_11hip_rocprim7__merge17predicate_wrapperIffNSC_4lessIfEEEEEE10hipError_tPvRmT0_T1_T2_T3_T4_T5_mmT6_P12ihipStream_tbEUlT_E0_NS1_11comp_targetILNS1_3genE2ELNS1_11target_archE906ELNS1_3gpuE6ELNS1_3repE0EEENS1_30default_config_static_selectorELNS0_4arch9wavefront6targetE0EEEvS11_.has_recursion, 0
	.set _ZN7rocprim17ROCPRIM_400000_NS6detail17trampoline_kernelINS0_14default_configENS1_21merge_config_selectorINS0_5tupleIJffEEENS0_10empty_typeEEEZNS1_10merge_implIS3_NS0_12zip_iteratorINS5_IJN6thrust23THRUST_200600_302600_NS6detail15normal_iteratorINSC_10device_ptrIKfEEEESI_EEEEESK_NSA_INS5_IJNSC_16discard_iteratorINSC_11use_defaultEEESN_EEEEEPS7_SQ_SQ_NSC_11hip_rocprim7__merge17predicate_wrapperIffNSC_4lessIfEEEEEE10hipError_tPvRmT0_T1_T2_T3_T4_T5_mmT6_P12ihipStream_tbEUlT_E0_NS1_11comp_targetILNS1_3genE2ELNS1_11target_archE906ELNS1_3gpuE6ELNS1_3repE0EEENS1_30default_config_static_selectorELNS0_4arch9wavefront6targetE0EEEvS11_.has_indirect_call, 0
	.section	.AMDGPU.csdata,"",@progbits
; Kernel info:
; codeLenInByte = 0
; TotalNumSgprs: 0
; NumVgprs: 0
; ScratchSize: 0
; MemoryBound: 0
; FloatMode: 240
; IeeeMode: 1
; LDSByteSize: 0 bytes/workgroup (compile time only)
; SGPRBlocks: 0
; VGPRBlocks: 0
; NumSGPRsForWavesPerEU: 1
; NumVGPRsForWavesPerEU: 1
; NamedBarCnt: 0
; Occupancy: 16
; WaveLimiterHint : 0
; COMPUTE_PGM_RSRC2:SCRATCH_EN: 0
; COMPUTE_PGM_RSRC2:USER_SGPR: 2
; COMPUTE_PGM_RSRC2:TRAP_HANDLER: 0
; COMPUTE_PGM_RSRC2:TGID_X_EN: 1
; COMPUTE_PGM_RSRC2:TGID_Y_EN: 0
; COMPUTE_PGM_RSRC2:TGID_Z_EN: 0
; COMPUTE_PGM_RSRC2:TIDIG_COMP_CNT: 0
	.section	.text._ZN7rocprim17ROCPRIM_400000_NS6detail17trampoline_kernelINS0_14default_configENS1_21merge_config_selectorINS0_5tupleIJffEEENS0_10empty_typeEEEZNS1_10merge_implIS3_NS0_12zip_iteratorINS5_IJN6thrust23THRUST_200600_302600_NS6detail15normal_iteratorINSC_10device_ptrIKfEEEESI_EEEEESK_NSA_INS5_IJNSC_16discard_iteratorINSC_11use_defaultEEESN_EEEEEPS7_SQ_SQ_NSC_11hip_rocprim7__merge17predicate_wrapperIffNSC_4lessIfEEEEEE10hipError_tPvRmT0_T1_T2_T3_T4_T5_mmT6_P12ihipStream_tbEUlT_E0_NS1_11comp_targetILNS1_3genE10ELNS1_11target_archE1201ELNS1_3gpuE5ELNS1_3repE0EEENS1_30default_config_static_selectorELNS0_4arch9wavefront6targetE0EEEvS11_,"axG",@progbits,_ZN7rocprim17ROCPRIM_400000_NS6detail17trampoline_kernelINS0_14default_configENS1_21merge_config_selectorINS0_5tupleIJffEEENS0_10empty_typeEEEZNS1_10merge_implIS3_NS0_12zip_iteratorINS5_IJN6thrust23THRUST_200600_302600_NS6detail15normal_iteratorINSC_10device_ptrIKfEEEESI_EEEEESK_NSA_INS5_IJNSC_16discard_iteratorINSC_11use_defaultEEESN_EEEEEPS7_SQ_SQ_NSC_11hip_rocprim7__merge17predicate_wrapperIffNSC_4lessIfEEEEEE10hipError_tPvRmT0_T1_T2_T3_T4_T5_mmT6_P12ihipStream_tbEUlT_E0_NS1_11comp_targetILNS1_3genE10ELNS1_11target_archE1201ELNS1_3gpuE5ELNS1_3repE0EEENS1_30default_config_static_selectorELNS0_4arch9wavefront6targetE0EEEvS11_,comdat
	.protected	_ZN7rocprim17ROCPRIM_400000_NS6detail17trampoline_kernelINS0_14default_configENS1_21merge_config_selectorINS0_5tupleIJffEEENS0_10empty_typeEEEZNS1_10merge_implIS3_NS0_12zip_iteratorINS5_IJN6thrust23THRUST_200600_302600_NS6detail15normal_iteratorINSC_10device_ptrIKfEEEESI_EEEEESK_NSA_INS5_IJNSC_16discard_iteratorINSC_11use_defaultEEESN_EEEEEPS7_SQ_SQ_NSC_11hip_rocprim7__merge17predicate_wrapperIffNSC_4lessIfEEEEEE10hipError_tPvRmT0_T1_T2_T3_T4_T5_mmT6_P12ihipStream_tbEUlT_E0_NS1_11comp_targetILNS1_3genE10ELNS1_11target_archE1201ELNS1_3gpuE5ELNS1_3repE0EEENS1_30default_config_static_selectorELNS0_4arch9wavefront6targetE0EEEvS11_ ; -- Begin function _ZN7rocprim17ROCPRIM_400000_NS6detail17trampoline_kernelINS0_14default_configENS1_21merge_config_selectorINS0_5tupleIJffEEENS0_10empty_typeEEEZNS1_10merge_implIS3_NS0_12zip_iteratorINS5_IJN6thrust23THRUST_200600_302600_NS6detail15normal_iteratorINSC_10device_ptrIKfEEEESI_EEEEESK_NSA_INS5_IJNSC_16discard_iteratorINSC_11use_defaultEEESN_EEEEEPS7_SQ_SQ_NSC_11hip_rocprim7__merge17predicate_wrapperIffNSC_4lessIfEEEEEE10hipError_tPvRmT0_T1_T2_T3_T4_T5_mmT6_P12ihipStream_tbEUlT_E0_NS1_11comp_targetILNS1_3genE10ELNS1_11target_archE1201ELNS1_3gpuE5ELNS1_3repE0EEENS1_30default_config_static_selectorELNS0_4arch9wavefront6targetE0EEEvS11_
	.globl	_ZN7rocprim17ROCPRIM_400000_NS6detail17trampoline_kernelINS0_14default_configENS1_21merge_config_selectorINS0_5tupleIJffEEENS0_10empty_typeEEEZNS1_10merge_implIS3_NS0_12zip_iteratorINS5_IJN6thrust23THRUST_200600_302600_NS6detail15normal_iteratorINSC_10device_ptrIKfEEEESI_EEEEESK_NSA_INS5_IJNSC_16discard_iteratorINSC_11use_defaultEEESN_EEEEEPS7_SQ_SQ_NSC_11hip_rocprim7__merge17predicate_wrapperIffNSC_4lessIfEEEEEE10hipError_tPvRmT0_T1_T2_T3_T4_T5_mmT6_P12ihipStream_tbEUlT_E0_NS1_11comp_targetILNS1_3genE10ELNS1_11target_archE1201ELNS1_3gpuE5ELNS1_3repE0EEENS1_30default_config_static_selectorELNS0_4arch9wavefront6targetE0EEEvS11_
	.p2align	8
	.type	_ZN7rocprim17ROCPRIM_400000_NS6detail17trampoline_kernelINS0_14default_configENS1_21merge_config_selectorINS0_5tupleIJffEEENS0_10empty_typeEEEZNS1_10merge_implIS3_NS0_12zip_iteratorINS5_IJN6thrust23THRUST_200600_302600_NS6detail15normal_iteratorINSC_10device_ptrIKfEEEESI_EEEEESK_NSA_INS5_IJNSC_16discard_iteratorINSC_11use_defaultEEESN_EEEEEPS7_SQ_SQ_NSC_11hip_rocprim7__merge17predicate_wrapperIffNSC_4lessIfEEEEEE10hipError_tPvRmT0_T1_T2_T3_T4_T5_mmT6_P12ihipStream_tbEUlT_E0_NS1_11comp_targetILNS1_3genE10ELNS1_11target_archE1201ELNS1_3gpuE5ELNS1_3repE0EEENS1_30default_config_static_selectorELNS0_4arch9wavefront6targetE0EEEvS11_,@function
_ZN7rocprim17ROCPRIM_400000_NS6detail17trampoline_kernelINS0_14default_configENS1_21merge_config_selectorINS0_5tupleIJffEEENS0_10empty_typeEEEZNS1_10merge_implIS3_NS0_12zip_iteratorINS5_IJN6thrust23THRUST_200600_302600_NS6detail15normal_iteratorINSC_10device_ptrIKfEEEESI_EEEEESK_NSA_INS5_IJNSC_16discard_iteratorINSC_11use_defaultEEESN_EEEEEPS7_SQ_SQ_NSC_11hip_rocprim7__merge17predicate_wrapperIffNSC_4lessIfEEEEEE10hipError_tPvRmT0_T1_T2_T3_T4_T5_mmT6_P12ihipStream_tbEUlT_E0_NS1_11comp_targetILNS1_3genE10ELNS1_11target_archE1201ELNS1_3gpuE5ELNS1_3repE0EEENS1_30default_config_static_selectorELNS0_4arch9wavefront6targetE0EEEvS11_: ; @_ZN7rocprim17ROCPRIM_400000_NS6detail17trampoline_kernelINS0_14default_configENS1_21merge_config_selectorINS0_5tupleIJffEEENS0_10empty_typeEEEZNS1_10merge_implIS3_NS0_12zip_iteratorINS5_IJN6thrust23THRUST_200600_302600_NS6detail15normal_iteratorINSC_10device_ptrIKfEEEESI_EEEEESK_NSA_INS5_IJNSC_16discard_iteratorINSC_11use_defaultEEESN_EEEEEPS7_SQ_SQ_NSC_11hip_rocprim7__merge17predicate_wrapperIffNSC_4lessIfEEEEEE10hipError_tPvRmT0_T1_T2_T3_T4_T5_mmT6_P12ihipStream_tbEUlT_E0_NS1_11comp_targetILNS1_3genE10ELNS1_11target_archE1201ELNS1_3gpuE5ELNS1_3repE0EEENS1_30default_config_static_selectorELNS0_4arch9wavefront6targetE0EEEvS11_
; %bb.0:
	.section	.rodata,"a",@progbits
	.p2align	6, 0x0
	.amdhsa_kernel _ZN7rocprim17ROCPRIM_400000_NS6detail17trampoline_kernelINS0_14default_configENS1_21merge_config_selectorINS0_5tupleIJffEEENS0_10empty_typeEEEZNS1_10merge_implIS3_NS0_12zip_iteratorINS5_IJN6thrust23THRUST_200600_302600_NS6detail15normal_iteratorINSC_10device_ptrIKfEEEESI_EEEEESK_NSA_INS5_IJNSC_16discard_iteratorINSC_11use_defaultEEESN_EEEEEPS7_SQ_SQ_NSC_11hip_rocprim7__merge17predicate_wrapperIffNSC_4lessIfEEEEEE10hipError_tPvRmT0_T1_T2_T3_T4_T5_mmT6_P12ihipStream_tbEUlT_E0_NS1_11comp_targetILNS1_3genE10ELNS1_11target_archE1201ELNS1_3gpuE5ELNS1_3repE0EEENS1_30default_config_static_selectorELNS0_4arch9wavefront6targetE0EEEvS11_
		.amdhsa_group_segment_fixed_size 0
		.amdhsa_private_segment_fixed_size 0
		.amdhsa_kernarg_size 128
		.amdhsa_user_sgpr_count 2
		.amdhsa_user_sgpr_dispatch_ptr 0
		.amdhsa_user_sgpr_queue_ptr 0
		.amdhsa_user_sgpr_kernarg_segment_ptr 1
		.amdhsa_user_sgpr_dispatch_id 0
		.amdhsa_user_sgpr_kernarg_preload_length 0
		.amdhsa_user_sgpr_kernarg_preload_offset 0
		.amdhsa_user_sgpr_private_segment_size 0
		.amdhsa_wavefront_size32 1
		.amdhsa_uses_dynamic_stack 0
		.amdhsa_enable_private_segment 0
		.amdhsa_system_sgpr_workgroup_id_x 1
		.amdhsa_system_sgpr_workgroup_id_y 0
		.amdhsa_system_sgpr_workgroup_id_z 0
		.amdhsa_system_sgpr_workgroup_info 0
		.amdhsa_system_vgpr_workitem_id 0
		.amdhsa_next_free_vgpr 1
		.amdhsa_next_free_sgpr 1
		.amdhsa_named_barrier_count 0
		.amdhsa_reserve_vcc 0
		.amdhsa_float_round_mode_32 0
		.amdhsa_float_round_mode_16_64 0
		.amdhsa_float_denorm_mode_32 3
		.amdhsa_float_denorm_mode_16_64 3
		.amdhsa_fp16_overflow 0
		.amdhsa_memory_ordered 1
		.amdhsa_forward_progress 1
		.amdhsa_inst_pref_size 0
		.amdhsa_round_robin_scheduling 0
		.amdhsa_exception_fp_ieee_invalid_op 0
		.amdhsa_exception_fp_denorm_src 0
		.amdhsa_exception_fp_ieee_div_zero 0
		.amdhsa_exception_fp_ieee_overflow 0
		.amdhsa_exception_fp_ieee_underflow 0
		.amdhsa_exception_fp_ieee_inexact 0
		.amdhsa_exception_int_div_zero 0
	.end_amdhsa_kernel
	.section	.text._ZN7rocprim17ROCPRIM_400000_NS6detail17trampoline_kernelINS0_14default_configENS1_21merge_config_selectorINS0_5tupleIJffEEENS0_10empty_typeEEEZNS1_10merge_implIS3_NS0_12zip_iteratorINS5_IJN6thrust23THRUST_200600_302600_NS6detail15normal_iteratorINSC_10device_ptrIKfEEEESI_EEEEESK_NSA_INS5_IJNSC_16discard_iteratorINSC_11use_defaultEEESN_EEEEEPS7_SQ_SQ_NSC_11hip_rocprim7__merge17predicate_wrapperIffNSC_4lessIfEEEEEE10hipError_tPvRmT0_T1_T2_T3_T4_T5_mmT6_P12ihipStream_tbEUlT_E0_NS1_11comp_targetILNS1_3genE10ELNS1_11target_archE1201ELNS1_3gpuE5ELNS1_3repE0EEENS1_30default_config_static_selectorELNS0_4arch9wavefront6targetE0EEEvS11_,"axG",@progbits,_ZN7rocprim17ROCPRIM_400000_NS6detail17trampoline_kernelINS0_14default_configENS1_21merge_config_selectorINS0_5tupleIJffEEENS0_10empty_typeEEEZNS1_10merge_implIS3_NS0_12zip_iteratorINS5_IJN6thrust23THRUST_200600_302600_NS6detail15normal_iteratorINSC_10device_ptrIKfEEEESI_EEEEESK_NSA_INS5_IJNSC_16discard_iteratorINSC_11use_defaultEEESN_EEEEEPS7_SQ_SQ_NSC_11hip_rocprim7__merge17predicate_wrapperIffNSC_4lessIfEEEEEE10hipError_tPvRmT0_T1_T2_T3_T4_T5_mmT6_P12ihipStream_tbEUlT_E0_NS1_11comp_targetILNS1_3genE10ELNS1_11target_archE1201ELNS1_3gpuE5ELNS1_3repE0EEENS1_30default_config_static_selectorELNS0_4arch9wavefront6targetE0EEEvS11_,comdat
.Lfunc_end511:
	.size	_ZN7rocprim17ROCPRIM_400000_NS6detail17trampoline_kernelINS0_14default_configENS1_21merge_config_selectorINS0_5tupleIJffEEENS0_10empty_typeEEEZNS1_10merge_implIS3_NS0_12zip_iteratorINS5_IJN6thrust23THRUST_200600_302600_NS6detail15normal_iteratorINSC_10device_ptrIKfEEEESI_EEEEESK_NSA_INS5_IJNSC_16discard_iteratorINSC_11use_defaultEEESN_EEEEEPS7_SQ_SQ_NSC_11hip_rocprim7__merge17predicate_wrapperIffNSC_4lessIfEEEEEE10hipError_tPvRmT0_T1_T2_T3_T4_T5_mmT6_P12ihipStream_tbEUlT_E0_NS1_11comp_targetILNS1_3genE10ELNS1_11target_archE1201ELNS1_3gpuE5ELNS1_3repE0EEENS1_30default_config_static_selectorELNS0_4arch9wavefront6targetE0EEEvS11_, .Lfunc_end511-_ZN7rocprim17ROCPRIM_400000_NS6detail17trampoline_kernelINS0_14default_configENS1_21merge_config_selectorINS0_5tupleIJffEEENS0_10empty_typeEEEZNS1_10merge_implIS3_NS0_12zip_iteratorINS5_IJN6thrust23THRUST_200600_302600_NS6detail15normal_iteratorINSC_10device_ptrIKfEEEESI_EEEEESK_NSA_INS5_IJNSC_16discard_iteratorINSC_11use_defaultEEESN_EEEEEPS7_SQ_SQ_NSC_11hip_rocprim7__merge17predicate_wrapperIffNSC_4lessIfEEEEEE10hipError_tPvRmT0_T1_T2_T3_T4_T5_mmT6_P12ihipStream_tbEUlT_E0_NS1_11comp_targetILNS1_3genE10ELNS1_11target_archE1201ELNS1_3gpuE5ELNS1_3repE0EEENS1_30default_config_static_selectorELNS0_4arch9wavefront6targetE0EEEvS11_
                                        ; -- End function
	.set _ZN7rocprim17ROCPRIM_400000_NS6detail17trampoline_kernelINS0_14default_configENS1_21merge_config_selectorINS0_5tupleIJffEEENS0_10empty_typeEEEZNS1_10merge_implIS3_NS0_12zip_iteratorINS5_IJN6thrust23THRUST_200600_302600_NS6detail15normal_iteratorINSC_10device_ptrIKfEEEESI_EEEEESK_NSA_INS5_IJNSC_16discard_iteratorINSC_11use_defaultEEESN_EEEEEPS7_SQ_SQ_NSC_11hip_rocprim7__merge17predicate_wrapperIffNSC_4lessIfEEEEEE10hipError_tPvRmT0_T1_T2_T3_T4_T5_mmT6_P12ihipStream_tbEUlT_E0_NS1_11comp_targetILNS1_3genE10ELNS1_11target_archE1201ELNS1_3gpuE5ELNS1_3repE0EEENS1_30default_config_static_selectorELNS0_4arch9wavefront6targetE0EEEvS11_.num_vgpr, 0
	.set _ZN7rocprim17ROCPRIM_400000_NS6detail17trampoline_kernelINS0_14default_configENS1_21merge_config_selectorINS0_5tupleIJffEEENS0_10empty_typeEEEZNS1_10merge_implIS3_NS0_12zip_iteratorINS5_IJN6thrust23THRUST_200600_302600_NS6detail15normal_iteratorINSC_10device_ptrIKfEEEESI_EEEEESK_NSA_INS5_IJNSC_16discard_iteratorINSC_11use_defaultEEESN_EEEEEPS7_SQ_SQ_NSC_11hip_rocprim7__merge17predicate_wrapperIffNSC_4lessIfEEEEEE10hipError_tPvRmT0_T1_T2_T3_T4_T5_mmT6_P12ihipStream_tbEUlT_E0_NS1_11comp_targetILNS1_3genE10ELNS1_11target_archE1201ELNS1_3gpuE5ELNS1_3repE0EEENS1_30default_config_static_selectorELNS0_4arch9wavefront6targetE0EEEvS11_.num_agpr, 0
	.set _ZN7rocprim17ROCPRIM_400000_NS6detail17trampoline_kernelINS0_14default_configENS1_21merge_config_selectorINS0_5tupleIJffEEENS0_10empty_typeEEEZNS1_10merge_implIS3_NS0_12zip_iteratorINS5_IJN6thrust23THRUST_200600_302600_NS6detail15normal_iteratorINSC_10device_ptrIKfEEEESI_EEEEESK_NSA_INS5_IJNSC_16discard_iteratorINSC_11use_defaultEEESN_EEEEEPS7_SQ_SQ_NSC_11hip_rocprim7__merge17predicate_wrapperIffNSC_4lessIfEEEEEE10hipError_tPvRmT0_T1_T2_T3_T4_T5_mmT6_P12ihipStream_tbEUlT_E0_NS1_11comp_targetILNS1_3genE10ELNS1_11target_archE1201ELNS1_3gpuE5ELNS1_3repE0EEENS1_30default_config_static_selectorELNS0_4arch9wavefront6targetE0EEEvS11_.numbered_sgpr, 0
	.set _ZN7rocprim17ROCPRIM_400000_NS6detail17trampoline_kernelINS0_14default_configENS1_21merge_config_selectorINS0_5tupleIJffEEENS0_10empty_typeEEEZNS1_10merge_implIS3_NS0_12zip_iteratorINS5_IJN6thrust23THRUST_200600_302600_NS6detail15normal_iteratorINSC_10device_ptrIKfEEEESI_EEEEESK_NSA_INS5_IJNSC_16discard_iteratorINSC_11use_defaultEEESN_EEEEEPS7_SQ_SQ_NSC_11hip_rocprim7__merge17predicate_wrapperIffNSC_4lessIfEEEEEE10hipError_tPvRmT0_T1_T2_T3_T4_T5_mmT6_P12ihipStream_tbEUlT_E0_NS1_11comp_targetILNS1_3genE10ELNS1_11target_archE1201ELNS1_3gpuE5ELNS1_3repE0EEENS1_30default_config_static_selectorELNS0_4arch9wavefront6targetE0EEEvS11_.num_named_barrier, 0
	.set _ZN7rocprim17ROCPRIM_400000_NS6detail17trampoline_kernelINS0_14default_configENS1_21merge_config_selectorINS0_5tupleIJffEEENS0_10empty_typeEEEZNS1_10merge_implIS3_NS0_12zip_iteratorINS5_IJN6thrust23THRUST_200600_302600_NS6detail15normal_iteratorINSC_10device_ptrIKfEEEESI_EEEEESK_NSA_INS5_IJNSC_16discard_iteratorINSC_11use_defaultEEESN_EEEEEPS7_SQ_SQ_NSC_11hip_rocprim7__merge17predicate_wrapperIffNSC_4lessIfEEEEEE10hipError_tPvRmT0_T1_T2_T3_T4_T5_mmT6_P12ihipStream_tbEUlT_E0_NS1_11comp_targetILNS1_3genE10ELNS1_11target_archE1201ELNS1_3gpuE5ELNS1_3repE0EEENS1_30default_config_static_selectorELNS0_4arch9wavefront6targetE0EEEvS11_.private_seg_size, 0
	.set _ZN7rocprim17ROCPRIM_400000_NS6detail17trampoline_kernelINS0_14default_configENS1_21merge_config_selectorINS0_5tupleIJffEEENS0_10empty_typeEEEZNS1_10merge_implIS3_NS0_12zip_iteratorINS5_IJN6thrust23THRUST_200600_302600_NS6detail15normal_iteratorINSC_10device_ptrIKfEEEESI_EEEEESK_NSA_INS5_IJNSC_16discard_iteratorINSC_11use_defaultEEESN_EEEEEPS7_SQ_SQ_NSC_11hip_rocprim7__merge17predicate_wrapperIffNSC_4lessIfEEEEEE10hipError_tPvRmT0_T1_T2_T3_T4_T5_mmT6_P12ihipStream_tbEUlT_E0_NS1_11comp_targetILNS1_3genE10ELNS1_11target_archE1201ELNS1_3gpuE5ELNS1_3repE0EEENS1_30default_config_static_selectorELNS0_4arch9wavefront6targetE0EEEvS11_.uses_vcc, 0
	.set _ZN7rocprim17ROCPRIM_400000_NS6detail17trampoline_kernelINS0_14default_configENS1_21merge_config_selectorINS0_5tupleIJffEEENS0_10empty_typeEEEZNS1_10merge_implIS3_NS0_12zip_iteratorINS5_IJN6thrust23THRUST_200600_302600_NS6detail15normal_iteratorINSC_10device_ptrIKfEEEESI_EEEEESK_NSA_INS5_IJNSC_16discard_iteratorINSC_11use_defaultEEESN_EEEEEPS7_SQ_SQ_NSC_11hip_rocprim7__merge17predicate_wrapperIffNSC_4lessIfEEEEEE10hipError_tPvRmT0_T1_T2_T3_T4_T5_mmT6_P12ihipStream_tbEUlT_E0_NS1_11comp_targetILNS1_3genE10ELNS1_11target_archE1201ELNS1_3gpuE5ELNS1_3repE0EEENS1_30default_config_static_selectorELNS0_4arch9wavefront6targetE0EEEvS11_.uses_flat_scratch, 0
	.set _ZN7rocprim17ROCPRIM_400000_NS6detail17trampoline_kernelINS0_14default_configENS1_21merge_config_selectorINS0_5tupleIJffEEENS0_10empty_typeEEEZNS1_10merge_implIS3_NS0_12zip_iteratorINS5_IJN6thrust23THRUST_200600_302600_NS6detail15normal_iteratorINSC_10device_ptrIKfEEEESI_EEEEESK_NSA_INS5_IJNSC_16discard_iteratorINSC_11use_defaultEEESN_EEEEEPS7_SQ_SQ_NSC_11hip_rocprim7__merge17predicate_wrapperIffNSC_4lessIfEEEEEE10hipError_tPvRmT0_T1_T2_T3_T4_T5_mmT6_P12ihipStream_tbEUlT_E0_NS1_11comp_targetILNS1_3genE10ELNS1_11target_archE1201ELNS1_3gpuE5ELNS1_3repE0EEENS1_30default_config_static_selectorELNS0_4arch9wavefront6targetE0EEEvS11_.has_dyn_sized_stack, 0
	.set _ZN7rocprim17ROCPRIM_400000_NS6detail17trampoline_kernelINS0_14default_configENS1_21merge_config_selectorINS0_5tupleIJffEEENS0_10empty_typeEEEZNS1_10merge_implIS3_NS0_12zip_iteratorINS5_IJN6thrust23THRUST_200600_302600_NS6detail15normal_iteratorINSC_10device_ptrIKfEEEESI_EEEEESK_NSA_INS5_IJNSC_16discard_iteratorINSC_11use_defaultEEESN_EEEEEPS7_SQ_SQ_NSC_11hip_rocprim7__merge17predicate_wrapperIffNSC_4lessIfEEEEEE10hipError_tPvRmT0_T1_T2_T3_T4_T5_mmT6_P12ihipStream_tbEUlT_E0_NS1_11comp_targetILNS1_3genE10ELNS1_11target_archE1201ELNS1_3gpuE5ELNS1_3repE0EEENS1_30default_config_static_selectorELNS0_4arch9wavefront6targetE0EEEvS11_.has_recursion, 0
	.set _ZN7rocprim17ROCPRIM_400000_NS6detail17trampoline_kernelINS0_14default_configENS1_21merge_config_selectorINS0_5tupleIJffEEENS0_10empty_typeEEEZNS1_10merge_implIS3_NS0_12zip_iteratorINS5_IJN6thrust23THRUST_200600_302600_NS6detail15normal_iteratorINSC_10device_ptrIKfEEEESI_EEEEESK_NSA_INS5_IJNSC_16discard_iteratorINSC_11use_defaultEEESN_EEEEEPS7_SQ_SQ_NSC_11hip_rocprim7__merge17predicate_wrapperIffNSC_4lessIfEEEEEE10hipError_tPvRmT0_T1_T2_T3_T4_T5_mmT6_P12ihipStream_tbEUlT_E0_NS1_11comp_targetILNS1_3genE10ELNS1_11target_archE1201ELNS1_3gpuE5ELNS1_3repE0EEENS1_30default_config_static_selectorELNS0_4arch9wavefront6targetE0EEEvS11_.has_indirect_call, 0
	.section	.AMDGPU.csdata,"",@progbits
; Kernel info:
; codeLenInByte = 0
; TotalNumSgprs: 0
; NumVgprs: 0
; ScratchSize: 0
; MemoryBound: 0
; FloatMode: 240
; IeeeMode: 1
; LDSByteSize: 0 bytes/workgroup (compile time only)
; SGPRBlocks: 0
; VGPRBlocks: 0
; NumSGPRsForWavesPerEU: 1
; NumVGPRsForWavesPerEU: 1
; NamedBarCnt: 0
; Occupancy: 16
; WaveLimiterHint : 0
; COMPUTE_PGM_RSRC2:SCRATCH_EN: 0
; COMPUTE_PGM_RSRC2:USER_SGPR: 2
; COMPUTE_PGM_RSRC2:TRAP_HANDLER: 0
; COMPUTE_PGM_RSRC2:TGID_X_EN: 1
; COMPUTE_PGM_RSRC2:TGID_Y_EN: 0
; COMPUTE_PGM_RSRC2:TGID_Z_EN: 0
; COMPUTE_PGM_RSRC2:TIDIG_COMP_CNT: 0
	.section	.text._ZN7rocprim17ROCPRIM_400000_NS6detail17trampoline_kernelINS0_14default_configENS1_21merge_config_selectorINS0_5tupleIJffEEENS0_10empty_typeEEEZNS1_10merge_implIS3_NS0_12zip_iteratorINS5_IJN6thrust23THRUST_200600_302600_NS6detail15normal_iteratorINSC_10device_ptrIKfEEEESI_EEEEESK_NSA_INS5_IJNSC_16discard_iteratorINSC_11use_defaultEEESN_EEEEEPS7_SQ_SQ_NSC_11hip_rocprim7__merge17predicate_wrapperIffNSC_4lessIfEEEEEE10hipError_tPvRmT0_T1_T2_T3_T4_T5_mmT6_P12ihipStream_tbEUlT_E0_NS1_11comp_targetILNS1_3genE10ELNS1_11target_archE1200ELNS1_3gpuE4ELNS1_3repE0EEENS1_30default_config_static_selectorELNS0_4arch9wavefront6targetE0EEEvS11_,"axG",@progbits,_ZN7rocprim17ROCPRIM_400000_NS6detail17trampoline_kernelINS0_14default_configENS1_21merge_config_selectorINS0_5tupleIJffEEENS0_10empty_typeEEEZNS1_10merge_implIS3_NS0_12zip_iteratorINS5_IJN6thrust23THRUST_200600_302600_NS6detail15normal_iteratorINSC_10device_ptrIKfEEEESI_EEEEESK_NSA_INS5_IJNSC_16discard_iteratorINSC_11use_defaultEEESN_EEEEEPS7_SQ_SQ_NSC_11hip_rocprim7__merge17predicate_wrapperIffNSC_4lessIfEEEEEE10hipError_tPvRmT0_T1_T2_T3_T4_T5_mmT6_P12ihipStream_tbEUlT_E0_NS1_11comp_targetILNS1_3genE10ELNS1_11target_archE1200ELNS1_3gpuE4ELNS1_3repE0EEENS1_30default_config_static_selectorELNS0_4arch9wavefront6targetE0EEEvS11_,comdat
	.protected	_ZN7rocprim17ROCPRIM_400000_NS6detail17trampoline_kernelINS0_14default_configENS1_21merge_config_selectorINS0_5tupleIJffEEENS0_10empty_typeEEEZNS1_10merge_implIS3_NS0_12zip_iteratorINS5_IJN6thrust23THRUST_200600_302600_NS6detail15normal_iteratorINSC_10device_ptrIKfEEEESI_EEEEESK_NSA_INS5_IJNSC_16discard_iteratorINSC_11use_defaultEEESN_EEEEEPS7_SQ_SQ_NSC_11hip_rocprim7__merge17predicate_wrapperIffNSC_4lessIfEEEEEE10hipError_tPvRmT0_T1_T2_T3_T4_T5_mmT6_P12ihipStream_tbEUlT_E0_NS1_11comp_targetILNS1_3genE10ELNS1_11target_archE1200ELNS1_3gpuE4ELNS1_3repE0EEENS1_30default_config_static_selectorELNS0_4arch9wavefront6targetE0EEEvS11_ ; -- Begin function _ZN7rocprim17ROCPRIM_400000_NS6detail17trampoline_kernelINS0_14default_configENS1_21merge_config_selectorINS0_5tupleIJffEEENS0_10empty_typeEEEZNS1_10merge_implIS3_NS0_12zip_iteratorINS5_IJN6thrust23THRUST_200600_302600_NS6detail15normal_iteratorINSC_10device_ptrIKfEEEESI_EEEEESK_NSA_INS5_IJNSC_16discard_iteratorINSC_11use_defaultEEESN_EEEEEPS7_SQ_SQ_NSC_11hip_rocprim7__merge17predicate_wrapperIffNSC_4lessIfEEEEEE10hipError_tPvRmT0_T1_T2_T3_T4_T5_mmT6_P12ihipStream_tbEUlT_E0_NS1_11comp_targetILNS1_3genE10ELNS1_11target_archE1200ELNS1_3gpuE4ELNS1_3repE0EEENS1_30default_config_static_selectorELNS0_4arch9wavefront6targetE0EEEvS11_
	.globl	_ZN7rocprim17ROCPRIM_400000_NS6detail17trampoline_kernelINS0_14default_configENS1_21merge_config_selectorINS0_5tupleIJffEEENS0_10empty_typeEEEZNS1_10merge_implIS3_NS0_12zip_iteratorINS5_IJN6thrust23THRUST_200600_302600_NS6detail15normal_iteratorINSC_10device_ptrIKfEEEESI_EEEEESK_NSA_INS5_IJNSC_16discard_iteratorINSC_11use_defaultEEESN_EEEEEPS7_SQ_SQ_NSC_11hip_rocprim7__merge17predicate_wrapperIffNSC_4lessIfEEEEEE10hipError_tPvRmT0_T1_T2_T3_T4_T5_mmT6_P12ihipStream_tbEUlT_E0_NS1_11comp_targetILNS1_3genE10ELNS1_11target_archE1200ELNS1_3gpuE4ELNS1_3repE0EEENS1_30default_config_static_selectorELNS0_4arch9wavefront6targetE0EEEvS11_
	.p2align	8
	.type	_ZN7rocprim17ROCPRIM_400000_NS6detail17trampoline_kernelINS0_14default_configENS1_21merge_config_selectorINS0_5tupleIJffEEENS0_10empty_typeEEEZNS1_10merge_implIS3_NS0_12zip_iteratorINS5_IJN6thrust23THRUST_200600_302600_NS6detail15normal_iteratorINSC_10device_ptrIKfEEEESI_EEEEESK_NSA_INS5_IJNSC_16discard_iteratorINSC_11use_defaultEEESN_EEEEEPS7_SQ_SQ_NSC_11hip_rocprim7__merge17predicate_wrapperIffNSC_4lessIfEEEEEE10hipError_tPvRmT0_T1_T2_T3_T4_T5_mmT6_P12ihipStream_tbEUlT_E0_NS1_11comp_targetILNS1_3genE10ELNS1_11target_archE1200ELNS1_3gpuE4ELNS1_3repE0EEENS1_30default_config_static_selectorELNS0_4arch9wavefront6targetE0EEEvS11_,@function
_ZN7rocprim17ROCPRIM_400000_NS6detail17trampoline_kernelINS0_14default_configENS1_21merge_config_selectorINS0_5tupleIJffEEENS0_10empty_typeEEEZNS1_10merge_implIS3_NS0_12zip_iteratorINS5_IJN6thrust23THRUST_200600_302600_NS6detail15normal_iteratorINSC_10device_ptrIKfEEEESI_EEEEESK_NSA_INS5_IJNSC_16discard_iteratorINSC_11use_defaultEEESN_EEEEEPS7_SQ_SQ_NSC_11hip_rocprim7__merge17predicate_wrapperIffNSC_4lessIfEEEEEE10hipError_tPvRmT0_T1_T2_T3_T4_T5_mmT6_P12ihipStream_tbEUlT_E0_NS1_11comp_targetILNS1_3genE10ELNS1_11target_archE1200ELNS1_3gpuE4ELNS1_3repE0EEENS1_30default_config_static_selectorELNS0_4arch9wavefront6targetE0EEEvS11_: ; @_ZN7rocprim17ROCPRIM_400000_NS6detail17trampoline_kernelINS0_14default_configENS1_21merge_config_selectorINS0_5tupleIJffEEENS0_10empty_typeEEEZNS1_10merge_implIS3_NS0_12zip_iteratorINS5_IJN6thrust23THRUST_200600_302600_NS6detail15normal_iteratorINSC_10device_ptrIKfEEEESI_EEEEESK_NSA_INS5_IJNSC_16discard_iteratorINSC_11use_defaultEEESN_EEEEEPS7_SQ_SQ_NSC_11hip_rocprim7__merge17predicate_wrapperIffNSC_4lessIfEEEEEE10hipError_tPvRmT0_T1_T2_T3_T4_T5_mmT6_P12ihipStream_tbEUlT_E0_NS1_11comp_targetILNS1_3genE10ELNS1_11target_archE1200ELNS1_3gpuE4ELNS1_3repE0EEENS1_30default_config_static_selectorELNS0_4arch9wavefront6targetE0EEEvS11_
; %bb.0:
	.section	.rodata,"a",@progbits
	.p2align	6, 0x0
	.amdhsa_kernel _ZN7rocprim17ROCPRIM_400000_NS6detail17trampoline_kernelINS0_14default_configENS1_21merge_config_selectorINS0_5tupleIJffEEENS0_10empty_typeEEEZNS1_10merge_implIS3_NS0_12zip_iteratorINS5_IJN6thrust23THRUST_200600_302600_NS6detail15normal_iteratorINSC_10device_ptrIKfEEEESI_EEEEESK_NSA_INS5_IJNSC_16discard_iteratorINSC_11use_defaultEEESN_EEEEEPS7_SQ_SQ_NSC_11hip_rocprim7__merge17predicate_wrapperIffNSC_4lessIfEEEEEE10hipError_tPvRmT0_T1_T2_T3_T4_T5_mmT6_P12ihipStream_tbEUlT_E0_NS1_11comp_targetILNS1_3genE10ELNS1_11target_archE1200ELNS1_3gpuE4ELNS1_3repE0EEENS1_30default_config_static_selectorELNS0_4arch9wavefront6targetE0EEEvS11_
		.amdhsa_group_segment_fixed_size 0
		.amdhsa_private_segment_fixed_size 0
		.amdhsa_kernarg_size 128
		.amdhsa_user_sgpr_count 2
		.amdhsa_user_sgpr_dispatch_ptr 0
		.amdhsa_user_sgpr_queue_ptr 0
		.amdhsa_user_sgpr_kernarg_segment_ptr 1
		.amdhsa_user_sgpr_dispatch_id 0
		.amdhsa_user_sgpr_kernarg_preload_length 0
		.amdhsa_user_sgpr_kernarg_preload_offset 0
		.amdhsa_user_sgpr_private_segment_size 0
		.amdhsa_wavefront_size32 1
		.amdhsa_uses_dynamic_stack 0
		.amdhsa_enable_private_segment 0
		.amdhsa_system_sgpr_workgroup_id_x 1
		.amdhsa_system_sgpr_workgroup_id_y 0
		.amdhsa_system_sgpr_workgroup_id_z 0
		.amdhsa_system_sgpr_workgroup_info 0
		.amdhsa_system_vgpr_workitem_id 0
		.amdhsa_next_free_vgpr 1
		.amdhsa_next_free_sgpr 1
		.amdhsa_named_barrier_count 0
		.amdhsa_reserve_vcc 0
		.amdhsa_float_round_mode_32 0
		.amdhsa_float_round_mode_16_64 0
		.amdhsa_float_denorm_mode_32 3
		.amdhsa_float_denorm_mode_16_64 3
		.amdhsa_fp16_overflow 0
		.amdhsa_memory_ordered 1
		.amdhsa_forward_progress 1
		.amdhsa_inst_pref_size 0
		.amdhsa_round_robin_scheduling 0
		.amdhsa_exception_fp_ieee_invalid_op 0
		.amdhsa_exception_fp_denorm_src 0
		.amdhsa_exception_fp_ieee_div_zero 0
		.amdhsa_exception_fp_ieee_overflow 0
		.amdhsa_exception_fp_ieee_underflow 0
		.amdhsa_exception_fp_ieee_inexact 0
		.amdhsa_exception_int_div_zero 0
	.end_amdhsa_kernel
	.section	.text._ZN7rocprim17ROCPRIM_400000_NS6detail17trampoline_kernelINS0_14default_configENS1_21merge_config_selectorINS0_5tupleIJffEEENS0_10empty_typeEEEZNS1_10merge_implIS3_NS0_12zip_iteratorINS5_IJN6thrust23THRUST_200600_302600_NS6detail15normal_iteratorINSC_10device_ptrIKfEEEESI_EEEEESK_NSA_INS5_IJNSC_16discard_iteratorINSC_11use_defaultEEESN_EEEEEPS7_SQ_SQ_NSC_11hip_rocprim7__merge17predicate_wrapperIffNSC_4lessIfEEEEEE10hipError_tPvRmT0_T1_T2_T3_T4_T5_mmT6_P12ihipStream_tbEUlT_E0_NS1_11comp_targetILNS1_3genE10ELNS1_11target_archE1200ELNS1_3gpuE4ELNS1_3repE0EEENS1_30default_config_static_selectorELNS0_4arch9wavefront6targetE0EEEvS11_,"axG",@progbits,_ZN7rocprim17ROCPRIM_400000_NS6detail17trampoline_kernelINS0_14default_configENS1_21merge_config_selectorINS0_5tupleIJffEEENS0_10empty_typeEEEZNS1_10merge_implIS3_NS0_12zip_iteratorINS5_IJN6thrust23THRUST_200600_302600_NS6detail15normal_iteratorINSC_10device_ptrIKfEEEESI_EEEEESK_NSA_INS5_IJNSC_16discard_iteratorINSC_11use_defaultEEESN_EEEEEPS7_SQ_SQ_NSC_11hip_rocprim7__merge17predicate_wrapperIffNSC_4lessIfEEEEEE10hipError_tPvRmT0_T1_T2_T3_T4_T5_mmT6_P12ihipStream_tbEUlT_E0_NS1_11comp_targetILNS1_3genE10ELNS1_11target_archE1200ELNS1_3gpuE4ELNS1_3repE0EEENS1_30default_config_static_selectorELNS0_4arch9wavefront6targetE0EEEvS11_,comdat
.Lfunc_end512:
	.size	_ZN7rocprim17ROCPRIM_400000_NS6detail17trampoline_kernelINS0_14default_configENS1_21merge_config_selectorINS0_5tupleIJffEEENS0_10empty_typeEEEZNS1_10merge_implIS3_NS0_12zip_iteratorINS5_IJN6thrust23THRUST_200600_302600_NS6detail15normal_iteratorINSC_10device_ptrIKfEEEESI_EEEEESK_NSA_INS5_IJNSC_16discard_iteratorINSC_11use_defaultEEESN_EEEEEPS7_SQ_SQ_NSC_11hip_rocprim7__merge17predicate_wrapperIffNSC_4lessIfEEEEEE10hipError_tPvRmT0_T1_T2_T3_T4_T5_mmT6_P12ihipStream_tbEUlT_E0_NS1_11comp_targetILNS1_3genE10ELNS1_11target_archE1200ELNS1_3gpuE4ELNS1_3repE0EEENS1_30default_config_static_selectorELNS0_4arch9wavefront6targetE0EEEvS11_, .Lfunc_end512-_ZN7rocprim17ROCPRIM_400000_NS6detail17trampoline_kernelINS0_14default_configENS1_21merge_config_selectorINS0_5tupleIJffEEENS0_10empty_typeEEEZNS1_10merge_implIS3_NS0_12zip_iteratorINS5_IJN6thrust23THRUST_200600_302600_NS6detail15normal_iteratorINSC_10device_ptrIKfEEEESI_EEEEESK_NSA_INS5_IJNSC_16discard_iteratorINSC_11use_defaultEEESN_EEEEEPS7_SQ_SQ_NSC_11hip_rocprim7__merge17predicate_wrapperIffNSC_4lessIfEEEEEE10hipError_tPvRmT0_T1_T2_T3_T4_T5_mmT6_P12ihipStream_tbEUlT_E0_NS1_11comp_targetILNS1_3genE10ELNS1_11target_archE1200ELNS1_3gpuE4ELNS1_3repE0EEENS1_30default_config_static_selectorELNS0_4arch9wavefront6targetE0EEEvS11_
                                        ; -- End function
	.set _ZN7rocprim17ROCPRIM_400000_NS6detail17trampoline_kernelINS0_14default_configENS1_21merge_config_selectorINS0_5tupleIJffEEENS0_10empty_typeEEEZNS1_10merge_implIS3_NS0_12zip_iteratorINS5_IJN6thrust23THRUST_200600_302600_NS6detail15normal_iteratorINSC_10device_ptrIKfEEEESI_EEEEESK_NSA_INS5_IJNSC_16discard_iteratorINSC_11use_defaultEEESN_EEEEEPS7_SQ_SQ_NSC_11hip_rocprim7__merge17predicate_wrapperIffNSC_4lessIfEEEEEE10hipError_tPvRmT0_T1_T2_T3_T4_T5_mmT6_P12ihipStream_tbEUlT_E0_NS1_11comp_targetILNS1_3genE10ELNS1_11target_archE1200ELNS1_3gpuE4ELNS1_3repE0EEENS1_30default_config_static_selectorELNS0_4arch9wavefront6targetE0EEEvS11_.num_vgpr, 0
	.set _ZN7rocprim17ROCPRIM_400000_NS6detail17trampoline_kernelINS0_14default_configENS1_21merge_config_selectorINS0_5tupleIJffEEENS0_10empty_typeEEEZNS1_10merge_implIS3_NS0_12zip_iteratorINS5_IJN6thrust23THRUST_200600_302600_NS6detail15normal_iteratorINSC_10device_ptrIKfEEEESI_EEEEESK_NSA_INS5_IJNSC_16discard_iteratorINSC_11use_defaultEEESN_EEEEEPS7_SQ_SQ_NSC_11hip_rocprim7__merge17predicate_wrapperIffNSC_4lessIfEEEEEE10hipError_tPvRmT0_T1_T2_T3_T4_T5_mmT6_P12ihipStream_tbEUlT_E0_NS1_11comp_targetILNS1_3genE10ELNS1_11target_archE1200ELNS1_3gpuE4ELNS1_3repE0EEENS1_30default_config_static_selectorELNS0_4arch9wavefront6targetE0EEEvS11_.num_agpr, 0
	.set _ZN7rocprim17ROCPRIM_400000_NS6detail17trampoline_kernelINS0_14default_configENS1_21merge_config_selectorINS0_5tupleIJffEEENS0_10empty_typeEEEZNS1_10merge_implIS3_NS0_12zip_iteratorINS5_IJN6thrust23THRUST_200600_302600_NS6detail15normal_iteratorINSC_10device_ptrIKfEEEESI_EEEEESK_NSA_INS5_IJNSC_16discard_iteratorINSC_11use_defaultEEESN_EEEEEPS7_SQ_SQ_NSC_11hip_rocprim7__merge17predicate_wrapperIffNSC_4lessIfEEEEEE10hipError_tPvRmT0_T1_T2_T3_T4_T5_mmT6_P12ihipStream_tbEUlT_E0_NS1_11comp_targetILNS1_3genE10ELNS1_11target_archE1200ELNS1_3gpuE4ELNS1_3repE0EEENS1_30default_config_static_selectorELNS0_4arch9wavefront6targetE0EEEvS11_.numbered_sgpr, 0
	.set _ZN7rocprim17ROCPRIM_400000_NS6detail17trampoline_kernelINS0_14default_configENS1_21merge_config_selectorINS0_5tupleIJffEEENS0_10empty_typeEEEZNS1_10merge_implIS3_NS0_12zip_iteratorINS5_IJN6thrust23THRUST_200600_302600_NS6detail15normal_iteratorINSC_10device_ptrIKfEEEESI_EEEEESK_NSA_INS5_IJNSC_16discard_iteratorINSC_11use_defaultEEESN_EEEEEPS7_SQ_SQ_NSC_11hip_rocprim7__merge17predicate_wrapperIffNSC_4lessIfEEEEEE10hipError_tPvRmT0_T1_T2_T3_T4_T5_mmT6_P12ihipStream_tbEUlT_E0_NS1_11comp_targetILNS1_3genE10ELNS1_11target_archE1200ELNS1_3gpuE4ELNS1_3repE0EEENS1_30default_config_static_selectorELNS0_4arch9wavefront6targetE0EEEvS11_.num_named_barrier, 0
	.set _ZN7rocprim17ROCPRIM_400000_NS6detail17trampoline_kernelINS0_14default_configENS1_21merge_config_selectorINS0_5tupleIJffEEENS0_10empty_typeEEEZNS1_10merge_implIS3_NS0_12zip_iteratorINS5_IJN6thrust23THRUST_200600_302600_NS6detail15normal_iteratorINSC_10device_ptrIKfEEEESI_EEEEESK_NSA_INS5_IJNSC_16discard_iteratorINSC_11use_defaultEEESN_EEEEEPS7_SQ_SQ_NSC_11hip_rocprim7__merge17predicate_wrapperIffNSC_4lessIfEEEEEE10hipError_tPvRmT0_T1_T2_T3_T4_T5_mmT6_P12ihipStream_tbEUlT_E0_NS1_11comp_targetILNS1_3genE10ELNS1_11target_archE1200ELNS1_3gpuE4ELNS1_3repE0EEENS1_30default_config_static_selectorELNS0_4arch9wavefront6targetE0EEEvS11_.private_seg_size, 0
	.set _ZN7rocprim17ROCPRIM_400000_NS6detail17trampoline_kernelINS0_14default_configENS1_21merge_config_selectorINS0_5tupleIJffEEENS0_10empty_typeEEEZNS1_10merge_implIS3_NS0_12zip_iteratorINS5_IJN6thrust23THRUST_200600_302600_NS6detail15normal_iteratorINSC_10device_ptrIKfEEEESI_EEEEESK_NSA_INS5_IJNSC_16discard_iteratorINSC_11use_defaultEEESN_EEEEEPS7_SQ_SQ_NSC_11hip_rocprim7__merge17predicate_wrapperIffNSC_4lessIfEEEEEE10hipError_tPvRmT0_T1_T2_T3_T4_T5_mmT6_P12ihipStream_tbEUlT_E0_NS1_11comp_targetILNS1_3genE10ELNS1_11target_archE1200ELNS1_3gpuE4ELNS1_3repE0EEENS1_30default_config_static_selectorELNS0_4arch9wavefront6targetE0EEEvS11_.uses_vcc, 0
	.set _ZN7rocprim17ROCPRIM_400000_NS6detail17trampoline_kernelINS0_14default_configENS1_21merge_config_selectorINS0_5tupleIJffEEENS0_10empty_typeEEEZNS1_10merge_implIS3_NS0_12zip_iteratorINS5_IJN6thrust23THRUST_200600_302600_NS6detail15normal_iteratorINSC_10device_ptrIKfEEEESI_EEEEESK_NSA_INS5_IJNSC_16discard_iteratorINSC_11use_defaultEEESN_EEEEEPS7_SQ_SQ_NSC_11hip_rocprim7__merge17predicate_wrapperIffNSC_4lessIfEEEEEE10hipError_tPvRmT0_T1_T2_T3_T4_T5_mmT6_P12ihipStream_tbEUlT_E0_NS1_11comp_targetILNS1_3genE10ELNS1_11target_archE1200ELNS1_3gpuE4ELNS1_3repE0EEENS1_30default_config_static_selectorELNS0_4arch9wavefront6targetE0EEEvS11_.uses_flat_scratch, 0
	.set _ZN7rocprim17ROCPRIM_400000_NS6detail17trampoline_kernelINS0_14default_configENS1_21merge_config_selectorINS0_5tupleIJffEEENS0_10empty_typeEEEZNS1_10merge_implIS3_NS0_12zip_iteratorINS5_IJN6thrust23THRUST_200600_302600_NS6detail15normal_iteratorINSC_10device_ptrIKfEEEESI_EEEEESK_NSA_INS5_IJNSC_16discard_iteratorINSC_11use_defaultEEESN_EEEEEPS7_SQ_SQ_NSC_11hip_rocprim7__merge17predicate_wrapperIffNSC_4lessIfEEEEEE10hipError_tPvRmT0_T1_T2_T3_T4_T5_mmT6_P12ihipStream_tbEUlT_E0_NS1_11comp_targetILNS1_3genE10ELNS1_11target_archE1200ELNS1_3gpuE4ELNS1_3repE0EEENS1_30default_config_static_selectorELNS0_4arch9wavefront6targetE0EEEvS11_.has_dyn_sized_stack, 0
	.set _ZN7rocprim17ROCPRIM_400000_NS6detail17trampoline_kernelINS0_14default_configENS1_21merge_config_selectorINS0_5tupleIJffEEENS0_10empty_typeEEEZNS1_10merge_implIS3_NS0_12zip_iteratorINS5_IJN6thrust23THRUST_200600_302600_NS6detail15normal_iteratorINSC_10device_ptrIKfEEEESI_EEEEESK_NSA_INS5_IJNSC_16discard_iteratorINSC_11use_defaultEEESN_EEEEEPS7_SQ_SQ_NSC_11hip_rocprim7__merge17predicate_wrapperIffNSC_4lessIfEEEEEE10hipError_tPvRmT0_T1_T2_T3_T4_T5_mmT6_P12ihipStream_tbEUlT_E0_NS1_11comp_targetILNS1_3genE10ELNS1_11target_archE1200ELNS1_3gpuE4ELNS1_3repE0EEENS1_30default_config_static_selectorELNS0_4arch9wavefront6targetE0EEEvS11_.has_recursion, 0
	.set _ZN7rocprim17ROCPRIM_400000_NS6detail17trampoline_kernelINS0_14default_configENS1_21merge_config_selectorINS0_5tupleIJffEEENS0_10empty_typeEEEZNS1_10merge_implIS3_NS0_12zip_iteratorINS5_IJN6thrust23THRUST_200600_302600_NS6detail15normal_iteratorINSC_10device_ptrIKfEEEESI_EEEEESK_NSA_INS5_IJNSC_16discard_iteratorINSC_11use_defaultEEESN_EEEEEPS7_SQ_SQ_NSC_11hip_rocprim7__merge17predicate_wrapperIffNSC_4lessIfEEEEEE10hipError_tPvRmT0_T1_T2_T3_T4_T5_mmT6_P12ihipStream_tbEUlT_E0_NS1_11comp_targetILNS1_3genE10ELNS1_11target_archE1200ELNS1_3gpuE4ELNS1_3repE0EEENS1_30default_config_static_selectorELNS0_4arch9wavefront6targetE0EEEvS11_.has_indirect_call, 0
	.section	.AMDGPU.csdata,"",@progbits
; Kernel info:
; codeLenInByte = 0
; TotalNumSgprs: 0
; NumVgprs: 0
; ScratchSize: 0
; MemoryBound: 0
; FloatMode: 240
; IeeeMode: 1
; LDSByteSize: 0 bytes/workgroup (compile time only)
; SGPRBlocks: 0
; VGPRBlocks: 0
; NumSGPRsForWavesPerEU: 1
; NumVGPRsForWavesPerEU: 1
; NamedBarCnt: 0
; Occupancy: 16
; WaveLimiterHint : 0
; COMPUTE_PGM_RSRC2:SCRATCH_EN: 0
; COMPUTE_PGM_RSRC2:USER_SGPR: 2
; COMPUTE_PGM_RSRC2:TRAP_HANDLER: 0
; COMPUTE_PGM_RSRC2:TGID_X_EN: 1
; COMPUTE_PGM_RSRC2:TGID_Y_EN: 0
; COMPUTE_PGM_RSRC2:TGID_Z_EN: 0
; COMPUTE_PGM_RSRC2:TIDIG_COMP_CNT: 0
	.section	.text._ZN7rocprim17ROCPRIM_400000_NS6detail17trampoline_kernelINS0_14default_configENS1_21merge_config_selectorINS0_5tupleIJffEEENS0_10empty_typeEEEZNS1_10merge_implIS3_NS0_12zip_iteratorINS5_IJN6thrust23THRUST_200600_302600_NS6detail15normal_iteratorINSC_10device_ptrIKfEEEESI_EEEEESK_NSA_INS5_IJNSC_16discard_iteratorINSC_11use_defaultEEESN_EEEEEPS7_SQ_SQ_NSC_11hip_rocprim7__merge17predicate_wrapperIffNSC_4lessIfEEEEEE10hipError_tPvRmT0_T1_T2_T3_T4_T5_mmT6_P12ihipStream_tbEUlT_E0_NS1_11comp_targetILNS1_3genE9ELNS1_11target_archE1100ELNS1_3gpuE3ELNS1_3repE0EEENS1_30default_config_static_selectorELNS0_4arch9wavefront6targetE0EEEvS11_,"axG",@progbits,_ZN7rocprim17ROCPRIM_400000_NS6detail17trampoline_kernelINS0_14default_configENS1_21merge_config_selectorINS0_5tupleIJffEEENS0_10empty_typeEEEZNS1_10merge_implIS3_NS0_12zip_iteratorINS5_IJN6thrust23THRUST_200600_302600_NS6detail15normal_iteratorINSC_10device_ptrIKfEEEESI_EEEEESK_NSA_INS5_IJNSC_16discard_iteratorINSC_11use_defaultEEESN_EEEEEPS7_SQ_SQ_NSC_11hip_rocprim7__merge17predicate_wrapperIffNSC_4lessIfEEEEEE10hipError_tPvRmT0_T1_T2_T3_T4_T5_mmT6_P12ihipStream_tbEUlT_E0_NS1_11comp_targetILNS1_3genE9ELNS1_11target_archE1100ELNS1_3gpuE3ELNS1_3repE0EEENS1_30default_config_static_selectorELNS0_4arch9wavefront6targetE0EEEvS11_,comdat
	.protected	_ZN7rocprim17ROCPRIM_400000_NS6detail17trampoline_kernelINS0_14default_configENS1_21merge_config_selectorINS0_5tupleIJffEEENS0_10empty_typeEEEZNS1_10merge_implIS3_NS0_12zip_iteratorINS5_IJN6thrust23THRUST_200600_302600_NS6detail15normal_iteratorINSC_10device_ptrIKfEEEESI_EEEEESK_NSA_INS5_IJNSC_16discard_iteratorINSC_11use_defaultEEESN_EEEEEPS7_SQ_SQ_NSC_11hip_rocprim7__merge17predicate_wrapperIffNSC_4lessIfEEEEEE10hipError_tPvRmT0_T1_T2_T3_T4_T5_mmT6_P12ihipStream_tbEUlT_E0_NS1_11comp_targetILNS1_3genE9ELNS1_11target_archE1100ELNS1_3gpuE3ELNS1_3repE0EEENS1_30default_config_static_selectorELNS0_4arch9wavefront6targetE0EEEvS11_ ; -- Begin function _ZN7rocprim17ROCPRIM_400000_NS6detail17trampoline_kernelINS0_14default_configENS1_21merge_config_selectorINS0_5tupleIJffEEENS0_10empty_typeEEEZNS1_10merge_implIS3_NS0_12zip_iteratorINS5_IJN6thrust23THRUST_200600_302600_NS6detail15normal_iteratorINSC_10device_ptrIKfEEEESI_EEEEESK_NSA_INS5_IJNSC_16discard_iteratorINSC_11use_defaultEEESN_EEEEEPS7_SQ_SQ_NSC_11hip_rocprim7__merge17predicate_wrapperIffNSC_4lessIfEEEEEE10hipError_tPvRmT0_T1_T2_T3_T4_T5_mmT6_P12ihipStream_tbEUlT_E0_NS1_11comp_targetILNS1_3genE9ELNS1_11target_archE1100ELNS1_3gpuE3ELNS1_3repE0EEENS1_30default_config_static_selectorELNS0_4arch9wavefront6targetE0EEEvS11_
	.globl	_ZN7rocprim17ROCPRIM_400000_NS6detail17trampoline_kernelINS0_14default_configENS1_21merge_config_selectorINS0_5tupleIJffEEENS0_10empty_typeEEEZNS1_10merge_implIS3_NS0_12zip_iteratorINS5_IJN6thrust23THRUST_200600_302600_NS6detail15normal_iteratorINSC_10device_ptrIKfEEEESI_EEEEESK_NSA_INS5_IJNSC_16discard_iteratorINSC_11use_defaultEEESN_EEEEEPS7_SQ_SQ_NSC_11hip_rocprim7__merge17predicate_wrapperIffNSC_4lessIfEEEEEE10hipError_tPvRmT0_T1_T2_T3_T4_T5_mmT6_P12ihipStream_tbEUlT_E0_NS1_11comp_targetILNS1_3genE9ELNS1_11target_archE1100ELNS1_3gpuE3ELNS1_3repE0EEENS1_30default_config_static_selectorELNS0_4arch9wavefront6targetE0EEEvS11_
	.p2align	8
	.type	_ZN7rocprim17ROCPRIM_400000_NS6detail17trampoline_kernelINS0_14default_configENS1_21merge_config_selectorINS0_5tupleIJffEEENS0_10empty_typeEEEZNS1_10merge_implIS3_NS0_12zip_iteratorINS5_IJN6thrust23THRUST_200600_302600_NS6detail15normal_iteratorINSC_10device_ptrIKfEEEESI_EEEEESK_NSA_INS5_IJNSC_16discard_iteratorINSC_11use_defaultEEESN_EEEEEPS7_SQ_SQ_NSC_11hip_rocprim7__merge17predicate_wrapperIffNSC_4lessIfEEEEEE10hipError_tPvRmT0_T1_T2_T3_T4_T5_mmT6_P12ihipStream_tbEUlT_E0_NS1_11comp_targetILNS1_3genE9ELNS1_11target_archE1100ELNS1_3gpuE3ELNS1_3repE0EEENS1_30default_config_static_selectorELNS0_4arch9wavefront6targetE0EEEvS11_,@function
_ZN7rocprim17ROCPRIM_400000_NS6detail17trampoline_kernelINS0_14default_configENS1_21merge_config_selectorINS0_5tupleIJffEEENS0_10empty_typeEEEZNS1_10merge_implIS3_NS0_12zip_iteratorINS5_IJN6thrust23THRUST_200600_302600_NS6detail15normal_iteratorINSC_10device_ptrIKfEEEESI_EEEEESK_NSA_INS5_IJNSC_16discard_iteratorINSC_11use_defaultEEESN_EEEEEPS7_SQ_SQ_NSC_11hip_rocprim7__merge17predicate_wrapperIffNSC_4lessIfEEEEEE10hipError_tPvRmT0_T1_T2_T3_T4_T5_mmT6_P12ihipStream_tbEUlT_E0_NS1_11comp_targetILNS1_3genE9ELNS1_11target_archE1100ELNS1_3gpuE3ELNS1_3repE0EEENS1_30default_config_static_selectorELNS0_4arch9wavefront6targetE0EEEvS11_: ; @_ZN7rocprim17ROCPRIM_400000_NS6detail17trampoline_kernelINS0_14default_configENS1_21merge_config_selectorINS0_5tupleIJffEEENS0_10empty_typeEEEZNS1_10merge_implIS3_NS0_12zip_iteratorINS5_IJN6thrust23THRUST_200600_302600_NS6detail15normal_iteratorINSC_10device_ptrIKfEEEESI_EEEEESK_NSA_INS5_IJNSC_16discard_iteratorINSC_11use_defaultEEESN_EEEEEPS7_SQ_SQ_NSC_11hip_rocprim7__merge17predicate_wrapperIffNSC_4lessIfEEEEEE10hipError_tPvRmT0_T1_T2_T3_T4_T5_mmT6_P12ihipStream_tbEUlT_E0_NS1_11comp_targetILNS1_3genE9ELNS1_11target_archE1100ELNS1_3gpuE3ELNS1_3repE0EEENS1_30default_config_static_selectorELNS0_4arch9wavefront6targetE0EEEvS11_
; %bb.0:
	.section	.rodata,"a",@progbits
	.p2align	6, 0x0
	.amdhsa_kernel _ZN7rocprim17ROCPRIM_400000_NS6detail17trampoline_kernelINS0_14default_configENS1_21merge_config_selectorINS0_5tupleIJffEEENS0_10empty_typeEEEZNS1_10merge_implIS3_NS0_12zip_iteratorINS5_IJN6thrust23THRUST_200600_302600_NS6detail15normal_iteratorINSC_10device_ptrIKfEEEESI_EEEEESK_NSA_INS5_IJNSC_16discard_iteratorINSC_11use_defaultEEESN_EEEEEPS7_SQ_SQ_NSC_11hip_rocprim7__merge17predicate_wrapperIffNSC_4lessIfEEEEEE10hipError_tPvRmT0_T1_T2_T3_T4_T5_mmT6_P12ihipStream_tbEUlT_E0_NS1_11comp_targetILNS1_3genE9ELNS1_11target_archE1100ELNS1_3gpuE3ELNS1_3repE0EEENS1_30default_config_static_selectorELNS0_4arch9wavefront6targetE0EEEvS11_
		.amdhsa_group_segment_fixed_size 0
		.amdhsa_private_segment_fixed_size 0
		.amdhsa_kernarg_size 128
		.amdhsa_user_sgpr_count 2
		.amdhsa_user_sgpr_dispatch_ptr 0
		.amdhsa_user_sgpr_queue_ptr 0
		.amdhsa_user_sgpr_kernarg_segment_ptr 1
		.amdhsa_user_sgpr_dispatch_id 0
		.amdhsa_user_sgpr_kernarg_preload_length 0
		.amdhsa_user_sgpr_kernarg_preload_offset 0
		.amdhsa_user_sgpr_private_segment_size 0
		.amdhsa_wavefront_size32 1
		.amdhsa_uses_dynamic_stack 0
		.amdhsa_enable_private_segment 0
		.amdhsa_system_sgpr_workgroup_id_x 1
		.amdhsa_system_sgpr_workgroup_id_y 0
		.amdhsa_system_sgpr_workgroup_id_z 0
		.amdhsa_system_sgpr_workgroup_info 0
		.amdhsa_system_vgpr_workitem_id 0
		.amdhsa_next_free_vgpr 1
		.amdhsa_next_free_sgpr 1
		.amdhsa_named_barrier_count 0
		.amdhsa_reserve_vcc 0
		.amdhsa_float_round_mode_32 0
		.amdhsa_float_round_mode_16_64 0
		.amdhsa_float_denorm_mode_32 3
		.amdhsa_float_denorm_mode_16_64 3
		.amdhsa_fp16_overflow 0
		.amdhsa_memory_ordered 1
		.amdhsa_forward_progress 1
		.amdhsa_inst_pref_size 0
		.amdhsa_round_robin_scheduling 0
		.amdhsa_exception_fp_ieee_invalid_op 0
		.amdhsa_exception_fp_denorm_src 0
		.amdhsa_exception_fp_ieee_div_zero 0
		.amdhsa_exception_fp_ieee_overflow 0
		.amdhsa_exception_fp_ieee_underflow 0
		.amdhsa_exception_fp_ieee_inexact 0
		.amdhsa_exception_int_div_zero 0
	.end_amdhsa_kernel
	.section	.text._ZN7rocprim17ROCPRIM_400000_NS6detail17trampoline_kernelINS0_14default_configENS1_21merge_config_selectorINS0_5tupleIJffEEENS0_10empty_typeEEEZNS1_10merge_implIS3_NS0_12zip_iteratorINS5_IJN6thrust23THRUST_200600_302600_NS6detail15normal_iteratorINSC_10device_ptrIKfEEEESI_EEEEESK_NSA_INS5_IJNSC_16discard_iteratorINSC_11use_defaultEEESN_EEEEEPS7_SQ_SQ_NSC_11hip_rocprim7__merge17predicate_wrapperIffNSC_4lessIfEEEEEE10hipError_tPvRmT0_T1_T2_T3_T4_T5_mmT6_P12ihipStream_tbEUlT_E0_NS1_11comp_targetILNS1_3genE9ELNS1_11target_archE1100ELNS1_3gpuE3ELNS1_3repE0EEENS1_30default_config_static_selectorELNS0_4arch9wavefront6targetE0EEEvS11_,"axG",@progbits,_ZN7rocprim17ROCPRIM_400000_NS6detail17trampoline_kernelINS0_14default_configENS1_21merge_config_selectorINS0_5tupleIJffEEENS0_10empty_typeEEEZNS1_10merge_implIS3_NS0_12zip_iteratorINS5_IJN6thrust23THRUST_200600_302600_NS6detail15normal_iteratorINSC_10device_ptrIKfEEEESI_EEEEESK_NSA_INS5_IJNSC_16discard_iteratorINSC_11use_defaultEEESN_EEEEEPS7_SQ_SQ_NSC_11hip_rocprim7__merge17predicate_wrapperIffNSC_4lessIfEEEEEE10hipError_tPvRmT0_T1_T2_T3_T4_T5_mmT6_P12ihipStream_tbEUlT_E0_NS1_11comp_targetILNS1_3genE9ELNS1_11target_archE1100ELNS1_3gpuE3ELNS1_3repE0EEENS1_30default_config_static_selectorELNS0_4arch9wavefront6targetE0EEEvS11_,comdat
.Lfunc_end513:
	.size	_ZN7rocprim17ROCPRIM_400000_NS6detail17trampoline_kernelINS0_14default_configENS1_21merge_config_selectorINS0_5tupleIJffEEENS0_10empty_typeEEEZNS1_10merge_implIS3_NS0_12zip_iteratorINS5_IJN6thrust23THRUST_200600_302600_NS6detail15normal_iteratorINSC_10device_ptrIKfEEEESI_EEEEESK_NSA_INS5_IJNSC_16discard_iteratorINSC_11use_defaultEEESN_EEEEEPS7_SQ_SQ_NSC_11hip_rocprim7__merge17predicate_wrapperIffNSC_4lessIfEEEEEE10hipError_tPvRmT0_T1_T2_T3_T4_T5_mmT6_P12ihipStream_tbEUlT_E0_NS1_11comp_targetILNS1_3genE9ELNS1_11target_archE1100ELNS1_3gpuE3ELNS1_3repE0EEENS1_30default_config_static_selectorELNS0_4arch9wavefront6targetE0EEEvS11_, .Lfunc_end513-_ZN7rocprim17ROCPRIM_400000_NS6detail17trampoline_kernelINS0_14default_configENS1_21merge_config_selectorINS0_5tupleIJffEEENS0_10empty_typeEEEZNS1_10merge_implIS3_NS0_12zip_iteratorINS5_IJN6thrust23THRUST_200600_302600_NS6detail15normal_iteratorINSC_10device_ptrIKfEEEESI_EEEEESK_NSA_INS5_IJNSC_16discard_iteratorINSC_11use_defaultEEESN_EEEEEPS7_SQ_SQ_NSC_11hip_rocprim7__merge17predicate_wrapperIffNSC_4lessIfEEEEEE10hipError_tPvRmT0_T1_T2_T3_T4_T5_mmT6_P12ihipStream_tbEUlT_E0_NS1_11comp_targetILNS1_3genE9ELNS1_11target_archE1100ELNS1_3gpuE3ELNS1_3repE0EEENS1_30default_config_static_selectorELNS0_4arch9wavefront6targetE0EEEvS11_
                                        ; -- End function
	.set _ZN7rocprim17ROCPRIM_400000_NS6detail17trampoline_kernelINS0_14default_configENS1_21merge_config_selectorINS0_5tupleIJffEEENS0_10empty_typeEEEZNS1_10merge_implIS3_NS0_12zip_iteratorINS5_IJN6thrust23THRUST_200600_302600_NS6detail15normal_iteratorINSC_10device_ptrIKfEEEESI_EEEEESK_NSA_INS5_IJNSC_16discard_iteratorINSC_11use_defaultEEESN_EEEEEPS7_SQ_SQ_NSC_11hip_rocprim7__merge17predicate_wrapperIffNSC_4lessIfEEEEEE10hipError_tPvRmT0_T1_T2_T3_T4_T5_mmT6_P12ihipStream_tbEUlT_E0_NS1_11comp_targetILNS1_3genE9ELNS1_11target_archE1100ELNS1_3gpuE3ELNS1_3repE0EEENS1_30default_config_static_selectorELNS0_4arch9wavefront6targetE0EEEvS11_.num_vgpr, 0
	.set _ZN7rocprim17ROCPRIM_400000_NS6detail17trampoline_kernelINS0_14default_configENS1_21merge_config_selectorINS0_5tupleIJffEEENS0_10empty_typeEEEZNS1_10merge_implIS3_NS0_12zip_iteratorINS5_IJN6thrust23THRUST_200600_302600_NS6detail15normal_iteratorINSC_10device_ptrIKfEEEESI_EEEEESK_NSA_INS5_IJNSC_16discard_iteratorINSC_11use_defaultEEESN_EEEEEPS7_SQ_SQ_NSC_11hip_rocprim7__merge17predicate_wrapperIffNSC_4lessIfEEEEEE10hipError_tPvRmT0_T1_T2_T3_T4_T5_mmT6_P12ihipStream_tbEUlT_E0_NS1_11comp_targetILNS1_3genE9ELNS1_11target_archE1100ELNS1_3gpuE3ELNS1_3repE0EEENS1_30default_config_static_selectorELNS0_4arch9wavefront6targetE0EEEvS11_.num_agpr, 0
	.set _ZN7rocprim17ROCPRIM_400000_NS6detail17trampoline_kernelINS0_14default_configENS1_21merge_config_selectorINS0_5tupleIJffEEENS0_10empty_typeEEEZNS1_10merge_implIS3_NS0_12zip_iteratorINS5_IJN6thrust23THRUST_200600_302600_NS6detail15normal_iteratorINSC_10device_ptrIKfEEEESI_EEEEESK_NSA_INS5_IJNSC_16discard_iteratorINSC_11use_defaultEEESN_EEEEEPS7_SQ_SQ_NSC_11hip_rocprim7__merge17predicate_wrapperIffNSC_4lessIfEEEEEE10hipError_tPvRmT0_T1_T2_T3_T4_T5_mmT6_P12ihipStream_tbEUlT_E0_NS1_11comp_targetILNS1_3genE9ELNS1_11target_archE1100ELNS1_3gpuE3ELNS1_3repE0EEENS1_30default_config_static_selectorELNS0_4arch9wavefront6targetE0EEEvS11_.numbered_sgpr, 0
	.set _ZN7rocprim17ROCPRIM_400000_NS6detail17trampoline_kernelINS0_14default_configENS1_21merge_config_selectorINS0_5tupleIJffEEENS0_10empty_typeEEEZNS1_10merge_implIS3_NS0_12zip_iteratorINS5_IJN6thrust23THRUST_200600_302600_NS6detail15normal_iteratorINSC_10device_ptrIKfEEEESI_EEEEESK_NSA_INS5_IJNSC_16discard_iteratorINSC_11use_defaultEEESN_EEEEEPS7_SQ_SQ_NSC_11hip_rocprim7__merge17predicate_wrapperIffNSC_4lessIfEEEEEE10hipError_tPvRmT0_T1_T2_T3_T4_T5_mmT6_P12ihipStream_tbEUlT_E0_NS1_11comp_targetILNS1_3genE9ELNS1_11target_archE1100ELNS1_3gpuE3ELNS1_3repE0EEENS1_30default_config_static_selectorELNS0_4arch9wavefront6targetE0EEEvS11_.num_named_barrier, 0
	.set _ZN7rocprim17ROCPRIM_400000_NS6detail17trampoline_kernelINS0_14default_configENS1_21merge_config_selectorINS0_5tupleIJffEEENS0_10empty_typeEEEZNS1_10merge_implIS3_NS0_12zip_iteratorINS5_IJN6thrust23THRUST_200600_302600_NS6detail15normal_iteratorINSC_10device_ptrIKfEEEESI_EEEEESK_NSA_INS5_IJNSC_16discard_iteratorINSC_11use_defaultEEESN_EEEEEPS7_SQ_SQ_NSC_11hip_rocprim7__merge17predicate_wrapperIffNSC_4lessIfEEEEEE10hipError_tPvRmT0_T1_T2_T3_T4_T5_mmT6_P12ihipStream_tbEUlT_E0_NS1_11comp_targetILNS1_3genE9ELNS1_11target_archE1100ELNS1_3gpuE3ELNS1_3repE0EEENS1_30default_config_static_selectorELNS0_4arch9wavefront6targetE0EEEvS11_.private_seg_size, 0
	.set _ZN7rocprim17ROCPRIM_400000_NS6detail17trampoline_kernelINS0_14default_configENS1_21merge_config_selectorINS0_5tupleIJffEEENS0_10empty_typeEEEZNS1_10merge_implIS3_NS0_12zip_iteratorINS5_IJN6thrust23THRUST_200600_302600_NS6detail15normal_iteratorINSC_10device_ptrIKfEEEESI_EEEEESK_NSA_INS5_IJNSC_16discard_iteratorINSC_11use_defaultEEESN_EEEEEPS7_SQ_SQ_NSC_11hip_rocprim7__merge17predicate_wrapperIffNSC_4lessIfEEEEEE10hipError_tPvRmT0_T1_T2_T3_T4_T5_mmT6_P12ihipStream_tbEUlT_E0_NS1_11comp_targetILNS1_3genE9ELNS1_11target_archE1100ELNS1_3gpuE3ELNS1_3repE0EEENS1_30default_config_static_selectorELNS0_4arch9wavefront6targetE0EEEvS11_.uses_vcc, 0
	.set _ZN7rocprim17ROCPRIM_400000_NS6detail17trampoline_kernelINS0_14default_configENS1_21merge_config_selectorINS0_5tupleIJffEEENS0_10empty_typeEEEZNS1_10merge_implIS3_NS0_12zip_iteratorINS5_IJN6thrust23THRUST_200600_302600_NS6detail15normal_iteratorINSC_10device_ptrIKfEEEESI_EEEEESK_NSA_INS5_IJNSC_16discard_iteratorINSC_11use_defaultEEESN_EEEEEPS7_SQ_SQ_NSC_11hip_rocprim7__merge17predicate_wrapperIffNSC_4lessIfEEEEEE10hipError_tPvRmT0_T1_T2_T3_T4_T5_mmT6_P12ihipStream_tbEUlT_E0_NS1_11comp_targetILNS1_3genE9ELNS1_11target_archE1100ELNS1_3gpuE3ELNS1_3repE0EEENS1_30default_config_static_selectorELNS0_4arch9wavefront6targetE0EEEvS11_.uses_flat_scratch, 0
	.set _ZN7rocprim17ROCPRIM_400000_NS6detail17trampoline_kernelINS0_14default_configENS1_21merge_config_selectorINS0_5tupleIJffEEENS0_10empty_typeEEEZNS1_10merge_implIS3_NS0_12zip_iteratorINS5_IJN6thrust23THRUST_200600_302600_NS6detail15normal_iteratorINSC_10device_ptrIKfEEEESI_EEEEESK_NSA_INS5_IJNSC_16discard_iteratorINSC_11use_defaultEEESN_EEEEEPS7_SQ_SQ_NSC_11hip_rocprim7__merge17predicate_wrapperIffNSC_4lessIfEEEEEE10hipError_tPvRmT0_T1_T2_T3_T4_T5_mmT6_P12ihipStream_tbEUlT_E0_NS1_11comp_targetILNS1_3genE9ELNS1_11target_archE1100ELNS1_3gpuE3ELNS1_3repE0EEENS1_30default_config_static_selectorELNS0_4arch9wavefront6targetE0EEEvS11_.has_dyn_sized_stack, 0
	.set _ZN7rocprim17ROCPRIM_400000_NS6detail17trampoline_kernelINS0_14default_configENS1_21merge_config_selectorINS0_5tupleIJffEEENS0_10empty_typeEEEZNS1_10merge_implIS3_NS0_12zip_iteratorINS5_IJN6thrust23THRUST_200600_302600_NS6detail15normal_iteratorINSC_10device_ptrIKfEEEESI_EEEEESK_NSA_INS5_IJNSC_16discard_iteratorINSC_11use_defaultEEESN_EEEEEPS7_SQ_SQ_NSC_11hip_rocprim7__merge17predicate_wrapperIffNSC_4lessIfEEEEEE10hipError_tPvRmT0_T1_T2_T3_T4_T5_mmT6_P12ihipStream_tbEUlT_E0_NS1_11comp_targetILNS1_3genE9ELNS1_11target_archE1100ELNS1_3gpuE3ELNS1_3repE0EEENS1_30default_config_static_selectorELNS0_4arch9wavefront6targetE0EEEvS11_.has_recursion, 0
	.set _ZN7rocprim17ROCPRIM_400000_NS6detail17trampoline_kernelINS0_14default_configENS1_21merge_config_selectorINS0_5tupleIJffEEENS0_10empty_typeEEEZNS1_10merge_implIS3_NS0_12zip_iteratorINS5_IJN6thrust23THRUST_200600_302600_NS6detail15normal_iteratorINSC_10device_ptrIKfEEEESI_EEEEESK_NSA_INS5_IJNSC_16discard_iteratorINSC_11use_defaultEEESN_EEEEEPS7_SQ_SQ_NSC_11hip_rocprim7__merge17predicate_wrapperIffNSC_4lessIfEEEEEE10hipError_tPvRmT0_T1_T2_T3_T4_T5_mmT6_P12ihipStream_tbEUlT_E0_NS1_11comp_targetILNS1_3genE9ELNS1_11target_archE1100ELNS1_3gpuE3ELNS1_3repE0EEENS1_30default_config_static_selectorELNS0_4arch9wavefront6targetE0EEEvS11_.has_indirect_call, 0
	.section	.AMDGPU.csdata,"",@progbits
; Kernel info:
; codeLenInByte = 0
; TotalNumSgprs: 0
; NumVgprs: 0
; ScratchSize: 0
; MemoryBound: 0
; FloatMode: 240
; IeeeMode: 1
; LDSByteSize: 0 bytes/workgroup (compile time only)
; SGPRBlocks: 0
; VGPRBlocks: 0
; NumSGPRsForWavesPerEU: 1
; NumVGPRsForWavesPerEU: 1
; NamedBarCnt: 0
; Occupancy: 16
; WaveLimiterHint : 0
; COMPUTE_PGM_RSRC2:SCRATCH_EN: 0
; COMPUTE_PGM_RSRC2:USER_SGPR: 2
; COMPUTE_PGM_RSRC2:TRAP_HANDLER: 0
; COMPUTE_PGM_RSRC2:TGID_X_EN: 1
; COMPUTE_PGM_RSRC2:TGID_Y_EN: 0
; COMPUTE_PGM_RSRC2:TGID_Z_EN: 0
; COMPUTE_PGM_RSRC2:TIDIG_COMP_CNT: 0
	.section	.text._ZN7rocprim17ROCPRIM_400000_NS6detail17trampoline_kernelINS0_14default_configENS1_21merge_config_selectorINS0_5tupleIJffEEENS0_10empty_typeEEEZNS1_10merge_implIS3_NS0_12zip_iteratorINS5_IJN6thrust23THRUST_200600_302600_NS6detail15normal_iteratorINSC_10device_ptrIKfEEEESI_EEEEESK_NSA_INS5_IJNSC_16discard_iteratorINSC_11use_defaultEEESN_EEEEEPS7_SQ_SQ_NSC_11hip_rocprim7__merge17predicate_wrapperIffNSC_4lessIfEEEEEE10hipError_tPvRmT0_T1_T2_T3_T4_T5_mmT6_P12ihipStream_tbEUlT_E0_NS1_11comp_targetILNS1_3genE8ELNS1_11target_archE1030ELNS1_3gpuE2ELNS1_3repE0EEENS1_30default_config_static_selectorELNS0_4arch9wavefront6targetE0EEEvS11_,"axG",@progbits,_ZN7rocprim17ROCPRIM_400000_NS6detail17trampoline_kernelINS0_14default_configENS1_21merge_config_selectorINS0_5tupleIJffEEENS0_10empty_typeEEEZNS1_10merge_implIS3_NS0_12zip_iteratorINS5_IJN6thrust23THRUST_200600_302600_NS6detail15normal_iteratorINSC_10device_ptrIKfEEEESI_EEEEESK_NSA_INS5_IJNSC_16discard_iteratorINSC_11use_defaultEEESN_EEEEEPS7_SQ_SQ_NSC_11hip_rocprim7__merge17predicate_wrapperIffNSC_4lessIfEEEEEE10hipError_tPvRmT0_T1_T2_T3_T4_T5_mmT6_P12ihipStream_tbEUlT_E0_NS1_11comp_targetILNS1_3genE8ELNS1_11target_archE1030ELNS1_3gpuE2ELNS1_3repE0EEENS1_30default_config_static_selectorELNS0_4arch9wavefront6targetE0EEEvS11_,comdat
	.protected	_ZN7rocprim17ROCPRIM_400000_NS6detail17trampoline_kernelINS0_14default_configENS1_21merge_config_selectorINS0_5tupleIJffEEENS0_10empty_typeEEEZNS1_10merge_implIS3_NS0_12zip_iteratorINS5_IJN6thrust23THRUST_200600_302600_NS6detail15normal_iteratorINSC_10device_ptrIKfEEEESI_EEEEESK_NSA_INS5_IJNSC_16discard_iteratorINSC_11use_defaultEEESN_EEEEEPS7_SQ_SQ_NSC_11hip_rocprim7__merge17predicate_wrapperIffNSC_4lessIfEEEEEE10hipError_tPvRmT0_T1_T2_T3_T4_T5_mmT6_P12ihipStream_tbEUlT_E0_NS1_11comp_targetILNS1_3genE8ELNS1_11target_archE1030ELNS1_3gpuE2ELNS1_3repE0EEENS1_30default_config_static_selectorELNS0_4arch9wavefront6targetE0EEEvS11_ ; -- Begin function _ZN7rocprim17ROCPRIM_400000_NS6detail17trampoline_kernelINS0_14default_configENS1_21merge_config_selectorINS0_5tupleIJffEEENS0_10empty_typeEEEZNS1_10merge_implIS3_NS0_12zip_iteratorINS5_IJN6thrust23THRUST_200600_302600_NS6detail15normal_iteratorINSC_10device_ptrIKfEEEESI_EEEEESK_NSA_INS5_IJNSC_16discard_iteratorINSC_11use_defaultEEESN_EEEEEPS7_SQ_SQ_NSC_11hip_rocprim7__merge17predicate_wrapperIffNSC_4lessIfEEEEEE10hipError_tPvRmT0_T1_T2_T3_T4_T5_mmT6_P12ihipStream_tbEUlT_E0_NS1_11comp_targetILNS1_3genE8ELNS1_11target_archE1030ELNS1_3gpuE2ELNS1_3repE0EEENS1_30default_config_static_selectorELNS0_4arch9wavefront6targetE0EEEvS11_
	.globl	_ZN7rocprim17ROCPRIM_400000_NS6detail17trampoline_kernelINS0_14default_configENS1_21merge_config_selectorINS0_5tupleIJffEEENS0_10empty_typeEEEZNS1_10merge_implIS3_NS0_12zip_iteratorINS5_IJN6thrust23THRUST_200600_302600_NS6detail15normal_iteratorINSC_10device_ptrIKfEEEESI_EEEEESK_NSA_INS5_IJNSC_16discard_iteratorINSC_11use_defaultEEESN_EEEEEPS7_SQ_SQ_NSC_11hip_rocprim7__merge17predicate_wrapperIffNSC_4lessIfEEEEEE10hipError_tPvRmT0_T1_T2_T3_T4_T5_mmT6_P12ihipStream_tbEUlT_E0_NS1_11comp_targetILNS1_3genE8ELNS1_11target_archE1030ELNS1_3gpuE2ELNS1_3repE0EEENS1_30default_config_static_selectorELNS0_4arch9wavefront6targetE0EEEvS11_
	.p2align	8
	.type	_ZN7rocprim17ROCPRIM_400000_NS6detail17trampoline_kernelINS0_14default_configENS1_21merge_config_selectorINS0_5tupleIJffEEENS0_10empty_typeEEEZNS1_10merge_implIS3_NS0_12zip_iteratorINS5_IJN6thrust23THRUST_200600_302600_NS6detail15normal_iteratorINSC_10device_ptrIKfEEEESI_EEEEESK_NSA_INS5_IJNSC_16discard_iteratorINSC_11use_defaultEEESN_EEEEEPS7_SQ_SQ_NSC_11hip_rocprim7__merge17predicate_wrapperIffNSC_4lessIfEEEEEE10hipError_tPvRmT0_T1_T2_T3_T4_T5_mmT6_P12ihipStream_tbEUlT_E0_NS1_11comp_targetILNS1_3genE8ELNS1_11target_archE1030ELNS1_3gpuE2ELNS1_3repE0EEENS1_30default_config_static_selectorELNS0_4arch9wavefront6targetE0EEEvS11_,@function
_ZN7rocprim17ROCPRIM_400000_NS6detail17trampoline_kernelINS0_14default_configENS1_21merge_config_selectorINS0_5tupleIJffEEENS0_10empty_typeEEEZNS1_10merge_implIS3_NS0_12zip_iteratorINS5_IJN6thrust23THRUST_200600_302600_NS6detail15normal_iteratorINSC_10device_ptrIKfEEEESI_EEEEESK_NSA_INS5_IJNSC_16discard_iteratorINSC_11use_defaultEEESN_EEEEEPS7_SQ_SQ_NSC_11hip_rocprim7__merge17predicate_wrapperIffNSC_4lessIfEEEEEE10hipError_tPvRmT0_T1_T2_T3_T4_T5_mmT6_P12ihipStream_tbEUlT_E0_NS1_11comp_targetILNS1_3genE8ELNS1_11target_archE1030ELNS1_3gpuE2ELNS1_3repE0EEENS1_30default_config_static_selectorELNS0_4arch9wavefront6targetE0EEEvS11_: ; @_ZN7rocprim17ROCPRIM_400000_NS6detail17trampoline_kernelINS0_14default_configENS1_21merge_config_selectorINS0_5tupleIJffEEENS0_10empty_typeEEEZNS1_10merge_implIS3_NS0_12zip_iteratorINS5_IJN6thrust23THRUST_200600_302600_NS6detail15normal_iteratorINSC_10device_ptrIKfEEEESI_EEEEESK_NSA_INS5_IJNSC_16discard_iteratorINSC_11use_defaultEEESN_EEEEEPS7_SQ_SQ_NSC_11hip_rocprim7__merge17predicate_wrapperIffNSC_4lessIfEEEEEE10hipError_tPvRmT0_T1_T2_T3_T4_T5_mmT6_P12ihipStream_tbEUlT_E0_NS1_11comp_targetILNS1_3genE8ELNS1_11target_archE1030ELNS1_3gpuE2ELNS1_3repE0EEENS1_30default_config_static_selectorELNS0_4arch9wavefront6targetE0EEEvS11_
; %bb.0:
	.section	.rodata,"a",@progbits
	.p2align	6, 0x0
	.amdhsa_kernel _ZN7rocprim17ROCPRIM_400000_NS6detail17trampoline_kernelINS0_14default_configENS1_21merge_config_selectorINS0_5tupleIJffEEENS0_10empty_typeEEEZNS1_10merge_implIS3_NS0_12zip_iteratorINS5_IJN6thrust23THRUST_200600_302600_NS6detail15normal_iteratorINSC_10device_ptrIKfEEEESI_EEEEESK_NSA_INS5_IJNSC_16discard_iteratorINSC_11use_defaultEEESN_EEEEEPS7_SQ_SQ_NSC_11hip_rocprim7__merge17predicate_wrapperIffNSC_4lessIfEEEEEE10hipError_tPvRmT0_T1_T2_T3_T4_T5_mmT6_P12ihipStream_tbEUlT_E0_NS1_11comp_targetILNS1_3genE8ELNS1_11target_archE1030ELNS1_3gpuE2ELNS1_3repE0EEENS1_30default_config_static_selectorELNS0_4arch9wavefront6targetE0EEEvS11_
		.amdhsa_group_segment_fixed_size 0
		.amdhsa_private_segment_fixed_size 0
		.amdhsa_kernarg_size 128
		.amdhsa_user_sgpr_count 2
		.amdhsa_user_sgpr_dispatch_ptr 0
		.amdhsa_user_sgpr_queue_ptr 0
		.amdhsa_user_sgpr_kernarg_segment_ptr 1
		.amdhsa_user_sgpr_dispatch_id 0
		.amdhsa_user_sgpr_kernarg_preload_length 0
		.amdhsa_user_sgpr_kernarg_preload_offset 0
		.amdhsa_user_sgpr_private_segment_size 0
		.amdhsa_wavefront_size32 1
		.amdhsa_uses_dynamic_stack 0
		.amdhsa_enable_private_segment 0
		.amdhsa_system_sgpr_workgroup_id_x 1
		.amdhsa_system_sgpr_workgroup_id_y 0
		.amdhsa_system_sgpr_workgroup_id_z 0
		.amdhsa_system_sgpr_workgroup_info 0
		.amdhsa_system_vgpr_workitem_id 0
		.amdhsa_next_free_vgpr 1
		.amdhsa_next_free_sgpr 1
		.amdhsa_named_barrier_count 0
		.amdhsa_reserve_vcc 0
		.amdhsa_float_round_mode_32 0
		.amdhsa_float_round_mode_16_64 0
		.amdhsa_float_denorm_mode_32 3
		.amdhsa_float_denorm_mode_16_64 3
		.amdhsa_fp16_overflow 0
		.amdhsa_memory_ordered 1
		.amdhsa_forward_progress 1
		.amdhsa_inst_pref_size 0
		.amdhsa_round_robin_scheduling 0
		.amdhsa_exception_fp_ieee_invalid_op 0
		.amdhsa_exception_fp_denorm_src 0
		.amdhsa_exception_fp_ieee_div_zero 0
		.amdhsa_exception_fp_ieee_overflow 0
		.amdhsa_exception_fp_ieee_underflow 0
		.amdhsa_exception_fp_ieee_inexact 0
		.amdhsa_exception_int_div_zero 0
	.end_amdhsa_kernel
	.section	.text._ZN7rocprim17ROCPRIM_400000_NS6detail17trampoline_kernelINS0_14default_configENS1_21merge_config_selectorINS0_5tupleIJffEEENS0_10empty_typeEEEZNS1_10merge_implIS3_NS0_12zip_iteratorINS5_IJN6thrust23THRUST_200600_302600_NS6detail15normal_iteratorINSC_10device_ptrIKfEEEESI_EEEEESK_NSA_INS5_IJNSC_16discard_iteratorINSC_11use_defaultEEESN_EEEEEPS7_SQ_SQ_NSC_11hip_rocprim7__merge17predicate_wrapperIffNSC_4lessIfEEEEEE10hipError_tPvRmT0_T1_T2_T3_T4_T5_mmT6_P12ihipStream_tbEUlT_E0_NS1_11comp_targetILNS1_3genE8ELNS1_11target_archE1030ELNS1_3gpuE2ELNS1_3repE0EEENS1_30default_config_static_selectorELNS0_4arch9wavefront6targetE0EEEvS11_,"axG",@progbits,_ZN7rocprim17ROCPRIM_400000_NS6detail17trampoline_kernelINS0_14default_configENS1_21merge_config_selectorINS0_5tupleIJffEEENS0_10empty_typeEEEZNS1_10merge_implIS3_NS0_12zip_iteratorINS5_IJN6thrust23THRUST_200600_302600_NS6detail15normal_iteratorINSC_10device_ptrIKfEEEESI_EEEEESK_NSA_INS5_IJNSC_16discard_iteratorINSC_11use_defaultEEESN_EEEEEPS7_SQ_SQ_NSC_11hip_rocprim7__merge17predicate_wrapperIffNSC_4lessIfEEEEEE10hipError_tPvRmT0_T1_T2_T3_T4_T5_mmT6_P12ihipStream_tbEUlT_E0_NS1_11comp_targetILNS1_3genE8ELNS1_11target_archE1030ELNS1_3gpuE2ELNS1_3repE0EEENS1_30default_config_static_selectorELNS0_4arch9wavefront6targetE0EEEvS11_,comdat
.Lfunc_end514:
	.size	_ZN7rocprim17ROCPRIM_400000_NS6detail17trampoline_kernelINS0_14default_configENS1_21merge_config_selectorINS0_5tupleIJffEEENS0_10empty_typeEEEZNS1_10merge_implIS3_NS0_12zip_iteratorINS5_IJN6thrust23THRUST_200600_302600_NS6detail15normal_iteratorINSC_10device_ptrIKfEEEESI_EEEEESK_NSA_INS5_IJNSC_16discard_iteratorINSC_11use_defaultEEESN_EEEEEPS7_SQ_SQ_NSC_11hip_rocprim7__merge17predicate_wrapperIffNSC_4lessIfEEEEEE10hipError_tPvRmT0_T1_T2_T3_T4_T5_mmT6_P12ihipStream_tbEUlT_E0_NS1_11comp_targetILNS1_3genE8ELNS1_11target_archE1030ELNS1_3gpuE2ELNS1_3repE0EEENS1_30default_config_static_selectorELNS0_4arch9wavefront6targetE0EEEvS11_, .Lfunc_end514-_ZN7rocprim17ROCPRIM_400000_NS6detail17trampoline_kernelINS0_14default_configENS1_21merge_config_selectorINS0_5tupleIJffEEENS0_10empty_typeEEEZNS1_10merge_implIS3_NS0_12zip_iteratorINS5_IJN6thrust23THRUST_200600_302600_NS6detail15normal_iteratorINSC_10device_ptrIKfEEEESI_EEEEESK_NSA_INS5_IJNSC_16discard_iteratorINSC_11use_defaultEEESN_EEEEEPS7_SQ_SQ_NSC_11hip_rocprim7__merge17predicate_wrapperIffNSC_4lessIfEEEEEE10hipError_tPvRmT0_T1_T2_T3_T4_T5_mmT6_P12ihipStream_tbEUlT_E0_NS1_11comp_targetILNS1_3genE8ELNS1_11target_archE1030ELNS1_3gpuE2ELNS1_3repE0EEENS1_30default_config_static_selectorELNS0_4arch9wavefront6targetE0EEEvS11_
                                        ; -- End function
	.set _ZN7rocprim17ROCPRIM_400000_NS6detail17trampoline_kernelINS0_14default_configENS1_21merge_config_selectorINS0_5tupleIJffEEENS0_10empty_typeEEEZNS1_10merge_implIS3_NS0_12zip_iteratorINS5_IJN6thrust23THRUST_200600_302600_NS6detail15normal_iteratorINSC_10device_ptrIKfEEEESI_EEEEESK_NSA_INS5_IJNSC_16discard_iteratorINSC_11use_defaultEEESN_EEEEEPS7_SQ_SQ_NSC_11hip_rocprim7__merge17predicate_wrapperIffNSC_4lessIfEEEEEE10hipError_tPvRmT0_T1_T2_T3_T4_T5_mmT6_P12ihipStream_tbEUlT_E0_NS1_11comp_targetILNS1_3genE8ELNS1_11target_archE1030ELNS1_3gpuE2ELNS1_3repE0EEENS1_30default_config_static_selectorELNS0_4arch9wavefront6targetE0EEEvS11_.num_vgpr, 0
	.set _ZN7rocprim17ROCPRIM_400000_NS6detail17trampoline_kernelINS0_14default_configENS1_21merge_config_selectorINS0_5tupleIJffEEENS0_10empty_typeEEEZNS1_10merge_implIS3_NS0_12zip_iteratorINS5_IJN6thrust23THRUST_200600_302600_NS6detail15normal_iteratorINSC_10device_ptrIKfEEEESI_EEEEESK_NSA_INS5_IJNSC_16discard_iteratorINSC_11use_defaultEEESN_EEEEEPS7_SQ_SQ_NSC_11hip_rocprim7__merge17predicate_wrapperIffNSC_4lessIfEEEEEE10hipError_tPvRmT0_T1_T2_T3_T4_T5_mmT6_P12ihipStream_tbEUlT_E0_NS1_11comp_targetILNS1_3genE8ELNS1_11target_archE1030ELNS1_3gpuE2ELNS1_3repE0EEENS1_30default_config_static_selectorELNS0_4arch9wavefront6targetE0EEEvS11_.num_agpr, 0
	.set _ZN7rocprim17ROCPRIM_400000_NS6detail17trampoline_kernelINS0_14default_configENS1_21merge_config_selectorINS0_5tupleIJffEEENS0_10empty_typeEEEZNS1_10merge_implIS3_NS0_12zip_iteratorINS5_IJN6thrust23THRUST_200600_302600_NS6detail15normal_iteratorINSC_10device_ptrIKfEEEESI_EEEEESK_NSA_INS5_IJNSC_16discard_iteratorINSC_11use_defaultEEESN_EEEEEPS7_SQ_SQ_NSC_11hip_rocprim7__merge17predicate_wrapperIffNSC_4lessIfEEEEEE10hipError_tPvRmT0_T1_T2_T3_T4_T5_mmT6_P12ihipStream_tbEUlT_E0_NS1_11comp_targetILNS1_3genE8ELNS1_11target_archE1030ELNS1_3gpuE2ELNS1_3repE0EEENS1_30default_config_static_selectorELNS0_4arch9wavefront6targetE0EEEvS11_.numbered_sgpr, 0
	.set _ZN7rocprim17ROCPRIM_400000_NS6detail17trampoline_kernelINS0_14default_configENS1_21merge_config_selectorINS0_5tupleIJffEEENS0_10empty_typeEEEZNS1_10merge_implIS3_NS0_12zip_iteratorINS5_IJN6thrust23THRUST_200600_302600_NS6detail15normal_iteratorINSC_10device_ptrIKfEEEESI_EEEEESK_NSA_INS5_IJNSC_16discard_iteratorINSC_11use_defaultEEESN_EEEEEPS7_SQ_SQ_NSC_11hip_rocprim7__merge17predicate_wrapperIffNSC_4lessIfEEEEEE10hipError_tPvRmT0_T1_T2_T3_T4_T5_mmT6_P12ihipStream_tbEUlT_E0_NS1_11comp_targetILNS1_3genE8ELNS1_11target_archE1030ELNS1_3gpuE2ELNS1_3repE0EEENS1_30default_config_static_selectorELNS0_4arch9wavefront6targetE0EEEvS11_.num_named_barrier, 0
	.set _ZN7rocprim17ROCPRIM_400000_NS6detail17trampoline_kernelINS0_14default_configENS1_21merge_config_selectorINS0_5tupleIJffEEENS0_10empty_typeEEEZNS1_10merge_implIS3_NS0_12zip_iteratorINS5_IJN6thrust23THRUST_200600_302600_NS6detail15normal_iteratorINSC_10device_ptrIKfEEEESI_EEEEESK_NSA_INS5_IJNSC_16discard_iteratorINSC_11use_defaultEEESN_EEEEEPS7_SQ_SQ_NSC_11hip_rocprim7__merge17predicate_wrapperIffNSC_4lessIfEEEEEE10hipError_tPvRmT0_T1_T2_T3_T4_T5_mmT6_P12ihipStream_tbEUlT_E0_NS1_11comp_targetILNS1_3genE8ELNS1_11target_archE1030ELNS1_3gpuE2ELNS1_3repE0EEENS1_30default_config_static_selectorELNS0_4arch9wavefront6targetE0EEEvS11_.private_seg_size, 0
	.set _ZN7rocprim17ROCPRIM_400000_NS6detail17trampoline_kernelINS0_14default_configENS1_21merge_config_selectorINS0_5tupleIJffEEENS0_10empty_typeEEEZNS1_10merge_implIS3_NS0_12zip_iteratorINS5_IJN6thrust23THRUST_200600_302600_NS6detail15normal_iteratorINSC_10device_ptrIKfEEEESI_EEEEESK_NSA_INS5_IJNSC_16discard_iteratorINSC_11use_defaultEEESN_EEEEEPS7_SQ_SQ_NSC_11hip_rocprim7__merge17predicate_wrapperIffNSC_4lessIfEEEEEE10hipError_tPvRmT0_T1_T2_T3_T4_T5_mmT6_P12ihipStream_tbEUlT_E0_NS1_11comp_targetILNS1_3genE8ELNS1_11target_archE1030ELNS1_3gpuE2ELNS1_3repE0EEENS1_30default_config_static_selectorELNS0_4arch9wavefront6targetE0EEEvS11_.uses_vcc, 0
	.set _ZN7rocprim17ROCPRIM_400000_NS6detail17trampoline_kernelINS0_14default_configENS1_21merge_config_selectorINS0_5tupleIJffEEENS0_10empty_typeEEEZNS1_10merge_implIS3_NS0_12zip_iteratorINS5_IJN6thrust23THRUST_200600_302600_NS6detail15normal_iteratorINSC_10device_ptrIKfEEEESI_EEEEESK_NSA_INS5_IJNSC_16discard_iteratorINSC_11use_defaultEEESN_EEEEEPS7_SQ_SQ_NSC_11hip_rocprim7__merge17predicate_wrapperIffNSC_4lessIfEEEEEE10hipError_tPvRmT0_T1_T2_T3_T4_T5_mmT6_P12ihipStream_tbEUlT_E0_NS1_11comp_targetILNS1_3genE8ELNS1_11target_archE1030ELNS1_3gpuE2ELNS1_3repE0EEENS1_30default_config_static_selectorELNS0_4arch9wavefront6targetE0EEEvS11_.uses_flat_scratch, 0
	.set _ZN7rocprim17ROCPRIM_400000_NS6detail17trampoline_kernelINS0_14default_configENS1_21merge_config_selectorINS0_5tupleIJffEEENS0_10empty_typeEEEZNS1_10merge_implIS3_NS0_12zip_iteratorINS5_IJN6thrust23THRUST_200600_302600_NS6detail15normal_iteratorINSC_10device_ptrIKfEEEESI_EEEEESK_NSA_INS5_IJNSC_16discard_iteratorINSC_11use_defaultEEESN_EEEEEPS7_SQ_SQ_NSC_11hip_rocprim7__merge17predicate_wrapperIffNSC_4lessIfEEEEEE10hipError_tPvRmT0_T1_T2_T3_T4_T5_mmT6_P12ihipStream_tbEUlT_E0_NS1_11comp_targetILNS1_3genE8ELNS1_11target_archE1030ELNS1_3gpuE2ELNS1_3repE0EEENS1_30default_config_static_selectorELNS0_4arch9wavefront6targetE0EEEvS11_.has_dyn_sized_stack, 0
	.set _ZN7rocprim17ROCPRIM_400000_NS6detail17trampoline_kernelINS0_14default_configENS1_21merge_config_selectorINS0_5tupleIJffEEENS0_10empty_typeEEEZNS1_10merge_implIS3_NS0_12zip_iteratorINS5_IJN6thrust23THRUST_200600_302600_NS6detail15normal_iteratorINSC_10device_ptrIKfEEEESI_EEEEESK_NSA_INS5_IJNSC_16discard_iteratorINSC_11use_defaultEEESN_EEEEEPS7_SQ_SQ_NSC_11hip_rocprim7__merge17predicate_wrapperIffNSC_4lessIfEEEEEE10hipError_tPvRmT0_T1_T2_T3_T4_T5_mmT6_P12ihipStream_tbEUlT_E0_NS1_11comp_targetILNS1_3genE8ELNS1_11target_archE1030ELNS1_3gpuE2ELNS1_3repE0EEENS1_30default_config_static_selectorELNS0_4arch9wavefront6targetE0EEEvS11_.has_recursion, 0
	.set _ZN7rocprim17ROCPRIM_400000_NS6detail17trampoline_kernelINS0_14default_configENS1_21merge_config_selectorINS0_5tupleIJffEEENS0_10empty_typeEEEZNS1_10merge_implIS3_NS0_12zip_iteratorINS5_IJN6thrust23THRUST_200600_302600_NS6detail15normal_iteratorINSC_10device_ptrIKfEEEESI_EEEEESK_NSA_INS5_IJNSC_16discard_iteratorINSC_11use_defaultEEESN_EEEEEPS7_SQ_SQ_NSC_11hip_rocprim7__merge17predicate_wrapperIffNSC_4lessIfEEEEEE10hipError_tPvRmT0_T1_T2_T3_T4_T5_mmT6_P12ihipStream_tbEUlT_E0_NS1_11comp_targetILNS1_3genE8ELNS1_11target_archE1030ELNS1_3gpuE2ELNS1_3repE0EEENS1_30default_config_static_selectorELNS0_4arch9wavefront6targetE0EEEvS11_.has_indirect_call, 0
	.section	.AMDGPU.csdata,"",@progbits
; Kernel info:
; codeLenInByte = 0
; TotalNumSgprs: 0
; NumVgprs: 0
; ScratchSize: 0
; MemoryBound: 0
; FloatMode: 240
; IeeeMode: 1
; LDSByteSize: 0 bytes/workgroup (compile time only)
; SGPRBlocks: 0
; VGPRBlocks: 0
; NumSGPRsForWavesPerEU: 1
; NumVGPRsForWavesPerEU: 1
; NamedBarCnt: 0
; Occupancy: 16
; WaveLimiterHint : 0
; COMPUTE_PGM_RSRC2:SCRATCH_EN: 0
; COMPUTE_PGM_RSRC2:USER_SGPR: 2
; COMPUTE_PGM_RSRC2:TRAP_HANDLER: 0
; COMPUTE_PGM_RSRC2:TGID_X_EN: 1
; COMPUTE_PGM_RSRC2:TGID_Y_EN: 0
; COMPUTE_PGM_RSRC2:TGID_Z_EN: 0
; COMPUTE_PGM_RSRC2:TIDIG_COMP_CNT: 0
	.section	.text._ZN7rocprim17ROCPRIM_400000_NS6detail17trampoline_kernelINS0_14default_configENS1_21merge_config_selectorINS0_5tupleIJyyEEENS0_10empty_typeEEEZNS1_10merge_implIS3_NS0_12zip_iteratorINS5_IJN6thrust23THRUST_200600_302600_NS6detail15normal_iteratorINSC_10device_ptrIKyEEEESI_EEEEESK_NSA_INS5_IJNSC_16discard_iteratorINSC_11use_defaultEEESN_EEEEEPS7_SQ_SQ_NSC_11hip_rocprim7__merge17predicate_wrapperIyyNSC_4lessIyEEEEEE10hipError_tPvRmT0_T1_T2_T3_T4_T5_mmT6_P12ihipStream_tbEUlT_E_NS1_11comp_targetILNS1_3genE0ELNS1_11target_archE4294967295ELNS1_3gpuE0ELNS1_3repE0EEENS1_30default_config_static_selectorELNS0_4arch9wavefront6targetE0EEEvS11_,"axG",@progbits,_ZN7rocprim17ROCPRIM_400000_NS6detail17trampoline_kernelINS0_14default_configENS1_21merge_config_selectorINS0_5tupleIJyyEEENS0_10empty_typeEEEZNS1_10merge_implIS3_NS0_12zip_iteratorINS5_IJN6thrust23THRUST_200600_302600_NS6detail15normal_iteratorINSC_10device_ptrIKyEEEESI_EEEEESK_NSA_INS5_IJNSC_16discard_iteratorINSC_11use_defaultEEESN_EEEEEPS7_SQ_SQ_NSC_11hip_rocprim7__merge17predicate_wrapperIyyNSC_4lessIyEEEEEE10hipError_tPvRmT0_T1_T2_T3_T4_T5_mmT6_P12ihipStream_tbEUlT_E_NS1_11comp_targetILNS1_3genE0ELNS1_11target_archE4294967295ELNS1_3gpuE0ELNS1_3repE0EEENS1_30default_config_static_selectorELNS0_4arch9wavefront6targetE0EEEvS11_,comdat
	.protected	_ZN7rocprim17ROCPRIM_400000_NS6detail17trampoline_kernelINS0_14default_configENS1_21merge_config_selectorINS0_5tupleIJyyEEENS0_10empty_typeEEEZNS1_10merge_implIS3_NS0_12zip_iteratorINS5_IJN6thrust23THRUST_200600_302600_NS6detail15normal_iteratorINSC_10device_ptrIKyEEEESI_EEEEESK_NSA_INS5_IJNSC_16discard_iteratorINSC_11use_defaultEEESN_EEEEEPS7_SQ_SQ_NSC_11hip_rocprim7__merge17predicate_wrapperIyyNSC_4lessIyEEEEEE10hipError_tPvRmT0_T1_T2_T3_T4_T5_mmT6_P12ihipStream_tbEUlT_E_NS1_11comp_targetILNS1_3genE0ELNS1_11target_archE4294967295ELNS1_3gpuE0ELNS1_3repE0EEENS1_30default_config_static_selectorELNS0_4arch9wavefront6targetE0EEEvS11_ ; -- Begin function _ZN7rocprim17ROCPRIM_400000_NS6detail17trampoline_kernelINS0_14default_configENS1_21merge_config_selectorINS0_5tupleIJyyEEENS0_10empty_typeEEEZNS1_10merge_implIS3_NS0_12zip_iteratorINS5_IJN6thrust23THRUST_200600_302600_NS6detail15normal_iteratorINSC_10device_ptrIKyEEEESI_EEEEESK_NSA_INS5_IJNSC_16discard_iteratorINSC_11use_defaultEEESN_EEEEEPS7_SQ_SQ_NSC_11hip_rocprim7__merge17predicate_wrapperIyyNSC_4lessIyEEEEEE10hipError_tPvRmT0_T1_T2_T3_T4_T5_mmT6_P12ihipStream_tbEUlT_E_NS1_11comp_targetILNS1_3genE0ELNS1_11target_archE4294967295ELNS1_3gpuE0ELNS1_3repE0EEENS1_30default_config_static_selectorELNS0_4arch9wavefront6targetE0EEEvS11_
	.globl	_ZN7rocprim17ROCPRIM_400000_NS6detail17trampoline_kernelINS0_14default_configENS1_21merge_config_selectorINS0_5tupleIJyyEEENS0_10empty_typeEEEZNS1_10merge_implIS3_NS0_12zip_iteratorINS5_IJN6thrust23THRUST_200600_302600_NS6detail15normal_iteratorINSC_10device_ptrIKyEEEESI_EEEEESK_NSA_INS5_IJNSC_16discard_iteratorINSC_11use_defaultEEESN_EEEEEPS7_SQ_SQ_NSC_11hip_rocprim7__merge17predicate_wrapperIyyNSC_4lessIyEEEEEE10hipError_tPvRmT0_T1_T2_T3_T4_T5_mmT6_P12ihipStream_tbEUlT_E_NS1_11comp_targetILNS1_3genE0ELNS1_11target_archE4294967295ELNS1_3gpuE0ELNS1_3repE0EEENS1_30default_config_static_selectorELNS0_4arch9wavefront6targetE0EEEvS11_
	.p2align	8
	.type	_ZN7rocprim17ROCPRIM_400000_NS6detail17trampoline_kernelINS0_14default_configENS1_21merge_config_selectorINS0_5tupleIJyyEEENS0_10empty_typeEEEZNS1_10merge_implIS3_NS0_12zip_iteratorINS5_IJN6thrust23THRUST_200600_302600_NS6detail15normal_iteratorINSC_10device_ptrIKyEEEESI_EEEEESK_NSA_INS5_IJNSC_16discard_iteratorINSC_11use_defaultEEESN_EEEEEPS7_SQ_SQ_NSC_11hip_rocprim7__merge17predicate_wrapperIyyNSC_4lessIyEEEEEE10hipError_tPvRmT0_T1_T2_T3_T4_T5_mmT6_P12ihipStream_tbEUlT_E_NS1_11comp_targetILNS1_3genE0ELNS1_11target_archE4294967295ELNS1_3gpuE0ELNS1_3repE0EEENS1_30default_config_static_selectorELNS0_4arch9wavefront6targetE0EEEvS11_,@function
_ZN7rocprim17ROCPRIM_400000_NS6detail17trampoline_kernelINS0_14default_configENS1_21merge_config_selectorINS0_5tupleIJyyEEENS0_10empty_typeEEEZNS1_10merge_implIS3_NS0_12zip_iteratorINS5_IJN6thrust23THRUST_200600_302600_NS6detail15normal_iteratorINSC_10device_ptrIKyEEEESI_EEEEESK_NSA_INS5_IJNSC_16discard_iteratorINSC_11use_defaultEEESN_EEEEEPS7_SQ_SQ_NSC_11hip_rocprim7__merge17predicate_wrapperIyyNSC_4lessIyEEEEEE10hipError_tPvRmT0_T1_T2_T3_T4_T5_mmT6_P12ihipStream_tbEUlT_E_NS1_11comp_targetILNS1_3genE0ELNS1_11target_archE4294967295ELNS1_3gpuE0ELNS1_3repE0EEENS1_30default_config_static_selectorELNS0_4arch9wavefront6targetE0EEEvS11_: ; @_ZN7rocprim17ROCPRIM_400000_NS6detail17trampoline_kernelINS0_14default_configENS1_21merge_config_selectorINS0_5tupleIJyyEEENS0_10empty_typeEEEZNS1_10merge_implIS3_NS0_12zip_iteratorINS5_IJN6thrust23THRUST_200600_302600_NS6detail15normal_iteratorINSC_10device_ptrIKyEEEESI_EEEEESK_NSA_INS5_IJNSC_16discard_iteratorINSC_11use_defaultEEESN_EEEEEPS7_SQ_SQ_NSC_11hip_rocprim7__merge17predicate_wrapperIyyNSC_4lessIyEEEEEE10hipError_tPvRmT0_T1_T2_T3_T4_T5_mmT6_P12ihipStream_tbEUlT_E_NS1_11comp_targetILNS1_3genE0ELNS1_11target_archE4294967295ELNS1_3gpuE0ELNS1_3repE0EEENS1_30default_config_static_selectorELNS0_4arch9wavefront6targetE0EEEvS11_
; %bb.0:
	s_clause 0x2
	s_load_b32 s4, s[0:1], 0x38
	s_load_b32 s2, s[0:1], 0x4c
	s_load_b128 s[8:11], s[0:1], 0x28
	s_getreg_b32 s7, hwreg(HW_REG_IB_STS2, 6, 4)
	s_wait_kmcnt 0x0
	s_cvt_f32_u32 s3, s4
	s_and_b32 s6, s2, 0xffff
	s_and_b32 s2, ttmp6, 15
	s_delay_alu instid0(SALU_CYCLE_1) | instskip(SKIP_1) | instid1(SALU_CYCLE_1)
	v_rcp_iflag_f32_e32 v1, s3
	s_bfe_u32 s3, ttmp6, 0x4000c
	s_add_co_i32 s3, s3, 1
	s_delay_alu instid0(SALU_CYCLE_1) | instskip(NEXT) | instid1(SALU_CYCLE_1)
	s_mul_i32 s3, ttmp9, s3
	s_add_co_i32 s2, s2, s3
	v_nop
	s_delay_alu instid0(TRANS32_DEP_1)
	v_readfirstlane_b32 s5, v1
	s_cmp_eq_u32 s7, 0
	s_cselect_b32 s7, ttmp9, s2
	s_sub_co_i32 s12, 0, s4
	s_mul_f32 s5, s5, 0x4f7ffffe
	s_add_nc_u64 s[2:3], s[10:11], s[8:9]
	v_mad_u32 v6, s7, s6, v0
	s_add_co_i32 s13, s4, s2
	s_cvt_u32_f32 s5, s5
	s_add_co_i32 s13, s13, -1
	s_delay_alu instid0(SALU_CYCLE_2) | instskip(NEXT) | instid1(SALU_CYCLE_1)
	s_mul_i32 s12, s12, s5
	s_mul_hi_u32 s12, s5, s12
	s_delay_alu instid0(SALU_CYCLE_1) | instskip(NEXT) | instid1(SALU_CYCLE_1)
	s_add_co_i32 s5, s5, s12
	s_mul_hi_u32 s5, s13, s5
	s_delay_alu instid0(SALU_CYCLE_1) | instskip(SKIP_2) | instid1(SALU_CYCLE_1)
	s_mul_i32 s12, s5, s4
	s_add_co_i32 s7, s5, 1
	s_sub_co_i32 s6, s13, s12
	s_sub_co_i32 s12, s6, s4
	s_cmp_ge_u32 s6, s4
	s_cselect_b32 s5, s7, s5
	s_cselect_b32 s6, s12, s6
	s_add_co_i32 s7, s5, 1
	s_cmp_ge_u32 s6, s4
	s_cselect_b32 s5, s7, s5
	s_delay_alu instid0(SALU_CYCLE_1)
	v_cmp_ge_u32_e32 vcc_lo, s5, v6
	s_and_saveexec_b32 s5, vcc_lo
	s_cbranch_execz .LBB515_6
; %bb.1:
	v_mul_lo_u32 v0, v6, s4
	v_mov_b32_e32 v1, 0
	s_load_b128 s[4:7], s[0:1], 0x0
	s_delay_alu instid0(VALU_DEP_1) | instskip(SKIP_1) | instid1(VALU_DEP_1)
	v_min_u64 v[4:5], v[0:1], s[2:3]
	s_mov_b32 s2, exec_lo
	v_max_u64 v[0:1], v[4:5], s[10:11]
	v_min_u64 v[2:3], v[4:5], s[8:9]
	s_delay_alu instid0(VALU_DEP_2) | instskip(NEXT) | instid1(VALU_DEP_1)
	v_sub_nc_u64_e64 v[0:1], v[0:1], s[10:11]
	v_cmpx_lt_u64_e64 v[0:1], v[2:3]
	s_cbranch_execz .LBB515_5
; %bb.2:
	s_wait_xcnt 0x0
	s_load_b64 s[0:1], s[0:1], 0x18
	s_wait_kmcnt 0x0
	v_lshl_add_u64 v[4:5], v[4:5], 3, s[0:1]
	s_mov_b32 s0, 0
.LBB515_3:                              ; =>This Inner Loop Header: Depth=1
	v_add_nc_u64_e32 v[8:9], v[2:3], v[0:1]
	s_delay_alu instid0(VALU_DEP_1) | instskip(NEXT) | instid1(VALU_DEP_1)
	v_lshrrev_b64 v[8:9], 1, v[8:9]
	v_lshlrev_b64_e32 v[10:11], 3, v[8:9]
	s_delay_alu instid0(VALU_DEP_1) | instskip(NEXT) | instid1(VALU_DEP_2)
	v_xor_b32_e32 v13, -1, v11
	v_xor_b32_e32 v12, -8, v10
	v_add_nc_u64_e32 v[10:11], s[6:7], v[10:11]
	s_delay_alu instid0(VALU_DEP_2)
	v_add_nc_u64_e32 v[12:13], v[4:5], v[12:13]
	global_load_b64 v[14:15], v[10:11], off
	global_load_b64 v[16:17], v[12:13], off
	s_wait_xcnt 0x1
	v_add_nc_u64_e32 v[10:11], 1, v[8:9]
	s_wait_loadcnt 0x0
	v_cmp_lt_u64_e32 vcc_lo, v[16:17], v[14:15]
	v_dual_cndmask_b32 v3, v3, v9 :: v_dual_cndmask_b32 v2, v2, v8
	s_delay_alu instid0(VALU_DEP_3) | instskip(NEXT) | instid1(VALU_DEP_1)
	v_dual_cndmask_b32 v1, v11, v1 :: v_dual_cndmask_b32 v0, v10, v0
	v_cmp_ge_u64_e32 vcc_lo, v[0:1], v[2:3]
	s_or_b32 s0, vcc_lo, s0
	s_delay_alu instid0(SALU_CYCLE_1)
	s_and_not1_b32 exec_lo, exec_lo, s0
	s_cbranch_execnz .LBB515_3
; %bb.4:
	s_or_b32 exec_lo, exec_lo, s0
.LBB515_5:
	s_delay_alu instid0(SALU_CYCLE_1)
	s_or_b32 exec_lo, exec_lo, s2
	s_wait_kmcnt 0x0
	global_store_b32 v6, v0, s[4:5] scale_offset
.LBB515_6:
	s_endpgm
	.section	.rodata,"a",@progbits
	.p2align	6, 0x0
	.amdhsa_kernel _ZN7rocprim17ROCPRIM_400000_NS6detail17trampoline_kernelINS0_14default_configENS1_21merge_config_selectorINS0_5tupleIJyyEEENS0_10empty_typeEEEZNS1_10merge_implIS3_NS0_12zip_iteratorINS5_IJN6thrust23THRUST_200600_302600_NS6detail15normal_iteratorINSC_10device_ptrIKyEEEESI_EEEEESK_NSA_INS5_IJNSC_16discard_iteratorINSC_11use_defaultEEESN_EEEEEPS7_SQ_SQ_NSC_11hip_rocprim7__merge17predicate_wrapperIyyNSC_4lessIyEEEEEE10hipError_tPvRmT0_T1_T2_T3_T4_T5_mmT6_P12ihipStream_tbEUlT_E_NS1_11comp_targetILNS1_3genE0ELNS1_11target_archE4294967295ELNS1_3gpuE0ELNS1_3repE0EEENS1_30default_config_static_selectorELNS0_4arch9wavefront6targetE0EEEvS11_
		.amdhsa_group_segment_fixed_size 0
		.amdhsa_private_segment_fixed_size 0
		.amdhsa_kernarg_size 320
		.amdhsa_user_sgpr_count 2
		.amdhsa_user_sgpr_dispatch_ptr 0
		.amdhsa_user_sgpr_queue_ptr 0
		.amdhsa_user_sgpr_kernarg_segment_ptr 1
		.amdhsa_user_sgpr_dispatch_id 0
		.amdhsa_user_sgpr_kernarg_preload_length 0
		.amdhsa_user_sgpr_kernarg_preload_offset 0
		.amdhsa_user_sgpr_private_segment_size 0
		.amdhsa_wavefront_size32 1
		.amdhsa_uses_dynamic_stack 0
		.amdhsa_enable_private_segment 0
		.amdhsa_system_sgpr_workgroup_id_x 1
		.amdhsa_system_sgpr_workgroup_id_y 0
		.amdhsa_system_sgpr_workgroup_id_z 0
		.amdhsa_system_sgpr_workgroup_info 0
		.amdhsa_system_vgpr_workitem_id 0
		.amdhsa_next_free_vgpr 18
		.amdhsa_next_free_sgpr 14
		.amdhsa_named_barrier_count 0
		.amdhsa_reserve_vcc 1
		.amdhsa_float_round_mode_32 0
		.amdhsa_float_round_mode_16_64 0
		.amdhsa_float_denorm_mode_32 3
		.amdhsa_float_denorm_mode_16_64 3
		.amdhsa_fp16_overflow 0
		.amdhsa_memory_ordered 1
		.amdhsa_forward_progress 1
		.amdhsa_inst_pref_size 4
		.amdhsa_round_robin_scheduling 0
		.amdhsa_exception_fp_ieee_invalid_op 0
		.amdhsa_exception_fp_denorm_src 0
		.amdhsa_exception_fp_ieee_div_zero 0
		.amdhsa_exception_fp_ieee_overflow 0
		.amdhsa_exception_fp_ieee_underflow 0
		.amdhsa_exception_fp_ieee_inexact 0
		.amdhsa_exception_int_div_zero 0
	.end_amdhsa_kernel
	.section	.text._ZN7rocprim17ROCPRIM_400000_NS6detail17trampoline_kernelINS0_14default_configENS1_21merge_config_selectorINS0_5tupleIJyyEEENS0_10empty_typeEEEZNS1_10merge_implIS3_NS0_12zip_iteratorINS5_IJN6thrust23THRUST_200600_302600_NS6detail15normal_iteratorINSC_10device_ptrIKyEEEESI_EEEEESK_NSA_INS5_IJNSC_16discard_iteratorINSC_11use_defaultEEESN_EEEEEPS7_SQ_SQ_NSC_11hip_rocprim7__merge17predicate_wrapperIyyNSC_4lessIyEEEEEE10hipError_tPvRmT0_T1_T2_T3_T4_T5_mmT6_P12ihipStream_tbEUlT_E_NS1_11comp_targetILNS1_3genE0ELNS1_11target_archE4294967295ELNS1_3gpuE0ELNS1_3repE0EEENS1_30default_config_static_selectorELNS0_4arch9wavefront6targetE0EEEvS11_,"axG",@progbits,_ZN7rocprim17ROCPRIM_400000_NS6detail17trampoline_kernelINS0_14default_configENS1_21merge_config_selectorINS0_5tupleIJyyEEENS0_10empty_typeEEEZNS1_10merge_implIS3_NS0_12zip_iteratorINS5_IJN6thrust23THRUST_200600_302600_NS6detail15normal_iteratorINSC_10device_ptrIKyEEEESI_EEEEESK_NSA_INS5_IJNSC_16discard_iteratorINSC_11use_defaultEEESN_EEEEEPS7_SQ_SQ_NSC_11hip_rocprim7__merge17predicate_wrapperIyyNSC_4lessIyEEEEEE10hipError_tPvRmT0_T1_T2_T3_T4_T5_mmT6_P12ihipStream_tbEUlT_E_NS1_11comp_targetILNS1_3genE0ELNS1_11target_archE4294967295ELNS1_3gpuE0ELNS1_3repE0EEENS1_30default_config_static_selectorELNS0_4arch9wavefront6targetE0EEEvS11_,comdat
.Lfunc_end515:
	.size	_ZN7rocprim17ROCPRIM_400000_NS6detail17trampoline_kernelINS0_14default_configENS1_21merge_config_selectorINS0_5tupleIJyyEEENS0_10empty_typeEEEZNS1_10merge_implIS3_NS0_12zip_iteratorINS5_IJN6thrust23THRUST_200600_302600_NS6detail15normal_iteratorINSC_10device_ptrIKyEEEESI_EEEEESK_NSA_INS5_IJNSC_16discard_iteratorINSC_11use_defaultEEESN_EEEEEPS7_SQ_SQ_NSC_11hip_rocprim7__merge17predicate_wrapperIyyNSC_4lessIyEEEEEE10hipError_tPvRmT0_T1_T2_T3_T4_T5_mmT6_P12ihipStream_tbEUlT_E_NS1_11comp_targetILNS1_3genE0ELNS1_11target_archE4294967295ELNS1_3gpuE0ELNS1_3repE0EEENS1_30default_config_static_selectorELNS0_4arch9wavefront6targetE0EEEvS11_, .Lfunc_end515-_ZN7rocprim17ROCPRIM_400000_NS6detail17trampoline_kernelINS0_14default_configENS1_21merge_config_selectorINS0_5tupleIJyyEEENS0_10empty_typeEEEZNS1_10merge_implIS3_NS0_12zip_iteratorINS5_IJN6thrust23THRUST_200600_302600_NS6detail15normal_iteratorINSC_10device_ptrIKyEEEESI_EEEEESK_NSA_INS5_IJNSC_16discard_iteratorINSC_11use_defaultEEESN_EEEEEPS7_SQ_SQ_NSC_11hip_rocprim7__merge17predicate_wrapperIyyNSC_4lessIyEEEEEE10hipError_tPvRmT0_T1_T2_T3_T4_T5_mmT6_P12ihipStream_tbEUlT_E_NS1_11comp_targetILNS1_3genE0ELNS1_11target_archE4294967295ELNS1_3gpuE0ELNS1_3repE0EEENS1_30default_config_static_selectorELNS0_4arch9wavefront6targetE0EEEvS11_
                                        ; -- End function
	.set _ZN7rocprim17ROCPRIM_400000_NS6detail17trampoline_kernelINS0_14default_configENS1_21merge_config_selectorINS0_5tupleIJyyEEENS0_10empty_typeEEEZNS1_10merge_implIS3_NS0_12zip_iteratorINS5_IJN6thrust23THRUST_200600_302600_NS6detail15normal_iteratorINSC_10device_ptrIKyEEEESI_EEEEESK_NSA_INS5_IJNSC_16discard_iteratorINSC_11use_defaultEEESN_EEEEEPS7_SQ_SQ_NSC_11hip_rocprim7__merge17predicate_wrapperIyyNSC_4lessIyEEEEEE10hipError_tPvRmT0_T1_T2_T3_T4_T5_mmT6_P12ihipStream_tbEUlT_E_NS1_11comp_targetILNS1_3genE0ELNS1_11target_archE4294967295ELNS1_3gpuE0ELNS1_3repE0EEENS1_30default_config_static_selectorELNS0_4arch9wavefront6targetE0EEEvS11_.num_vgpr, 18
	.set _ZN7rocprim17ROCPRIM_400000_NS6detail17trampoline_kernelINS0_14default_configENS1_21merge_config_selectorINS0_5tupleIJyyEEENS0_10empty_typeEEEZNS1_10merge_implIS3_NS0_12zip_iteratorINS5_IJN6thrust23THRUST_200600_302600_NS6detail15normal_iteratorINSC_10device_ptrIKyEEEESI_EEEEESK_NSA_INS5_IJNSC_16discard_iteratorINSC_11use_defaultEEESN_EEEEEPS7_SQ_SQ_NSC_11hip_rocprim7__merge17predicate_wrapperIyyNSC_4lessIyEEEEEE10hipError_tPvRmT0_T1_T2_T3_T4_T5_mmT6_P12ihipStream_tbEUlT_E_NS1_11comp_targetILNS1_3genE0ELNS1_11target_archE4294967295ELNS1_3gpuE0ELNS1_3repE0EEENS1_30default_config_static_selectorELNS0_4arch9wavefront6targetE0EEEvS11_.num_agpr, 0
	.set _ZN7rocprim17ROCPRIM_400000_NS6detail17trampoline_kernelINS0_14default_configENS1_21merge_config_selectorINS0_5tupleIJyyEEENS0_10empty_typeEEEZNS1_10merge_implIS3_NS0_12zip_iteratorINS5_IJN6thrust23THRUST_200600_302600_NS6detail15normal_iteratorINSC_10device_ptrIKyEEEESI_EEEEESK_NSA_INS5_IJNSC_16discard_iteratorINSC_11use_defaultEEESN_EEEEEPS7_SQ_SQ_NSC_11hip_rocprim7__merge17predicate_wrapperIyyNSC_4lessIyEEEEEE10hipError_tPvRmT0_T1_T2_T3_T4_T5_mmT6_P12ihipStream_tbEUlT_E_NS1_11comp_targetILNS1_3genE0ELNS1_11target_archE4294967295ELNS1_3gpuE0ELNS1_3repE0EEENS1_30default_config_static_selectorELNS0_4arch9wavefront6targetE0EEEvS11_.numbered_sgpr, 14
	.set _ZN7rocprim17ROCPRIM_400000_NS6detail17trampoline_kernelINS0_14default_configENS1_21merge_config_selectorINS0_5tupleIJyyEEENS0_10empty_typeEEEZNS1_10merge_implIS3_NS0_12zip_iteratorINS5_IJN6thrust23THRUST_200600_302600_NS6detail15normal_iteratorINSC_10device_ptrIKyEEEESI_EEEEESK_NSA_INS5_IJNSC_16discard_iteratorINSC_11use_defaultEEESN_EEEEEPS7_SQ_SQ_NSC_11hip_rocprim7__merge17predicate_wrapperIyyNSC_4lessIyEEEEEE10hipError_tPvRmT0_T1_T2_T3_T4_T5_mmT6_P12ihipStream_tbEUlT_E_NS1_11comp_targetILNS1_3genE0ELNS1_11target_archE4294967295ELNS1_3gpuE0ELNS1_3repE0EEENS1_30default_config_static_selectorELNS0_4arch9wavefront6targetE0EEEvS11_.num_named_barrier, 0
	.set _ZN7rocprim17ROCPRIM_400000_NS6detail17trampoline_kernelINS0_14default_configENS1_21merge_config_selectorINS0_5tupleIJyyEEENS0_10empty_typeEEEZNS1_10merge_implIS3_NS0_12zip_iteratorINS5_IJN6thrust23THRUST_200600_302600_NS6detail15normal_iteratorINSC_10device_ptrIKyEEEESI_EEEEESK_NSA_INS5_IJNSC_16discard_iteratorINSC_11use_defaultEEESN_EEEEEPS7_SQ_SQ_NSC_11hip_rocprim7__merge17predicate_wrapperIyyNSC_4lessIyEEEEEE10hipError_tPvRmT0_T1_T2_T3_T4_T5_mmT6_P12ihipStream_tbEUlT_E_NS1_11comp_targetILNS1_3genE0ELNS1_11target_archE4294967295ELNS1_3gpuE0ELNS1_3repE0EEENS1_30default_config_static_selectorELNS0_4arch9wavefront6targetE0EEEvS11_.private_seg_size, 0
	.set _ZN7rocprim17ROCPRIM_400000_NS6detail17trampoline_kernelINS0_14default_configENS1_21merge_config_selectorINS0_5tupleIJyyEEENS0_10empty_typeEEEZNS1_10merge_implIS3_NS0_12zip_iteratorINS5_IJN6thrust23THRUST_200600_302600_NS6detail15normal_iteratorINSC_10device_ptrIKyEEEESI_EEEEESK_NSA_INS5_IJNSC_16discard_iteratorINSC_11use_defaultEEESN_EEEEEPS7_SQ_SQ_NSC_11hip_rocprim7__merge17predicate_wrapperIyyNSC_4lessIyEEEEEE10hipError_tPvRmT0_T1_T2_T3_T4_T5_mmT6_P12ihipStream_tbEUlT_E_NS1_11comp_targetILNS1_3genE0ELNS1_11target_archE4294967295ELNS1_3gpuE0ELNS1_3repE0EEENS1_30default_config_static_selectorELNS0_4arch9wavefront6targetE0EEEvS11_.uses_vcc, 1
	.set _ZN7rocprim17ROCPRIM_400000_NS6detail17trampoline_kernelINS0_14default_configENS1_21merge_config_selectorINS0_5tupleIJyyEEENS0_10empty_typeEEEZNS1_10merge_implIS3_NS0_12zip_iteratorINS5_IJN6thrust23THRUST_200600_302600_NS6detail15normal_iteratorINSC_10device_ptrIKyEEEESI_EEEEESK_NSA_INS5_IJNSC_16discard_iteratorINSC_11use_defaultEEESN_EEEEEPS7_SQ_SQ_NSC_11hip_rocprim7__merge17predicate_wrapperIyyNSC_4lessIyEEEEEE10hipError_tPvRmT0_T1_T2_T3_T4_T5_mmT6_P12ihipStream_tbEUlT_E_NS1_11comp_targetILNS1_3genE0ELNS1_11target_archE4294967295ELNS1_3gpuE0ELNS1_3repE0EEENS1_30default_config_static_selectorELNS0_4arch9wavefront6targetE0EEEvS11_.uses_flat_scratch, 0
	.set _ZN7rocprim17ROCPRIM_400000_NS6detail17trampoline_kernelINS0_14default_configENS1_21merge_config_selectorINS0_5tupleIJyyEEENS0_10empty_typeEEEZNS1_10merge_implIS3_NS0_12zip_iteratorINS5_IJN6thrust23THRUST_200600_302600_NS6detail15normal_iteratorINSC_10device_ptrIKyEEEESI_EEEEESK_NSA_INS5_IJNSC_16discard_iteratorINSC_11use_defaultEEESN_EEEEEPS7_SQ_SQ_NSC_11hip_rocprim7__merge17predicate_wrapperIyyNSC_4lessIyEEEEEE10hipError_tPvRmT0_T1_T2_T3_T4_T5_mmT6_P12ihipStream_tbEUlT_E_NS1_11comp_targetILNS1_3genE0ELNS1_11target_archE4294967295ELNS1_3gpuE0ELNS1_3repE0EEENS1_30default_config_static_selectorELNS0_4arch9wavefront6targetE0EEEvS11_.has_dyn_sized_stack, 0
	.set _ZN7rocprim17ROCPRIM_400000_NS6detail17trampoline_kernelINS0_14default_configENS1_21merge_config_selectorINS0_5tupleIJyyEEENS0_10empty_typeEEEZNS1_10merge_implIS3_NS0_12zip_iteratorINS5_IJN6thrust23THRUST_200600_302600_NS6detail15normal_iteratorINSC_10device_ptrIKyEEEESI_EEEEESK_NSA_INS5_IJNSC_16discard_iteratorINSC_11use_defaultEEESN_EEEEEPS7_SQ_SQ_NSC_11hip_rocprim7__merge17predicate_wrapperIyyNSC_4lessIyEEEEEE10hipError_tPvRmT0_T1_T2_T3_T4_T5_mmT6_P12ihipStream_tbEUlT_E_NS1_11comp_targetILNS1_3genE0ELNS1_11target_archE4294967295ELNS1_3gpuE0ELNS1_3repE0EEENS1_30default_config_static_selectorELNS0_4arch9wavefront6targetE0EEEvS11_.has_recursion, 0
	.set _ZN7rocprim17ROCPRIM_400000_NS6detail17trampoline_kernelINS0_14default_configENS1_21merge_config_selectorINS0_5tupleIJyyEEENS0_10empty_typeEEEZNS1_10merge_implIS3_NS0_12zip_iteratorINS5_IJN6thrust23THRUST_200600_302600_NS6detail15normal_iteratorINSC_10device_ptrIKyEEEESI_EEEEESK_NSA_INS5_IJNSC_16discard_iteratorINSC_11use_defaultEEESN_EEEEEPS7_SQ_SQ_NSC_11hip_rocprim7__merge17predicate_wrapperIyyNSC_4lessIyEEEEEE10hipError_tPvRmT0_T1_T2_T3_T4_T5_mmT6_P12ihipStream_tbEUlT_E_NS1_11comp_targetILNS1_3genE0ELNS1_11target_archE4294967295ELNS1_3gpuE0ELNS1_3repE0EEENS1_30default_config_static_selectorELNS0_4arch9wavefront6targetE0EEEvS11_.has_indirect_call, 0
	.section	.AMDGPU.csdata,"",@progbits
; Kernel info:
; codeLenInByte = 484
; TotalNumSgprs: 16
; NumVgprs: 18
; ScratchSize: 0
; MemoryBound: 0
; FloatMode: 240
; IeeeMode: 1
; LDSByteSize: 0 bytes/workgroup (compile time only)
; SGPRBlocks: 0
; VGPRBlocks: 1
; NumSGPRsForWavesPerEU: 16
; NumVGPRsForWavesPerEU: 18
; NamedBarCnt: 0
; Occupancy: 16
; WaveLimiterHint : 0
; COMPUTE_PGM_RSRC2:SCRATCH_EN: 0
; COMPUTE_PGM_RSRC2:USER_SGPR: 2
; COMPUTE_PGM_RSRC2:TRAP_HANDLER: 0
; COMPUTE_PGM_RSRC2:TGID_X_EN: 1
; COMPUTE_PGM_RSRC2:TGID_Y_EN: 0
; COMPUTE_PGM_RSRC2:TGID_Z_EN: 0
; COMPUTE_PGM_RSRC2:TIDIG_COMP_CNT: 0
	.section	.text._ZN7rocprim17ROCPRIM_400000_NS6detail17trampoline_kernelINS0_14default_configENS1_21merge_config_selectorINS0_5tupleIJyyEEENS0_10empty_typeEEEZNS1_10merge_implIS3_NS0_12zip_iteratorINS5_IJN6thrust23THRUST_200600_302600_NS6detail15normal_iteratorINSC_10device_ptrIKyEEEESI_EEEEESK_NSA_INS5_IJNSC_16discard_iteratorINSC_11use_defaultEEESN_EEEEEPS7_SQ_SQ_NSC_11hip_rocprim7__merge17predicate_wrapperIyyNSC_4lessIyEEEEEE10hipError_tPvRmT0_T1_T2_T3_T4_T5_mmT6_P12ihipStream_tbEUlT_E_NS1_11comp_targetILNS1_3genE5ELNS1_11target_archE942ELNS1_3gpuE9ELNS1_3repE0EEENS1_30default_config_static_selectorELNS0_4arch9wavefront6targetE0EEEvS11_,"axG",@progbits,_ZN7rocprim17ROCPRIM_400000_NS6detail17trampoline_kernelINS0_14default_configENS1_21merge_config_selectorINS0_5tupleIJyyEEENS0_10empty_typeEEEZNS1_10merge_implIS3_NS0_12zip_iteratorINS5_IJN6thrust23THRUST_200600_302600_NS6detail15normal_iteratorINSC_10device_ptrIKyEEEESI_EEEEESK_NSA_INS5_IJNSC_16discard_iteratorINSC_11use_defaultEEESN_EEEEEPS7_SQ_SQ_NSC_11hip_rocprim7__merge17predicate_wrapperIyyNSC_4lessIyEEEEEE10hipError_tPvRmT0_T1_T2_T3_T4_T5_mmT6_P12ihipStream_tbEUlT_E_NS1_11comp_targetILNS1_3genE5ELNS1_11target_archE942ELNS1_3gpuE9ELNS1_3repE0EEENS1_30default_config_static_selectorELNS0_4arch9wavefront6targetE0EEEvS11_,comdat
	.protected	_ZN7rocprim17ROCPRIM_400000_NS6detail17trampoline_kernelINS0_14default_configENS1_21merge_config_selectorINS0_5tupleIJyyEEENS0_10empty_typeEEEZNS1_10merge_implIS3_NS0_12zip_iteratorINS5_IJN6thrust23THRUST_200600_302600_NS6detail15normal_iteratorINSC_10device_ptrIKyEEEESI_EEEEESK_NSA_INS5_IJNSC_16discard_iteratorINSC_11use_defaultEEESN_EEEEEPS7_SQ_SQ_NSC_11hip_rocprim7__merge17predicate_wrapperIyyNSC_4lessIyEEEEEE10hipError_tPvRmT0_T1_T2_T3_T4_T5_mmT6_P12ihipStream_tbEUlT_E_NS1_11comp_targetILNS1_3genE5ELNS1_11target_archE942ELNS1_3gpuE9ELNS1_3repE0EEENS1_30default_config_static_selectorELNS0_4arch9wavefront6targetE0EEEvS11_ ; -- Begin function _ZN7rocprim17ROCPRIM_400000_NS6detail17trampoline_kernelINS0_14default_configENS1_21merge_config_selectorINS0_5tupleIJyyEEENS0_10empty_typeEEEZNS1_10merge_implIS3_NS0_12zip_iteratorINS5_IJN6thrust23THRUST_200600_302600_NS6detail15normal_iteratorINSC_10device_ptrIKyEEEESI_EEEEESK_NSA_INS5_IJNSC_16discard_iteratorINSC_11use_defaultEEESN_EEEEEPS7_SQ_SQ_NSC_11hip_rocprim7__merge17predicate_wrapperIyyNSC_4lessIyEEEEEE10hipError_tPvRmT0_T1_T2_T3_T4_T5_mmT6_P12ihipStream_tbEUlT_E_NS1_11comp_targetILNS1_3genE5ELNS1_11target_archE942ELNS1_3gpuE9ELNS1_3repE0EEENS1_30default_config_static_selectorELNS0_4arch9wavefront6targetE0EEEvS11_
	.globl	_ZN7rocprim17ROCPRIM_400000_NS6detail17trampoline_kernelINS0_14default_configENS1_21merge_config_selectorINS0_5tupleIJyyEEENS0_10empty_typeEEEZNS1_10merge_implIS3_NS0_12zip_iteratorINS5_IJN6thrust23THRUST_200600_302600_NS6detail15normal_iteratorINSC_10device_ptrIKyEEEESI_EEEEESK_NSA_INS5_IJNSC_16discard_iteratorINSC_11use_defaultEEESN_EEEEEPS7_SQ_SQ_NSC_11hip_rocprim7__merge17predicate_wrapperIyyNSC_4lessIyEEEEEE10hipError_tPvRmT0_T1_T2_T3_T4_T5_mmT6_P12ihipStream_tbEUlT_E_NS1_11comp_targetILNS1_3genE5ELNS1_11target_archE942ELNS1_3gpuE9ELNS1_3repE0EEENS1_30default_config_static_selectorELNS0_4arch9wavefront6targetE0EEEvS11_
	.p2align	8
	.type	_ZN7rocprim17ROCPRIM_400000_NS6detail17trampoline_kernelINS0_14default_configENS1_21merge_config_selectorINS0_5tupleIJyyEEENS0_10empty_typeEEEZNS1_10merge_implIS3_NS0_12zip_iteratorINS5_IJN6thrust23THRUST_200600_302600_NS6detail15normal_iteratorINSC_10device_ptrIKyEEEESI_EEEEESK_NSA_INS5_IJNSC_16discard_iteratorINSC_11use_defaultEEESN_EEEEEPS7_SQ_SQ_NSC_11hip_rocprim7__merge17predicate_wrapperIyyNSC_4lessIyEEEEEE10hipError_tPvRmT0_T1_T2_T3_T4_T5_mmT6_P12ihipStream_tbEUlT_E_NS1_11comp_targetILNS1_3genE5ELNS1_11target_archE942ELNS1_3gpuE9ELNS1_3repE0EEENS1_30default_config_static_selectorELNS0_4arch9wavefront6targetE0EEEvS11_,@function
_ZN7rocprim17ROCPRIM_400000_NS6detail17trampoline_kernelINS0_14default_configENS1_21merge_config_selectorINS0_5tupleIJyyEEENS0_10empty_typeEEEZNS1_10merge_implIS3_NS0_12zip_iteratorINS5_IJN6thrust23THRUST_200600_302600_NS6detail15normal_iteratorINSC_10device_ptrIKyEEEESI_EEEEESK_NSA_INS5_IJNSC_16discard_iteratorINSC_11use_defaultEEESN_EEEEEPS7_SQ_SQ_NSC_11hip_rocprim7__merge17predicate_wrapperIyyNSC_4lessIyEEEEEE10hipError_tPvRmT0_T1_T2_T3_T4_T5_mmT6_P12ihipStream_tbEUlT_E_NS1_11comp_targetILNS1_3genE5ELNS1_11target_archE942ELNS1_3gpuE9ELNS1_3repE0EEENS1_30default_config_static_selectorELNS0_4arch9wavefront6targetE0EEEvS11_: ; @_ZN7rocprim17ROCPRIM_400000_NS6detail17trampoline_kernelINS0_14default_configENS1_21merge_config_selectorINS0_5tupleIJyyEEENS0_10empty_typeEEEZNS1_10merge_implIS3_NS0_12zip_iteratorINS5_IJN6thrust23THRUST_200600_302600_NS6detail15normal_iteratorINSC_10device_ptrIKyEEEESI_EEEEESK_NSA_INS5_IJNSC_16discard_iteratorINSC_11use_defaultEEESN_EEEEEPS7_SQ_SQ_NSC_11hip_rocprim7__merge17predicate_wrapperIyyNSC_4lessIyEEEEEE10hipError_tPvRmT0_T1_T2_T3_T4_T5_mmT6_P12ihipStream_tbEUlT_E_NS1_11comp_targetILNS1_3genE5ELNS1_11target_archE942ELNS1_3gpuE9ELNS1_3repE0EEENS1_30default_config_static_selectorELNS0_4arch9wavefront6targetE0EEEvS11_
; %bb.0:
	.section	.rodata,"a",@progbits
	.p2align	6, 0x0
	.amdhsa_kernel _ZN7rocprim17ROCPRIM_400000_NS6detail17trampoline_kernelINS0_14default_configENS1_21merge_config_selectorINS0_5tupleIJyyEEENS0_10empty_typeEEEZNS1_10merge_implIS3_NS0_12zip_iteratorINS5_IJN6thrust23THRUST_200600_302600_NS6detail15normal_iteratorINSC_10device_ptrIKyEEEESI_EEEEESK_NSA_INS5_IJNSC_16discard_iteratorINSC_11use_defaultEEESN_EEEEEPS7_SQ_SQ_NSC_11hip_rocprim7__merge17predicate_wrapperIyyNSC_4lessIyEEEEEE10hipError_tPvRmT0_T1_T2_T3_T4_T5_mmT6_P12ihipStream_tbEUlT_E_NS1_11comp_targetILNS1_3genE5ELNS1_11target_archE942ELNS1_3gpuE9ELNS1_3repE0EEENS1_30default_config_static_selectorELNS0_4arch9wavefront6targetE0EEEvS11_
		.amdhsa_group_segment_fixed_size 0
		.amdhsa_private_segment_fixed_size 0
		.amdhsa_kernarg_size 64
		.amdhsa_user_sgpr_count 2
		.amdhsa_user_sgpr_dispatch_ptr 0
		.amdhsa_user_sgpr_queue_ptr 0
		.amdhsa_user_sgpr_kernarg_segment_ptr 1
		.amdhsa_user_sgpr_dispatch_id 0
		.amdhsa_user_sgpr_kernarg_preload_length 0
		.amdhsa_user_sgpr_kernarg_preload_offset 0
		.amdhsa_user_sgpr_private_segment_size 0
		.amdhsa_wavefront_size32 1
		.amdhsa_uses_dynamic_stack 0
		.amdhsa_enable_private_segment 0
		.amdhsa_system_sgpr_workgroup_id_x 1
		.amdhsa_system_sgpr_workgroup_id_y 0
		.amdhsa_system_sgpr_workgroup_id_z 0
		.amdhsa_system_sgpr_workgroup_info 0
		.amdhsa_system_vgpr_workitem_id 0
		.amdhsa_next_free_vgpr 1
		.amdhsa_next_free_sgpr 1
		.amdhsa_named_barrier_count 0
		.amdhsa_reserve_vcc 0
		.amdhsa_float_round_mode_32 0
		.amdhsa_float_round_mode_16_64 0
		.amdhsa_float_denorm_mode_32 3
		.amdhsa_float_denorm_mode_16_64 3
		.amdhsa_fp16_overflow 0
		.amdhsa_memory_ordered 1
		.amdhsa_forward_progress 1
		.amdhsa_inst_pref_size 0
		.amdhsa_round_robin_scheduling 0
		.amdhsa_exception_fp_ieee_invalid_op 0
		.amdhsa_exception_fp_denorm_src 0
		.amdhsa_exception_fp_ieee_div_zero 0
		.amdhsa_exception_fp_ieee_overflow 0
		.amdhsa_exception_fp_ieee_underflow 0
		.amdhsa_exception_fp_ieee_inexact 0
		.amdhsa_exception_int_div_zero 0
	.end_amdhsa_kernel
	.section	.text._ZN7rocprim17ROCPRIM_400000_NS6detail17trampoline_kernelINS0_14default_configENS1_21merge_config_selectorINS0_5tupleIJyyEEENS0_10empty_typeEEEZNS1_10merge_implIS3_NS0_12zip_iteratorINS5_IJN6thrust23THRUST_200600_302600_NS6detail15normal_iteratorINSC_10device_ptrIKyEEEESI_EEEEESK_NSA_INS5_IJNSC_16discard_iteratorINSC_11use_defaultEEESN_EEEEEPS7_SQ_SQ_NSC_11hip_rocprim7__merge17predicate_wrapperIyyNSC_4lessIyEEEEEE10hipError_tPvRmT0_T1_T2_T3_T4_T5_mmT6_P12ihipStream_tbEUlT_E_NS1_11comp_targetILNS1_3genE5ELNS1_11target_archE942ELNS1_3gpuE9ELNS1_3repE0EEENS1_30default_config_static_selectorELNS0_4arch9wavefront6targetE0EEEvS11_,"axG",@progbits,_ZN7rocprim17ROCPRIM_400000_NS6detail17trampoline_kernelINS0_14default_configENS1_21merge_config_selectorINS0_5tupleIJyyEEENS0_10empty_typeEEEZNS1_10merge_implIS3_NS0_12zip_iteratorINS5_IJN6thrust23THRUST_200600_302600_NS6detail15normal_iteratorINSC_10device_ptrIKyEEEESI_EEEEESK_NSA_INS5_IJNSC_16discard_iteratorINSC_11use_defaultEEESN_EEEEEPS7_SQ_SQ_NSC_11hip_rocprim7__merge17predicate_wrapperIyyNSC_4lessIyEEEEEE10hipError_tPvRmT0_T1_T2_T3_T4_T5_mmT6_P12ihipStream_tbEUlT_E_NS1_11comp_targetILNS1_3genE5ELNS1_11target_archE942ELNS1_3gpuE9ELNS1_3repE0EEENS1_30default_config_static_selectorELNS0_4arch9wavefront6targetE0EEEvS11_,comdat
.Lfunc_end516:
	.size	_ZN7rocprim17ROCPRIM_400000_NS6detail17trampoline_kernelINS0_14default_configENS1_21merge_config_selectorINS0_5tupleIJyyEEENS0_10empty_typeEEEZNS1_10merge_implIS3_NS0_12zip_iteratorINS5_IJN6thrust23THRUST_200600_302600_NS6detail15normal_iteratorINSC_10device_ptrIKyEEEESI_EEEEESK_NSA_INS5_IJNSC_16discard_iteratorINSC_11use_defaultEEESN_EEEEEPS7_SQ_SQ_NSC_11hip_rocprim7__merge17predicate_wrapperIyyNSC_4lessIyEEEEEE10hipError_tPvRmT0_T1_T2_T3_T4_T5_mmT6_P12ihipStream_tbEUlT_E_NS1_11comp_targetILNS1_3genE5ELNS1_11target_archE942ELNS1_3gpuE9ELNS1_3repE0EEENS1_30default_config_static_selectorELNS0_4arch9wavefront6targetE0EEEvS11_, .Lfunc_end516-_ZN7rocprim17ROCPRIM_400000_NS6detail17trampoline_kernelINS0_14default_configENS1_21merge_config_selectorINS0_5tupleIJyyEEENS0_10empty_typeEEEZNS1_10merge_implIS3_NS0_12zip_iteratorINS5_IJN6thrust23THRUST_200600_302600_NS6detail15normal_iteratorINSC_10device_ptrIKyEEEESI_EEEEESK_NSA_INS5_IJNSC_16discard_iteratorINSC_11use_defaultEEESN_EEEEEPS7_SQ_SQ_NSC_11hip_rocprim7__merge17predicate_wrapperIyyNSC_4lessIyEEEEEE10hipError_tPvRmT0_T1_T2_T3_T4_T5_mmT6_P12ihipStream_tbEUlT_E_NS1_11comp_targetILNS1_3genE5ELNS1_11target_archE942ELNS1_3gpuE9ELNS1_3repE0EEENS1_30default_config_static_selectorELNS0_4arch9wavefront6targetE0EEEvS11_
                                        ; -- End function
	.set _ZN7rocprim17ROCPRIM_400000_NS6detail17trampoline_kernelINS0_14default_configENS1_21merge_config_selectorINS0_5tupleIJyyEEENS0_10empty_typeEEEZNS1_10merge_implIS3_NS0_12zip_iteratorINS5_IJN6thrust23THRUST_200600_302600_NS6detail15normal_iteratorINSC_10device_ptrIKyEEEESI_EEEEESK_NSA_INS5_IJNSC_16discard_iteratorINSC_11use_defaultEEESN_EEEEEPS7_SQ_SQ_NSC_11hip_rocprim7__merge17predicate_wrapperIyyNSC_4lessIyEEEEEE10hipError_tPvRmT0_T1_T2_T3_T4_T5_mmT6_P12ihipStream_tbEUlT_E_NS1_11comp_targetILNS1_3genE5ELNS1_11target_archE942ELNS1_3gpuE9ELNS1_3repE0EEENS1_30default_config_static_selectorELNS0_4arch9wavefront6targetE0EEEvS11_.num_vgpr, 0
	.set _ZN7rocprim17ROCPRIM_400000_NS6detail17trampoline_kernelINS0_14default_configENS1_21merge_config_selectorINS0_5tupleIJyyEEENS0_10empty_typeEEEZNS1_10merge_implIS3_NS0_12zip_iteratorINS5_IJN6thrust23THRUST_200600_302600_NS6detail15normal_iteratorINSC_10device_ptrIKyEEEESI_EEEEESK_NSA_INS5_IJNSC_16discard_iteratorINSC_11use_defaultEEESN_EEEEEPS7_SQ_SQ_NSC_11hip_rocprim7__merge17predicate_wrapperIyyNSC_4lessIyEEEEEE10hipError_tPvRmT0_T1_T2_T3_T4_T5_mmT6_P12ihipStream_tbEUlT_E_NS1_11comp_targetILNS1_3genE5ELNS1_11target_archE942ELNS1_3gpuE9ELNS1_3repE0EEENS1_30default_config_static_selectorELNS0_4arch9wavefront6targetE0EEEvS11_.num_agpr, 0
	.set _ZN7rocprim17ROCPRIM_400000_NS6detail17trampoline_kernelINS0_14default_configENS1_21merge_config_selectorINS0_5tupleIJyyEEENS0_10empty_typeEEEZNS1_10merge_implIS3_NS0_12zip_iteratorINS5_IJN6thrust23THRUST_200600_302600_NS6detail15normal_iteratorINSC_10device_ptrIKyEEEESI_EEEEESK_NSA_INS5_IJNSC_16discard_iteratorINSC_11use_defaultEEESN_EEEEEPS7_SQ_SQ_NSC_11hip_rocprim7__merge17predicate_wrapperIyyNSC_4lessIyEEEEEE10hipError_tPvRmT0_T1_T2_T3_T4_T5_mmT6_P12ihipStream_tbEUlT_E_NS1_11comp_targetILNS1_3genE5ELNS1_11target_archE942ELNS1_3gpuE9ELNS1_3repE0EEENS1_30default_config_static_selectorELNS0_4arch9wavefront6targetE0EEEvS11_.numbered_sgpr, 0
	.set _ZN7rocprim17ROCPRIM_400000_NS6detail17trampoline_kernelINS0_14default_configENS1_21merge_config_selectorINS0_5tupleIJyyEEENS0_10empty_typeEEEZNS1_10merge_implIS3_NS0_12zip_iteratorINS5_IJN6thrust23THRUST_200600_302600_NS6detail15normal_iteratorINSC_10device_ptrIKyEEEESI_EEEEESK_NSA_INS5_IJNSC_16discard_iteratorINSC_11use_defaultEEESN_EEEEEPS7_SQ_SQ_NSC_11hip_rocprim7__merge17predicate_wrapperIyyNSC_4lessIyEEEEEE10hipError_tPvRmT0_T1_T2_T3_T4_T5_mmT6_P12ihipStream_tbEUlT_E_NS1_11comp_targetILNS1_3genE5ELNS1_11target_archE942ELNS1_3gpuE9ELNS1_3repE0EEENS1_30default_config_static_selectorELNS0_4arch9wavefront6targetE0EEEvS11_.num_named_barrier, 0
	.set _ZN7rocprim17ROCPRIM_400000_NS6detail17trampoline_kernelINS0_14default_configENS1_21merge_config_selectorINS0_5tupleIJyyEEENS0_10empty_typeEEEZNS1_10merge_implIS3_NS0_12zip_iteratorINS5_IJN6thrust23THRUST_200600_302600_NS6detail15normal_iteratorINSC_10device_ptrIKyEEEESI_EEEEESK_NSA_INS5_IJNSC_16discard_iteratorINSC_11use_defaultEEESN_EEEEEPS7_SQ_SQ_NSC_11hip_rocprim7__merge17predicate_wrapperIyyNSC_4lessIyEEEEEE10hipError_tPvRmT0_T1_T2_T3_T4_T5_mmT6_P12ihipStream_tbEUlT_E_NS1_11comp_targetILNS1_3genE5ELNS1_11target_archE942ELNS1_3gpuE9ELNS1_3repE0EEENS1_30default_config_static_selectorELNS0_4arch9wavefront6targetE0EEEvS11_.private_seg_size, 0
	.set _ZN7rocprim17ROCPRIM_400000_NS6detail17trampoline_kernelINS0_14default_configENS1_21merge_config_selectorINS0_5tupleIJyyEEENS0_10empty_typeEEEZNS1_10merge_implIS3_NS0_12zip_iteratorINS5_IJN6thrust23THRUST_200600_302600_NS6detail15normal_iteratorINSC_10device_ptrIKyEEEESI_EEEEESK_NSA_INS5_IJNSC_16discard_iteratorINSC_11use_defaultEEESN_EEEEEPS7_SQ_SQ_NSC_11hip_rocprim7__merge17predicate_wrapperIyyNSC_4lessIyEEEEEE10hipError_tPvRmT0_T1_T2_T3_T4_T5_mmT6_P12ihipStream_tbEUlT_E_NS1_11comp_targetILNS1_3genE5ELNS1_11target_archE942ELNS1_3gpuE9ELNS1_3repE0EEENS1_30default_config_static_selectorELNS0_4arch9wavefront6targetE0EEEvS11_.uses_vcc, 0
	.set _ZN7rocprim17ROCPRIM_400000_NS6detail17trampoline_kernelINS0_14default_configENS1_21merge_config_selectorINS0_5tupleIJyyEEENS0_10empty_typeEEEZNS1_10merge_implIS3_NS0_12zip_iteratorINS5_IJN6thrust23THRUST_200600_302600_NS6detail15normal_iteratorINSC_10device_ptrIKyEEEESI_EEEEESK_NSA_INS5_IJNSC_16discard_iteratorINSC_11use_defaultEEESN_EEEEEPS7_SQ_SQ_NSC_11hip_rocprim7__merge17predicate_wrapperIyyNSC_4lessIyEEEEEE10hipError_tPvRmT0_T1_T2_T3_T4_T5_mmT6_P12ihipStream_tbEUlT_E_NS1_11comp_targetILNS1_3genE5ELNS1_11target_archE942ELNS1_3gpuE9ELNS1_3repE0EEENS1_30default_config_static_selectorELNS0_4arch9wavefront6targetE0EEEvS11_.uses_flat_scratch, 0
	.set _ZN7rocprim17ROCPRIM_400000_NS6detail17trampoline_kernelINS0_14default_configENS1_21merge_config_selectorINS0_5tupleIJyyEEENS0_10empty_typeEEEZNS1_10merge_implIS3_NS0_12zip_iteratorINS5_IJN6thrust23THRUST_200600_302600_NS6detail15normal_iteratorINSC_10device_ptrIKyEEEESI_EEEEESK_NSA_INS5_IJNSC_16discard_iteratorINSC_11use_defaultEEESN_EEEEEPS7_SQ_SQ_NSC_11hip_rocprim7__merge17predicate_wrapperIyyNSC_4lessIyEEEEEE10hipError_tPvRmT0_T1_T2_T3_T4_T5_mmT6_P12ihipStream_tbEUlT_E_NS1_11comp_targetILNS1_3genE5ELNS1_11target_archE942ELNS1_3gpuE9ELNS1_3repE0EEENS1_30default_config_static_selectorELNS0_4arch9wavefront6targetE0EEEvS11_.has_dyn_sized_stack, 0
	.set _ZN7rocprim17ROCPRIM_400000_NS6detail17trampoline_kernelINS0_14default_configENS1_21merge_config_selectorINS0_5tupleIJyyEEENS0_10empty_typeEEEZNS1_10merge_implIS3_NS0_12zip_iteratorINS5_IJN6thrust23THRUST_200600_302600_NS6detail15normal_iteratorINSC_10device_ptrIKyEEEESI_EEEEESK_NSA_INS5_IJNSC_16discard_iteratorINSC_11use_defaultEEESN_EEEEEPS7_SQ_SQ_NSC_11hip_rocprim7__merge17predicate_wrapperIyyNSC_4lessIyEEEEEE10hipError_tPvRmT0_T1_T2_T3_T4_T5_mmT6_P12ihipStream_tbEUlT_E_NS1_11comp_targetILNS1_3genE5ELNS1_11target_archE942ELNS1_3gpuE9ELNS1_3repE0EEENS1_30default_config_static_selectorELNS0_4arch9wavefront6targetE0EEEvS11_.has_recursion, 0
	.set _ZN7rocprim17ROCPRIM_400000_NS6detail17trampoline_kernelINS0_14default_configENS1_21merge_config_selectorINS0_5tupleIJyyEEENS0_10empty_typeEEEZNS1_10merge_implIS3_NS0_12zip_iteratorINS5_IJN6thrust23THRUST_200600_302600_NS6detail15normal_iteratorINSC_10device_ptrIKyEEEESI_EEEEESK_NSA_INS5_IJNSC_16discard_iteratorINSC_11use_defaultEEESN_EEEEEPS7_SQ_SQ_NSC_11hip_rocprim7__merge17predicate_wrapperIyyNSC_4lessIyEEEEEE10hipError_tPvRmT0_T1_T2_T3_T4_T5_mmT6_P12ihipStream_tbEUlT_E_NS1_11comp_targetILNS1_3genE5ELNS1_11target_archE942ELNS1_3gpuE9ELNS1_3repE0EEENS1_30default_config_static_selectorELNS0_4arch9wavefront6targetE0EEEvS11_.has_indirect_call, 0
	.section	.AMDGPU.csdata,"",@progbits
; Kernel info:
; codeLenInByte = 0
; TotalNumSgprs: 0
; NumVgprs: 0
; ScratchSize: 0
; MemoryBound: 0
; FloatMode: 240
; IeeeMode: 1
; LDSByteSize: 0 bytes/workgroup (compile time only)
; SGPRBlocks: 0
; VGPRBlocks: 0
; NumSGPRsForWavesPerEU: 1
; NumVGPRsForWavesPerEU: 1
; NamedBarCnt: 0
; Occupancy: 16
; WaveLimiterHint : 0
; COMPUTE_PGM_RSRC2:SCRATCH_EN: 0
; COMPUTE_PGM_RSRC2:USER_SGPR: 2
; COMPUTE_PGM_RSRC2:TRAP_HANDLER: 0
; COMPUTE_PGM_RSRC2:TGID_X_EN: 1
; COMPUTE_PGM_RSRC2:TGID_Y_EN: 0
; COMPUTE_PGM_RSRC2:TGID_Z_EN: 0
; COMPUTE_PGM_RSRC2:TIDIG_COMP_CNT: 0
	.section	.text._ZN7rocprim17ROCPRIM_400000_NS6detail17trampoline_kernelINS0_14default_configENS1_21merge_config_selectorINS0_5tupleIJyyEEENS0_10empty_typeEEEZNS1_10merge_implIS3_NS0_12zip_iteratorINS5_IJN6thrust23THRUST_200600_302600_NS6detail15normal_iteratorINSC_10device_ptrIKyEEEESI_EEEEESK_NSA_INS5_IJNSC_16discard_iteratorINSC_11use_defaultEEESN_EEEEEPS7_SQ_SQ_NSC_11hip_rocprim7__merge17predicate_wrapperIyyNSC_4lessIyEEEEEE10hipError_tPvRmT0_T1_T2_T3_T4_T5_mmT6_P12ihipStream_tbEUlT_E_NS1_11comp_targetILNS1_3genE4ELNS1_11target_archE910ELNS1_3gpuE8ELNS1_3repE0EEENS1_30default_config_static_selectorELNS0_4arch9wavefront6targetE0EEEvS11_,"axG",@progbits,_ZN7rocprim17ROCPRIM_400000_NS6detail17trampoline_kernelINS0_14default_configENS1_21merge_config_selectorINS0_5tupleIJyyEEENS0_10empty_typeEEEZNS1_10merge_implIS3_NS0_12zip_iteratorINS5_IJN6thrust23THRUST_200600_302600_NS6detail15normal_iteratorINSC_10device_ptrIKyEEEESI_EEEEESK_NSA_INS5_IJNSC_16discard_iteratorINSC_11use_defaultEEESN_EEEEEPS7_SQ_SQ_NSC_11hip_rocprim7__merge17predicate_wrapperIyyNSC_4lessIyEEEEEE10hipError_tPvRmT0_T1_T2_T3_T4_T5_mmT6_P12ihipStream_tbEUlT_E_NS1_11comp_targetILNS1_3genE4ELNS1_11target_archE910ELNS1_3gpuE8ELNS1_3repE0EEENS1_30default_config_static_selectorELNS0_4arch9wavefront6targetE0EEEvS11_,comdat
	.protected	_ZN7rocprim17ROCPRIM_400000_NS6detail17trampoline_kernelINS0_14default_configENS1_21merge_config_selectorINS0_5tupleIJyyEEENS0_10empty_typeEEEZNS1_10merge_implIS3_NS0_12zip_iteratorINS5_IJN6thrust23THRUST_200600_302600_NS6detail15normal_iteratorINSC_10device_ptrIKyEEEESI_EEEEESK_NSA_INS5_IJNSC_16discard_iteratorINSC_11use_defaultEEESN_EEEEEPS7_SQ_SQ_NSC_11hip_rocprim7__merge17predicate_wrapperIyyNSC_4lessIyEEEEEE10hipError_tPvRmT0_T1_T2_T3_T4_T5_mmT6_P12ihipStream_tbEUlT_E_NS1_11comp_targetILNS1_3genE4ELNS1_11target_archE910ELNS1_3gpuE8ELNS1_3repE0EEENS1_30default_config_static_selectorELNS0_4arch9wavefront6targetE0EEEvS11_ ; -- Begin function _ZN7rocprim17ROCPRIM_400000_NS6detail17trampoline_kernelINS0_14default_configENS1_21merge_config_selectorINS0_5tupleIJyyEEENS0_10empty_typeEEEZNS1_10merge_implIS3_NS0_12zip_iteratorINS5_IJN6thrust23THRUST_200600_302600_NS6detail15normal_iteratorINSC_10device_ptrIKyEEEESI_EEEEESK_NSA_INS5_IJNSC_16discard_iteratorINSC_11use_defaultEEESN_EEEEEPS7_SQ_SQ_NSC_11hip_rocprim7__merge17predicate_wrapperIyyNSC_4lessIyEEEEEE10hipError_tPvRmT0_T1_T2_T3_T4_T5_mmT6_P12ihipStream_tbEUlT_E_NS1_11comp_targetILNS1_3genE4ELNS1_11target_archE910ELNS1_3gpuE8ELNS1_3repE0EEENS1_30default_config_static_selectorELNS0_4arch9wavefront6targetE0EEEvS11_
	.globl	_ZN7rocprim17ROCPRIM_400000_NS6detail17trampoline_kernelINS0_14default_configENS1_21merge_config_selectorINS0_5tupleIJyyEEENS0_10empty_typeEEEZNS1_10merge_implIS3_NS0_12zip_iteratorINS5_IJN6thrust23THRUST_200600_302600_NS6detail15normal_iteratorINSC_10device_ptrIKyEEEESI_EEEEESK_NSA_INS5_IJNSC_16discard_iteratorINSC_11use_defaultEEESN_EEEEEPS7_SQ_SQ_NSC_11hip_rocprim7__merge17predicate_wrapperIyyNSC_4lessIyEEEEEE10hipError_tPvRmT0_T1_T2_T3_T4_T5_mmT6_P12ihipStream_tbEUlT_E_NS1_11comp_targetILNS1_3genE4ELNS1_11target_archE910ELNS1_3gpuE8ELNS1_3repE0EEENS1_30default_config_static_selectorELNS0_4arch9wavefront6targetE0EEEvS11_
	.p2align	8
	.type	_ZN7rocprim17ROCPRIM_400000_NS6detail17trampoline_kernelINS0_14default_configENS1_21merge_config_selectorINS0_5tupleIJyyEEENS0_10empty_typeEEEZNS1_10merge_implIS3_NS0_12zip_iteratorINS5_IJN6thrust23THRUST_200600_302600_NS6detail15normal_iteratorINSC_10device_ptrIKyEEEESI_EEEEESK_NSA_INS5_IJNSC_16discard_iteratorINSC_11use_defaultEEESN_EEEEEPS7_SQ_SQ_NSC_11hip_rocprim7__merge17predicate_wrapperIyyNSC_4lessIyEEEEEE10hipError_tPvRmT0_T1_T2_T3_T4_T5_mmT6_P12ihipStream_tbEUlT_E_NS1_11comp_targetILNS1_3genE4ELNS1_11target_archE910ELNS1_3gpuE8ELNS1_3repE0EEENS1_30default_config_static_selectorELNS0_4arch9wavefront6targetE0EEEvS11_,@function
_ZN7rocprim17ROCPRIM_400000_NS6detail17trampoline_kernelINS0_14default_configENS1_21merge_config_selectorINS0_5tupleIJyyEEENS0_10empty_typeEEEZNS1_10merge_implIS3_NS0_12zip_iteratorINS5_IJN6thrust23THRUST_200600_302600_NS6detail15normal_iteratorINSC_10device_ptrIKyEEEESI_EEEEESK_NSA_INS5_IJNSC_16discard_iteratorINSC_11use_defaultEEESN_EEEEEPS7_SQ_SQ_NSC_11hip_rocprim7__merge17predicate_wrapperIyyNSC_4lessIyEEEEEE10hipError_tPvRmT0_T1_T2_T3_T4_T5_mmT6_P12ihipStream_tbEUlT_E_NS1_11comp_targetILNS1_3genE4ELNS1_11target_archE910ELNS1_3gpuE8ELNS1_3repE0EEENS1_30default_config_static_selectorELNS0_4arch9wavefront6targetE0EEEvS11_: ; @_ZN7rocprim17ROCPRIM_400000_NS6detail17trampoline_kernelINS0_14default_configENS1_21merge_config_selectorINS0_5tupleIJyyEEENS0_10empty_typeEEEZNS1_10merge_implIS3_NS0_12zip_iteratorINS5_IJN6thrust23THRUST_200600_302600_NS6detail15normal_iteratorINSC_10device_ptrIKyEEEESI_EEEEESK_NSA_INS5_IJNSC_16discard_iteratorINSC_11use_defaultEEESN_EEEEEPS7_SQ_SQ_NSC_11hip_rocprim7__merge17predicate_wrapperIyyNSC_4lessIyEEEEEE10hipError_tPvRmT0_T1_T2_T3_T4_T5_mmT6_P12ihipStream_tbEUlT_E_NS1_11comp_targetILNS1_3genE4ELNS1_11target_archE910ELNS1_3gpuE8ELNS1_3repE0EEENS1_30default_config_static_selectorELNS0_4arch9wavefront6targetE0EEEvS11_
; %bb.0:
	.section	.rodata,"a",@progbits
	.p2align	6, 0x0
	.amdhsa_kernel _ZN7rocprim17ROCPRIM_400000_NS6detail17trampoline_kernelINS0_14default_configENS1_21merge_config_selectorINS0_5tupleIJyyEEENS0_10empty_typeEEEZNS1_10merge_implIS3_NS0_12zip_iteratorINS5_IJN6thrust23THRUST_200600_302600_NS6detail15normal_iteratorINSC_10device_ptrIKyEEEESI_EEEEESK_NSA_INS5_IJNSC_16discard_iteratorINSC_11use_defaultEEESN_EEEEEPS7_SQ_SQ_NSC_11hip_rocprim7__merge17predicate_wrapperIyyNSC_4lessIyEEEEEE10hipError_tPvRmT0_T1_T2_T3_T4_T5_mmT6_P12ihipStream_tbEUlT_E_NS1_11comp_targetILNS1_3genE4ELNS1_11target_archE910ELNS1_3gpuE8ELNS1_3repE0EEENS1_30default_config_static_selectorELNS0_4arch9wavefront6targetE0EEEvS11_
		.amdhsa_group_segment_fixed_size 0
		.amdhsa_private_segment_fixed_size 0
		.amdhsa_kernarg_size 64
		.amdhsa_user_sgpr_count 2
		.amdhsa_user_sgpr_dispatch_ptr 0
		.amdhsa_user_sgpr_queue_ptr 0
		.amdhsa_user_sgpr_kernarg_segment_ptr 1
		.amdhsa_user_sgpr_dispatch_id 0
		.amdhsa_user_sgpr_kernarg_preload_length 0
		.amdhsa_user_sgpr_kernarg_preload_offset 0
		.amdhsa_user_sgpr_private_segment_size 0
		.amdhsa_wavefront_size32 1
		.amdhsa_uses_dynamic_stack 0
		.amdhsa_enable_private_segment 0
		.amdhsa_system_sgpr_workgroup_id_x 1
		.amdhsa_system_sgpr_workgroup_id_y 0
		.amdhsa_system_sgpr_workgroup_id_z 0
		.amdhsa_system_sgpr_workgroup_info 0
		.amdhsa_system_vgpr_workitem_id 0
		.amdhsa_next_free_vgpr 1
		.amdhsa_next_free_sgpr 1
		.amdhsa_named_barrier_count 0
		.amdhsa_reserve_vcc 0
		.amdhsa_float_round_mode_32 0
		.amdhsa_float_round_mode_16_64 0
		.amdhsa_float_denorm_mode_32 3
		.amdhsa_float_denorm_mode_16_64 3
		.amdhsa_fp16_overflow 0
		.amdhsa_memory_ordered 1
		.amdhsa_forward_progress 1
		.amdhsa_inst_pref_size 0
		.amdhsa_round_robin_scheduling 0
		.amdhsa_exception_fp_ieee_invalid_op 0
		.amdhsa_exception_fp_denorm_src 0
		.amdhsa_exception_fp_ieee_div_zero 0
		.amdhsa_exception_fp_ieee_overflow 0
		.amdhsa_exception_fp_ieee_underflow 0
		.amdhsa_exception_fp_ieee_inexact 0
		.amdhsa_exception_int_div_zero 0
	.end_amdhsa_kernel
	.section	.text._ZN7rocprim17ROCPRIM_400000_NS6detail17trampoline_kernelINS0_14default_configENS1_21merge_config_selectorINS0_5tupleIJyyEEENS0_10empty_typeEEEZNS1_10merge_implIS3_NS0_12zip_iteratorINS5_IJN6thrust23THRUST_200600_302600_NS6detail15normal_iteratorINSC_10device_ptrIKyEEEESI_EEEEESK_NSA_INS5_IJNSC_16discard_iteratorINSC_11use_defaultEEESN_EEEEEPS7_SQ_SQ_NSC_11hip_rocprim7__merge17predicate_wrapperIyyNSC_4lessIyEEEEEE10hipError_tPvRmT0_T1_T2_T3_T4_T5_mmT6_P12ihipStream_tbEUlT_E_NS1_11comp_targetILNS1_3genE4ELNS1_11target_archE910ELNS1_3gpuE8ELNS1_3repE0EEENS1_30default_config_static_selectorELNS0_4arch9wavefront6targetE0EEEvS11_,"axG",@progbits,_ZN7rocprim17ROCPRIM_400000_NS6detail17trampoline_kernelINS0_14default_configENS1_21merge_config_selectorINS0_5tupleIJyyEEENS0_10empty_typeEEEZNS1_10merge_implIS3_NS0_12zip_iteratorINS5_IJN6thrust23THRUST_200600_302600_NS6detail15normal_iteratorINSC_10device_ptrIKyEEEESI_EEEEESK_NSA_INS5_IJNSC_16discard_iteratorINSC_11use_defaultEEESN_EEEEEPS7_SQ_SQ_NSC_11hip_rocprim7__merge17predicate_wrapperIyyNSC_4lessIyEEEEEE10hipError_tPvRmT0_T1_T2_T3_T4_T5_mmT6_P12ihipStream_tbEUlT_E_NS1_11comp_targetILNS1_3genE4ELNS1_11target_archE910ELNS1_3gpuE8ELNS1_3repE0EEENS1_30default_config_static_selectorELNS0_4arch9wavefront6targetE0EEEvS11_,comdat
.Lfunc_end517:
	.size	_ZN7rocprim17ROCPRIM_400000_NS6detail17trampoline_kernelINS0_14default_configENS1_21merge_config_selectorINS0_5tupleIJyyEEENS0_10empty_typeEEEZNS1_10merge_implIS3_NS0_12zip_iteratorINS5_IJN6thrust23THRUST_200600_302600_NS6detail15normal_iteratorINSC_10device_ptrIKyEEEESI_EEEEESK_NSA_INS5_IJNSC_16discard_iteratorINSC_11use_defaultEEESN_EEEEEPS7_SQ_SQ_NSC_11hip_rocprim7__merge17predicate_wrapperIyyNSC_4lessIyEEEEEE10hipError_tPvRmT0_T1_T2_T3_T4_T5_mmT6_P12ihipStream_tbEUlT_E_NS1_11comp_targetILNS1_3genE4ELNS1_11target_archE910ELNS1_3gpuE8ELNS1_3repE0EEENS1_30default_config_static_selectorELNS0_4arch9wavefront6targetE0EEEvS11_, .Lfunc_end517-_ZN7rocprim17ROCPRIM_400000_NS6detail17trampoline_kernelINS0_14default_configENS1_21merge_config_selectorINS0_5tupleIJyyEEENS0_10empty_typeEEEZNS1_10merge_implIS3_NS0_12zip_iteratorINS5_IJN6thrust23THRUST_200600_302600_NS6detail15normal_iteratorINSC_10device_ptrIKyEEEESI_EEEEESK_NSA_INS5_IJNSC_16discard_iteratorINSC_11use_defaultEEESN_EEEEEPS7_SQ_SQ_NSC_11hip_rocprim7__merge17predicate_wrapperIyyNSC_4lessIyEEEEEE10hipError_tPvRmT0_T1_T2_T3_T4_T5_mmT6_P12ihipStream_tbEUlT_E_NS1_11comp_targetILNS1_3genE4ELNS1_11target_archE910ELNS1_3gpuE8ELNS1_3repE0EEENS1_30default_config_static_selectorELNS0_4arch9wavefront6targetE0EEEvS11_
                                        ; -- End function
	.set _ZN7rocprim17ROCPRIM_400000_NS6detail17trampoline_kernelINS0_14default_configENS1_21merge_config_selectorINS0_5tupleIJyyEEENS0_10empty_typeEEEZNS1_10merge_implIS3_NS0_12zip_iteratorINS5_IJN6thrust23THRUST_200600_302600_NS6detail15normal_iteratorINSC_10device_ptrIKyEEEESI_EEEEESK_NSA_INS5_IJNSC_16discard_iteratorINSC_11use_defaultEEESN_EEEEEPS7_SQ_SQ_NSC_11hip_rocprim7__merge17predicate_wrapperIyyNSC_4lessIyEEEEEE10hipError_tPvRmT0_T1_T2_T3_T4_T5_mmT6_P12ihipStream_tbEUlT_E_NS1_11comp_targetILNS1_3genE4ELNS1_11target_archE910ELNS1_3gpuE8ELNS1_3repE0EEENS1_30default_config_static_selectorELNS0_4arch9wavefront6targetE0EEEvS11_.num_vgpr, 0
	.set _ZN7rocprim17ROCPRIM_400000_NS6detail17trampoline_kernelINS0_14default_configENS1_21merge_config_selectorINS0_5tupleIJyyEEENS0_10empty_typeEEEZNS1_10merge_implIS3_NS0_12zip_iteratorINS5_IJN6thrust23THRUST_200600_302600_NS6detail15normal_iteratorINSC_10device_ptrIKyEEEESI_EEEEESK_NSA_INS5_IJNSC_16discard_iteratorINSC_11use_defaultEEESN_EEEEEPS7_SQ_SQ_NSC_11hip_rocprim7__merge17predicate_wrapperIyyNSC_4lessIyEEEEEE10hipError_tPvRmT0_T1_T2_T3_T4_T5_mmT6_P12ihipStream_tbEUlT_E_NS1_11comp_targetILNS1_3genE4ELNS1_11target_archE910ELNS1_3gpuE8ELNS1_3repE0EEENS1_30default_config_static_selectorELNS0_4arch9wavefront6targetE0EEEvS11_.num_agpr, 0
	.set _ZN7rocprim17ROCPRIM_400000_NS6detail17trampoline_kernelINS0_14default_configENS1_21merge_config_selectorINS0_5tupleIJyyEEENS0_10empty_typeEEEZNS1_10merge_implIS3_NS0_12zip_iteratorINS5_IJN6thrust23THRUST_200600_302600_NS6detail15normal_iteratorINSC_10device_ptrIKyEEEESI_EEEEESK_NSA_INS5_IJNSC_16discard_iteratorINSC_11use_defaultEEESN_EEEEEPS7_SQ_SQ_NSC_11hip_rocprim7__merge17predicate_wrapperIyyNSC_4lessIyEEEEEE10hipError_tPvRmT0_T1_T2_T3_T4_T5_mmT6_P12ihipStream_tbEUlT_E_NS1_11comp_targetILNS1_3genE4ELNS1_11target_archE910ELNS1_3gpuE8ELNS1_3repE0EEENS1_30default_config_static_selectorELNS0_4arch9wavefront6targetE0EEEvS11_.numbered_sgpr, 0
	.set _ZN7rocprim17ROCPRIM_400000_NS6detail17trampoline_kernelINS0_14default_configENS1_21merge_config_selectorINS0_5tupleIJyyEEENS0_10empty_typeEEEZNS1_10merge_implIS3_NS0_12zip_iteratorINS5_IJN6thrust23THRUST_200600_302600_NS6detail15normal_iteratorINSC_10device_ptrIKyEEEESI_EEEEESK_NSA_INS5_IJNSC_16discard_iteratorINSC_11use_defaultEEESN_EEEEEPS7_SQ_SQ_NSC_11hip_rocprim7__merge17predicate_wrapperIyyNSC_4lessIyEEEEEE10hipError_tPvRmT0_T1_T2_T3_T4_T5_mmT6_P12ihipStream_tbEUlT_E_NS1_11comp_targetILNS1_3genE4ELNS1_11target_archE910ELNS1_3gpuE8ELNS1_3repE0EEENS1_30default_config_static_selectorELNS0_4arch9wavefront6targetE0EEEvS11_.num_named_barrier, 0
	.set _ZN7rocprim17ROCPRIM_400000_NS6detail17trampoline_kernelINS0_14default_configENS1_21merge_config_selectorINS0_5tupleIJyyEEENS0_10empty_typeEEEZNS1_10merge_implIS3_NS0_12zip_iteratorINS5_IJN6thrust23THRUST_200600_302600_NS6detail15normal_iteratorINSC_10device_ptrIKyEEEESI_EEEEESK_NSA_INS5_IJNSC_16discard_iteratorINSC_11use_defaultEEESN_EEEEEPS7_SQ_SQ_NSC_11hip_rocprim7__merge17predicate_wrapperIyyNSC_4lessIyEEEEEE10hipError_tPvRmT0_T1_T2_T3_T4_T5_mmT6_P12ihipStream_tbEUlT_E_NS1_11comp_targetILNS1_3genE4ELNS1_11target_archE910ELNS1_3gpuE8ELNS1_3repE0EEENS1_30default_config_static_selectorELNS0_4arch9wavefront6targetE0EEEvS11_.private_seg_size, 0
	.set _ZN7rocprim17ROCPRIM_400000_NS6detail17trampoline_kernelINS0_14default_configENS1_21merge_config_selectorINS0_5tupleIJyyEEENS0_10empty_typeEEEZNS1_10merge_implIS3_NS0_12zip_iteratorINS5_IJN6thrust23THRUST_200600_302600_NS6detail15normal_iteratorINSC_10device_ptrIKyEEEESI_EEEEESK_NSA_INS5_IJNSC_16discard_iteratorINSC_11use_defaultEEESN_EEEEEPS7_SQ_SQ_NSC_11hip_rocprim7__merge17predicate_wrapperIyyNSC_4lessIyEEEEEE10hipError_tPvRmT0_T1_T2_T3_T4_T5_mmT6_P12ihipStream_tbEUlT_E_NS1_11comp_targetILNS1_3genE4ELNS1_11target_archE910ELNS1_3gpuE8ELNS1_3repE0EEENS1_30default_config_static_selectorELNS0_4arch9wavefront6targetE0EEEvS11_.uses_vcc, 0
	.set _ZN7rocprim17ROCPRIM_400000_NS6detail17trampoline_kernelINS0_14default_configENS1_21merge_config_selectorINS0_5tupleIJyyEEENS0_10empty_typeEEEZNS1_10merge_implIS3_NS0_12zip_iteratorINS5_IJN6thrust23THRUST_200600_302600_NS6detail15normal_iteratorINSC_10device_ptrIKyEEEESI_EEEEESK_NSA_INS5_IJNSC_16discard_iteratorINSC_11use_defaultEEESN_EEEEEPS7_SQ_SQ_NSC_11hip_rocprim7__merge17predicate_wrapperIyyNSC_4lessIyEEEEEE10hipError_tPvRmT0_T1_T2_T3_T4_T5_mmT6_P12ihipStream_tbEUlT_E_NS1_11comp_targetILNS1_3genE4ELNS1_11target_archE910ELNS1_3gpuE8ELNS1_3repE0EEENS1_30default_config_static_selectorELNS0_4arch9wavefront6targetE0EEEvS11_.uses_flat_scratch, 0
	.set _ZN7rocprim17ROCPRIM_400000_NS6detail17trampoline_kernelINS0_14default_configENS1_21merge_config_selectorINS0_5tupleIJyyEEENS0_10empty_typeEEEZNS1_10merge_implIS3_NS0_12zip_iteratorINS5_IJN6thrust23THRUST_200600_302600_NS6detail15normal_iteratorINSC_10device_ptrIKyEEEESI_EEEEESK_NSA_INS5_IJNSC_16discard_iteratorINSC_11use_defaultEEESN_EEEEEPS7_SQ_SQ_NSC_11hip_rocprim7__merge17predicate_wrapperIyyNSC_4lessIyEEEEEE10hipError_tPvRmT0_T1_T2_T3_T4_T5_mmT6_P12ihipStream_tbEUlT_E_NS1_11comp_targetILNS1_3genE4ELNS1_11target_archE910ELNS1_3gpuE8ELNS1_3repE0EEENS1_30default_config_static_selectorELNS0_4arch9wavefront6targetE0EEEvS11_.has_dyn_sized_stack, 0
	.set _ZN7rocprim17ROCPRIM_400000_NS6detail17trampoline_kernelINS0_14default_configENS1_21merge_config_selectorINS0_5tupleIJyyEEENS0_10empty_typeEEEZNS1_10merge_implIS3_NS0_12zip_iteratorINS5_IJN6thrust23THRUST_200600_302600_NS6detail15normal_iteratorINSC_10device_ptrIKyEEEESI_EEEEESK_NSA_INS5_IJNSC_16discard_iteratorINSC_11use_defaultEEESN_EEEEEPS7_SQ_SQ_NSC_11hip_rocprim7__merge17predicate_wrapperIyyNSC_4lessIyEEEEEE10hipError_tPvRmT0_T1_T2_T3_T4_T5_mmT6_P12ihipStream_tbEUlT_E_NS1_11comp_targetILNS1_3genE4ELNS1_11target_archE910ELNS1_3gpuE8ELNS1_3repE0EEENS1_30default_config_static_selectorELNS0_4arch9wavefront6targetE0EEEvS11_.has_recursion, 0
	.set _ZN7rocprim17ROCPRIM_400000_NS6detail17trampoline_kernelINS0_14default_configENS1_21merge_config_selectorINS0_5tupleIJyyEEENS0_10empty_typeEEEZNS1_10merge_implIS3_NS0_12zip_iteratorINS5_IJN6thrust23THRUST_200600_302600_NS6detail15normal_iteratorINSC_10device_ptrIKyEEEESI_EEEEESK_NSA_INS5_IJNSC_16discard_iteratorINSC_11use_defaultEEESN_EEEEEPS7_SQ_SQ_NSC_11hip_rocprim7__merge17predicate_wrapperIyyNSC_4lessIyEEEEEE10hipError_tPvRmT0_T1_T2_T3_T4_T5_mmT6_P12ihipStream_tbEUlT_E_NS1_11comp_targetILNS1_3genE4ELNS1_11target_archE910ELNS1_3gpuE8ELNS1_3repE0EEENS1_30default_config_static_selectorELNS0_4arch9wavefront6targetE0EEEvS11_.has_indirect_call, 0
	.section	.AMDGPU.csdata,"",@progbits
; Kernel info:
; codeLenInByte = 0
; TotalNumSgprs: 0
; NumVgprs: 0
; ScratchSize: 0
; MemoryBound: 0
; FloatMode: 240
; IeeeMode: 1
; LDSByteSize: 0 bytes/workgroup (compile time only)
; SGPRBlocks: 0
; VGPRBlocks: 0
; NumSGPRsForWavesPerEU: 1
; NumVGPRsForWavesPerEU: 1
; NamedBarCnt: 0
; Occupancy: 16
; WaveLimiterHint : 0
; COMPUTE_PGM_RSRC2:SCRATCH_EN: 0
; COMPUTE_PGM_RSRC2:USER_SGPR: 2
; COMPUTE_PGM_RSRC2:TRAP_HANDLER: 0
; COMPUTE_PGM_RSRC2:TGID_X_EN: 1
; COMPUTE_PGM_RSRC2:TGID_Y_EN: 0
; COMPUTE_PGM_RSRC2:TGID_Z_EN: 0
; COMPUTE_PGM_RSRC2:TIDIG_COMP_CNT: 0
	.section	.text._ZN7rocprim17ROCPRIM_400000_NS6detail17trampoline_kernelINS0_14default_configENS1_21merge_config_selectorINS0_5tupleIJyyEEENS0_10empty_typeEEEZNS1_10merge_implIS3_NS0_12zip_iteratorINS5_IJN6thrust23THRUST_200600_302600_NS6detail15normal_iteratorINSC_10device_ptrIKyEEEESI_EEEEESK_NSA_INS5_IJNSC_16discard_iteratorINSC_11use_defaultEEESN_EEEEEPS7_SQ_SQ_NSC_11hip_rocprim7__merge17predicate_wrapperIyyNSC_4lessIyEEEEEE10hipError_tPvRmT0_T1_T2_T3_T4_T5_mmT6_P12ihipStream_tbEUlT_E_NS1_11comp_targetILNS1_3genE3ELNS1_11target_archE908ELNS1_3gpuE7ELNS1_3repE0EEENS1_30default_config_static_selectorELNS0_4arch9wavefront6targetE0EEEvS11_,"axG",@progbits,_ZN7rocprim17ROCPRIM_400000_NS6detail17trampoline_kernelINS0_14default_configENS1_21merge_config_selectorINS0_5tupleIJyyEEENS0_10empty_typeEEEZNS1_10merge_implIS3_NS0_12zip_iteratorINS5_IJN6thrust23THRUST_200600_302600_NS6detail15normal_iteratorINSC_10device_ptrIKyEEEESI_EEEEESK_NSA_INS5_IJNSC_16discard_iteratorINSC_11use_defaultEEESN_EEEEEPS7_SQ_SQ_NSC_11hip_rocprim7__merge17predicate_wrapperIyyNSC_4lessIyEEEEEE10hipError_tPvRmT0_T1_T2_T3_T4_T5_mmT6_P12ihipStream_tbEUlT_E_NS1_11comp_targetILNS1_3genE3ELNS1_11target_archE908ELNS1_3gpuE7ELNS1_3repE0EEENS1_30default_config_static_selectorELNS0_4arch9wavefront6targetE0EEEvS11_,comdat
	.protected	_ZN7rocprim17ROCPRIM_400000_NS6detail17trampoline_kernelINS0_14default_configENS1_21merge_config_selectorINS0_5tupleIJyyEEENS0_10empty_typeEEEZNS1_10merge_implIS3_NS0_12zip_iteratorINS5_IJN6thrust23THRUST_200600_302600_NS6detail15normal_iteratorINSC_10device_ptrIKyEEEESI_EEEEESK_NSA_INS5_IJNSC_16discard_iteratorINSC_11use_defaultEEESN_EEEEEPS7_SQ_SQ_NSC_11hip_rocprim7__merge17predicate_wrapperIyyNSC_4lessIyEEEEEE10hipError_tPvRmT0_T1_T2_T3_T4_T5_mmT6_P12ihipStream_tbEUlT_E_NS1_11comp_targetILNS1_3genE3ELNS1_11target_archE908ELNS1_3gpuE7ELNS1_3repE0EEENS1_30default_config_static_selectorELNS0_4arch9wavefront6targetE0EEEvS11_ ; -- Begin function _ZN7rocprim17ROCPRIM_400000_NS6detail17trampoline_kernelINS0_14default_configENS1_21merge_config_selectorINS0_5tupleIJyyEEENS0_10empty_typeEEEZNS1_10merge_implIS3_NS0_12zip_iteratorINS5_IJN6thrust23THRUST_200600_302600_NS6detail15normal_iteratorINSC_10device_ptrIKyEEEESI_EEEEESK_NSA_INS5_IJNSC_16discard_iteratorINSC_11use_defaultEEESN_EEEEEPS7_SQ_SQ_NSC_11hip_rocprim7__merge17predicate_wrapperIyyNSC_4lessIyEEEEEE10hipError_tPvRmT0_T1_T2_T3_T4_T5_mmT6_P12ihipStream_tbEUlT_E_NS1_11comp_targetILNS1_3genE3ELNS1_11target_archE908ELNS1_3gpuE7ELNS1_3repE0EEENS1_30default_config_static_selectorELNS0_4arch9wavefront6targetE0EEEvS11_
	.globl	_ZN7rocprim17ROCPRIM_400000_NS6detail17trampoline_kernelINS0_14default_configENS1_21merge_config_selectorINS0_5tupleIJyyEEENS0_10empty_typeEEEZNS1_10merge_implIS3_NS0_12zip_iteratorINS5_IJN6thrust23THRUST_200600_302600_NS6detail15normal_iteratorINSC_10device_ptrIKyEEEESI_EEEEESK_NSA_INS5_IJNSC_16discard_iteratorINSC_11use_defaultEEESN_EEEEEPS7_SQ_SQ_NSC_11hip_rocprim7__merge17predicate_wrapperIyyNSC_4lessIyEEEEEE10hipError_tPvRmT0_T1_T2_T3_T4_T5_mmT6_P12ihipStream_tbEUlT_E_NS1_11comp_targetILNS1_3genE3ELNS1_11target_archE908ELNS1_3gpuE7ELNS1_3repE0EEENS1_30default_config_static_selectorELNS0_4arch9wavefront6targetE0EEEvS11_
	.p2align	8
	.type	_ZN7rocprim17ROCPRIM_400000_NS6detail17trampoline_kernelINS0_14default_configENS1_21merge_config_selectorINS0_5tupleIJyyEEENS0_10empty_typeEEEZNS1_10merge_implIS3_NS0_12zip_iteratorINS5_IJN6thrust23THRUST_200600_302600_NS6detail15normal_iteratorINSC_10device_ptrIKyEEEESI_EEEEESK_NSA_INS5_IJNSC_16discard_iteratorINSC_11use_defaultEEESN_EEEEEPS7_SQ_SQ_NSC_11hip_rocprim7__merge17predicate_wrapperIyyNSC_4lessIyEEEEEE10hipError_tPvRmT0_T1_T2_T3_T4_T5_mmT6_P12ihipStream_tbEUlT_E_NS1_11comp_targetILNS1_3genE3ELNS1_11target_archE908ELNS1_3gpuE7ELNS1_3repE0EEENS1_30default_config_static_selectorELNS0_4arch9wavefront6targetE0EEEvS11_,@function
_ZN7rocprim17ROCPRIM_400000_NS6detail17trampoline_kernelINS0_14default_configENS1_21merge_config_selectorINS0_5tupleIJyyEEENS0_10empty_typeEEEZNS1_10merge_implIS3_NS0_12zip_iteratorINS5_IJN6thrust23THRUST_200600_302600_NS6detail15normal_iteratorINSC_10device_ptrIKyEEEESI_EEEEESK_NSA_INS5_IJNSC_16discard_iteratorINSC_11use_defaultEEESN_EEEEEPS7_SQ_SQ_NSC_11hip_rocprim7__merge17predicate_wrapperIyyNSC_4lessIyEEEEEE10hipError_tPvRmT0_T1_T2_T3_T4_T5_mmT6_P12ihipStream_tbEUlT_E_NS1_11comp_targetILNS1_3genE3ELNS1_11target_archE908ELNS1_3gpuE7ELNS1_3repE0EEENS1_30default_config_static_selectorELNS0_4arch9wavefront6targetE0EEEvS11_: ; @_ZN7rocprim17ROCPRIM_400000_NS6detail17trampoline_kernelINS0_14default_configENS1_21merge_config_selectorINS0_5tupleIJyyEEENS0_10empty_typeEEEZNS1_10merge_implIS3_NS0_12zip_iteratorINS5_IJN6thrust23THRUST_200600_302600_NS6detail15normal_iteratorINSC_10device_ptrIKyEEEESI_EEEEESK_NSA_INS5_IJNSC_16discard_iteratorINSC_11use_defaultEEESN_EEEEEPS7_SQ_SQ_NSC_11hip_rocprim7__merge17predicate_wrapperIyyNSC_4lessIyEEEEEE10hipError_tPvRmT0_T1_T2_T3_T4_T5_mmT6_P12ihipStream_tbEUlT_E_NS1_11comp_targetILNS1_3genE3ELNS1_11target_archE908ELNS1_3gpuE7ELNS1_3repE0EEENS1_30default_config_static_selectorELNS0_4arch9wavefront6targetE0EEEvS11_
; %bb.0:
	.section	.rodata,"a",@progbits
	.p2align	6, 0x0
	.amdhsa_kernel _ZN7rocprim17ROCPRIM_400000_NS6detail17trampoline_kernelINS0_14default_configENS1_21merge_config_selectorINS0_5tupleIJyyEEENS0_10empty_typeEEEZNS1_10merge_implIS3_NS0_12zip_iteratorINS5_IJN6thrust23THRUST_200600_302600_NS6detail15normal_iteratorINSC_10device_ptrIKyEEEESI_EEEEESK_NSA_INS5_IJNSC_16discard_iteratorINSC_11use_defaultEEESN_EEEEEPS7_SQ_SQ_NSC_11hip_rocprim7__merge17predicate_wrapperIyyNSC_4lessIyEEEEEE10hipError_tPvRmT0_T1_T2_T3_T4_T5_mmT6_P12ihipStream_tbEUlT_E_NS1_11comp_targetILNS1_3genE3ELNS1_11target_archE908ELNS1_3gpuE7ELNS1_3repE0EEENS1_30default_config_static_selectorELNS0_4arch9wavefront6targetE0EEEvS11_
		.amdhsa_group_segment_fixed_size 0
		.amdhsa_private_segment_fixed_size 0
		.amdhsa_kernarg_size 64
		.amdhsa_user_sgpr_count 2
		.amdhsa_user_sgpr_dispatch_ptr 0
		.amdhsa_user_sgpr_queue_ptr 0
		.amdhsa_user_sgpr_kernarg_segment_ptr 1
		.amdhsa_user_sgpr_dispatch_id 0
		.amdhsa_user_sgpr_kernarg_preload_length 0
		.amdhsa_user_sgpr_kernarg_preload_offset 0
		.amdhsa_user_sgpr_private_segment_size 0
		.amdhsa_wavefront_size32 1
		.amdhsa_uses_dynamic_stack 0
		.amdhsa_enable_private_segment 0
		.amdhsa_system_sgpr_workgroup_id_x 1
		.amdhsa_system_sgpr_workgroup_id_y 0
		.amdhsa_system_sgpr_workgroup_id_z 0
		.amdhsa_system_sgpr_workgroup_info 0
		.amdhsa_system_vgpr_workitem_id 0
		.amdhsa_next_free_vgpr 1
		.amdhsa_next_free_sgpr 1
		.amdhsa_named_barrier_count 0
		.amdhsa_reserve_vcc 0
		.amdhsa_float_round_mode_32 0
		.amdhsa_float_round_mode_16_64 0
		.amdhsa_float_denorm_mode_32 3
		.amdhsa_float_denorm_mode_16_64 3
		.amdhsa_fp16_overflow 0
		.amdhsa_memory_ordered 1
		.amdhsa_forward_progress 1
		.amdhsa_inst_pref_size 0
		.amdhsa_round_robin_scheduling 0
		.amdhsa_exception_fp_ieee_invalid_op 0
		.amdhsa_exception_fp_denorm_src 0
		.amdhsa_exception_fp_ieee_div_zero 0
		.amdhsa_exception_fp_ieee_overflow 0
		.amdhsa_exception_fp_ieee_underflow 0
		.amdhsa_exception_fp_ieee_inexact 0
		.amdhsa_exception_int_div_zero 0
	.end_amdhsa_kernel
	.section	.text._ZN7rocprim17ROCPRIM_400000_NS6detail17trampoline_kernelINS0_14default_configENS1_21merge_config_selectorINS0_5tupleIJyyEEENS0_10empty_typeEEEZNS1_10merge_implIS3_NS0_12zip_iteratorINS5_IJN6thrust23THRUST_200600_302600_NS6detail15normal_iteratorINSC_10device_ptrIKyEEEESI_EEEEESK_NSA_INS5_IJNSC_16discard_iteratorINSC_11use_defaultEEESN_EEEEEPS7_SQ_SQ_NSC_11hip_rocprim7__merge17predicate_wrapperIyyNSC_4lessIyEEEEEE10hipError_tPvRmT0_T1_T2_T3_T4_T5_mmT6_P12ihipStream_tbEUlT_E_NS1_11comp_targetILNS1_3genE3ELNS1_11target_archE908ELNS1_3gpuE7ELNS1_3repE0EEENS1_30default_config_static_selectorELNS0_4arch9wavefront6targetE0EEEvS11_,"axG",@progbits,_ZN7rocprim17ROCPRIM_400000_NS6detail17trampoline_kernelINS0_14default_configENS1_21merge_config_selectorINS0_5tupleIJyyEEENS0_10empty_typeEEEZNS1_10merge_implIS3_NS0_12zip_iteratorINS5_IJN6thrust23THRUST_200600_302600_NS6detail15normal_iteratorINSC_10device_ptrIKyEEEESI_EEEEESK_NSA_INS5_IJNSC_16discard_iteratorINSC_11use_defaultEEESN_EEEEEPS7_SQ_SQ_NSC_11hip_rocprim7__merge17predicate_wrapperIyyNSC_4lessIyEEEEEE10hipError_tPvRmT0_T1_T2_T3_T4_T5_mmT6_P12ihipStream_tbEUlT_E_NS1_11comp_targetILNS1_3genE3ELNS1_11target_archE908ELNS1_3gpuE7ELNS1_3repE0EEENS1_30default_config_static_selectorELNS0_4arch9wavefront6targetE0EEEvS11_,comdat
.Lfunc_end518:
	.size	_ZN7rocprim17ROCPRIM_400000_NS6detail17trampoline_kernelINS0_14default_configENS1_21merge_config_selectorINS0_5tupleIJyyEEENS0_10empty_typeEEEZNS1_10merge_implIS3_NS0_12zip_iteratorINS5_IJN6thrust23THRUST_200600_302600_NS6detail15normal_iteratorINSC_10device_ptrIKyEEEESI_EEEEESK_NSA_INS5_IJNSC_16discard_iteratorINSC_11use_defaultEEESN_EEEEEPS7_SQ_SQ_NSC_11hip_rocprim7__merge17predicate_wrapperIyyNSC_4lessIyEEEEEE10hipError_tPvRmT0_T1_T2_T3_T4_T5_mmT6_P12ihipStream_tbEUlT_E_NS1_11comp_targetILNS1_3genE3ELNS1_11target_archE908ELNS1_3gpuE7ELNS1_3repE0EEENS1_30default_config_static_selectorELNS0_4arch9wavefront6targetE0EEEvS11_, .Lfunc_end518-_ZN7rocprim17ROCPRIM_400000_NS6detail17trampoline_kernelINS0_14default_configENS1_21merge_config_selectorINS0_5tupleIJyyEEENS0_10empty_typeEEEZNS1_10merge_implIS3_NS0_12zip_iteratorINS5_IJN6thrust23THRUST_200600_302600_NS6detail15normal_iteratorINSC_10device_ptrIKyEEEESI_EEEEESK_NSA_INS5_IJNSC_16discard_iteratorINSC_11use_defaultEEESN_EEEEEPS7_SQ_SQ_NSC_11hip_rocprim7__merge17predicate_wrapperIyyNSC_4lessIyEEEEEE10hipError_tPvRmT0_T1_T2_T3_T4_T5_mmT6_P12ihipStream_tbEUlT_E_NS1_11comp_targetILNS1_3genE3ELNS1_11target_archE908ELNS1_3gpuE7ELNS1_3repE0EEENS1_30default_config_static_selectorELNS0_4arch9wavefront6targetE0EEEvS11_
                                        ; -- End function
	.set _ZN7rocprim17ROCPRIM_400000_NS6detail17trampoline_kernelINS0_14default_configENS1_21merge_config_selectorINS0_5tupleIJyyEEENS0_10empty_typeEEEZNS1_10merge_implIS3_NS0_12zip_iteratorINS5_IJN6thrust23THRUST_200600_302600_NS6detail15normal_iteratorINSC_10device_ptrIKyEEEESI_EEEEESK_NSA_INS5_IJNSC_16discard_iteratorINSC_11use_defaultEEESN_EEEEEPS7_SQ_SQ_NSC_11hip_rocprim7__merge17predicate_wrapperIyyNSC_4lessIyEEEEEE10hipError_tPvRmT0_T1_T2_T3_T4_T5_mmT6_P12ihipStream_tbEUlT_E_NS1_11comp_targetILNS1_3genE3ELNS1_11target_archE908ELNS1_3gpuE7ELNS1_3repE0EEENS1_30default_config_static_selectorELNS0_4arch9wavefront6targetE0EEEvS11_.num_vgpr, 0
	.set _ZN7rocprim17ROCPRIM_400000_NS6detail17trampoline_kernelINS0_14default_configENS1_21merge_config_selectorINS0_5tupleIJyyEEENS0_10empty_typeEEEZNS1_10merge_implIS3_NS0_12zip_iteratorINS5_IJN6thrust23THRUST_200600_302600_NS6detail15normal_iteratorINSC_10device_ptrIKyEEEESI_EEEEESK_NSA_INS5_IJNSC_16discard_iteratorINSC_11use_defaultEEESN_EEEEEPS7_SQ_SQ_NSC_11hip_rocprim7__merge17predicate_wrapperIyyNSC_4lessIyEEEEEE10hipError_tPvRmT0_T1_T2_T3_T4_T5_mmT6_P12ihipStream_tbEUlT_E_NS1_11comp_targetILNS1_3genE3ELNS1_11target_archE908ELNS1_3gpuE7ELNS1_3repE0EEENS1_30default_config_static_selectorELNS0_4arch9wavefront6targetE0EEEvS11_.num_agpr, 0
	.set _ZN7rocprim17ROCPRIM_400000_NS6detail17trampoline_kernelINS0_14default_configENS1_21merge_config_selectorINS0_5tupleIJyyEEENS0_10empty_typeEEEZNS1_10merge_implIS3_NS0_12zip_iteratorINS5_IJN6thrust23THRUST_200600_302600_NS6detail15normal_iteratorINSC_10device_ptrIKyEEEESI_EEEEESK_NSA_INS5_IJNSC_16discard_iteratorINSC_11use_defaultEEESN_EEEEEPS7_SQ_SQ_NSC_11hip_rocprim7__merge17predicate_wrapperIyyNSC_4lessIyEEEEEE10hipError_tPvRmT0_T1_T2_T3_T4_T5_mmT6_P12ihipStream_tbEUlT_E_NS1_11comp_targetILNS1_3genE3ELNS1_11target_archE908ELNS1_3gpuE7ELNS1_3repE0EEENS1_30default_config_static_selectorELNS0_4arch9wavefront6targetE0EEEvS11_.numbered_sgpr, 0
	.set _ZN7rocprim17ROCPRIM_400000_NS6detail17trampoline_kernelINS0_14default_configENS1_21merge_config_selectorINS0_5tupleIJyyEEENS0_10empty_typeEEEZNS1_10merge_implIS3_NS0_12zip_iteratorINS5_IJN6thrust23THRUST_200600_302600_NS6detail15normal_iteratorINSC_10device_ptrIKyEEEESI_EEEEESK_NSA_INS5_IJNSC_16discard_iteratorINSC_11use_defaultEEESN_EEEEEPS7_SQ_SQ_NSC_11hip_rocprim7__merge17predicate_wrapperIyyNSC_4lessIyEEEEEE10hipError_tPvRmT0_T1_T2_T3_T4_T5_mmT6_P12ihipStream_tbEUlT_E_NS1_11comp_targetILNS1_3genE3ELNS1_11target_archE908ELNS1_3gpuE7ELNS1_3repE0EEENS1_30default_config_static_selectorELNS0_4arch9wavefront6targetE0EEEvS11_.num_named_barrier, 0
	.set _ZN7rocprim17ROCPRIM_400000_NS6detail17trampoline_kernelINS0_14default_configENS1_21merge_config_selectorINS0_5tupleIJyyEEENS0_10empty_typeEEEZNS1_10merge_implIS3_NS0_12zip_iteratorINS5_IJN6thrust23THRUST_200600_302600_NS6detail15normal_iteratorINSC_10device_ptrIKyEEEESI_EEEEESK_NSA_INS5_IJNSC_16discard_iteratorINSC_11use_defaultEEESN_EEEEEPS7_SQ_SQ_NSC_11hip_rocprim7__merge17predicate_wrapperIyyNSC_4lessIyEEEEEE10hipError_tPvRmT0_T1_T2_T3_T4_T5_mmT6_P12ihipStream_tbEUlT_E_NS1_11comp_targetILNS1_3genE3ELNS1_11target_archE908ELNS1_3gpuE7ELNS1_3repE0EEENS1_30default_config_static_selectorELNS0_4arch9wavefront6targetE0EEEvS11_.private_seg_size, 0
	.set _ZN7rocprim17ROCPRIM_400000_NS6detail17trampoline_kernelINS0_14default_configENS1_21merge_config_selectorINS0_5tupleIJyyEEENS0_10empty_typeEEEZNS1_10merge_implIS3_NS0_12zip_iteratorINS5_IJN6thrust23THRUST_200600_302600_NS6detail15normal_iteratorINSC_10device_ptrIKyEEEESI_EEEEESK_NSA_INS5_IJNSC_16discard_iteratorINSC_11use_defaultEEESN_EEEEEPS7_SQ_SQ_NSC_11hip_rocprim7__merge17predicate_wrapperIyyNSC_4lessIyEEEEEE10hipError_tPvRmT0_T1_T2_T3_T4_T5_mmT6_P12ihipStream_tbEUlT_E_NS1_11comp_targetILNS1_3genE3ELNS1_11target_archE908ELNS1_3gpuE7ELNS1_3repE0EEENS1_30default_config_static_selectorELNS0_4arch9wavefront6targetE0EEEvS11_.uses_vcc, 0
	.set _ZN7rocprim17ROCPRIM_400000_NS6detail17trampoline_kernelINS0_14default_configENS1_21merge_config_selectorINS0_5tupleIJyyEEENS0_10empty_typeEEEZNS1_10merge_implIS3_NS0_12zip_iteratorINS5_IJN6thrust23THRUST_200600_302600_NS6detail15normal_iteratorINSC_10device_ptrIKyEEEESI_EEEEESK_NSA_INS5_IJNSC_16discard_iteratorINSC_11use_defaultEEESN_EEEEEPS7_SQ_SQ_NSC_11hip_rocprim7__merge17predicate_wrapperIyyNSC_4lessIyEEEEEE10hipError_tPvRmT0_T1_T2_T3_T4_T5_mmT6_P12ihipStream_tbEUlT_E_NS1_11comp_targetILNS1_3genE3ELNS1_11target_archE908ELNS1_3gpuE7ELNS1_3repE0EEENS1_30default_config_static_selectorELNS0_4arch9wavefront6targetE0EEEvS11_.uses_flat_scratch, 0
	.set _ZN7rocprim17ROCPRIM_400000_NS6detail17trampoline_kernelINS0_14default_configENS1_21merge_config_selectorINS0_5tupleIJyyEEENS0_10empty_typeEEEZNS1_10merge_implIS3_NS0_12zip_iteratorINS5_IJN6thrust23THRUST_200600_302600_NS6detail15normal_iteratorINSC_10device_ptrIKyEEEESI_EEEEESK_NSA_INS5_IJNSC_16discard_iteratorINSC_11use_defaultEEESN_EEEEEPS7_SQ_SQ_NSC_11hip_rocprim7__merge17predicate_wrapperIyyNSC_4lessIyEEEEEE10hipError_tPvRmT0_T1_T2_T3_T4_T5_mmT6_P12ihipStream_tbEUlT_E_NS1_11comp_targetILNS1_3genE3ELNS1_11target_archE908ELNS1_3gpuE7ELNS1_3repE0EEENS1_30default_config_static_selectorELNS0_4arch9wavefront6targetE0EEEvS11_.has_dyn_sized_stack, 0
	.set _ZN7rocprim17ROCPRIM_400000_NS6detail17trampoline_kernelINS0_14default_configENS1_21merge_config_selectorINS0_5tupleIJyyEEENS0_10empty_typeEEEZNS1_10merge_implIS3_NS0_12zip_iteratorINS5_IJN6thrust23THRUST_200600_302600_NS6detail15normal_iteratorINSC_10device_ptrIKyEEEESI_EEEEESK_NSA_INS5_IJNSC_16discard_iteratorINSC_11use_defaultEEESN_EEEEEPS7_SQ_SQ_NSC_11hip_rocprim7__merge17predicate_wrapperIyyNSC_4lessIyEEEEEE10hipError_tPvRmT0_T1_T2_T3_T4_T5_mmT6_P12ihipStream_tbEUlT_E_NS1_11comp_targetILNS1_3genE3ELNS1_11target_archE908ELNS1_3gpuE7ELNS1_3repE0EEENS1_30default_config_static_selectorELNS0_4arch9wavefront6targetE0EEEvS11_.has_recursion, 0
	.set _ZN7rocprim17ROCPRIM_400000_NS6detail17trampoline_kernelINS0_14default_configENS1_21merge_config_selectorINS0_5tupleIJyyEEENS0_10empty_typeEEEZNS1_10merge_implIS3_NS0_12zip_iteratorINS5_IJN6thrust23THRUST_200600_302600_NS6detail15normal_iteratorINSC_10device_ptrIKyEEEESI_EEEEESK_NSA_INS5_IJNSC_16discard_iteratorINSC_11use_defaultEEESN_EEEEEPS7_SQ_SQ_NSC_11hip_rocprim7__merge17predicate_wrapperIyyNSC_4lessIyEEEEEE10hipError_tPvRmT0_T1_T2_T3_T4_T5_mmT6_P12ihipStream_tbEUlT_E_NS1_11comp_targetILNS1_3genE3ELNS1_11target_archE908ELNS1_3gpuE7ELNS1_3repE0EEENS1_30default_config_static_selectorELNS0_4arch9wavefront6targetE0EEEvS11_.has_indirect_call, 0
	.section	.AMDGPU.csdata,"",@progbits
; Kernel info:
; codeLenInByte = 0
; TotalNumSgprs: 0
; NumVgprs: 0
; ScratchSize: 0
; MemoryBound: 0
; FloatMode: 240
; IeeeMode: 1
; LDSByteSize: 0 bytes/workgroup (compile time only)
; SGPRBlocks: 0
; VGPRBlocks: 0
; NumSGPRsForWavesPerEU: 1
; NumVGPRsForWavesPerEU: 1
; NamedBarCnt: 0
; Occupancy: 16
; WaveLimiterHint : 0
; COMPUTE_PGM_RSRC2:SCRATCH_EN: 0
; COMPUTE_PGM_RSRC2:USER_SGPR: 2
; COMPUTE_PGM_RSRC2:TRAP_HANDLER: 0
; COMPUTE_PGM_RSRC2:TGID_X_EN: 1
; COMPUTE_PGM_RSRC2:TGID_Y_EN: 0
; COMPUTE_PGM_RSRC2:TGID_Z_EN: 0
; COMPUTE_PGM_RSRC2:TIDIG_COMP_CNT: 0
	.section	.text._ZN7rocprim17ROCPRIM_400000_NS6detail17trampoline_kernelINS0_14default_configENS1_21merge_config_selectorINS0_5tupleIJyyEEENS0_10empty_typeEEEZNS1_10merge_implIS3_NS0_12zip_iteratorINS5_IJN6thrust23THRUST_200600_302600_NS6detail15normal_iteratorINSC_10device_ptrIKyEEEESI_EEEEESK_NSA_INS5_IJNSC_16discard_iteratorINSC_11use_defaultEEESN_EEEEEPS7_SQ_SQ_NSC_11hip_rocprim7__merge17predicate_wrapperIyyNSC_4lessIyEEEEEE10hipError_tPvRmT0_T1_T2_T3_T4_T5_mmT6_P12ihipStream_tbEUlT_E_NS1_11comp_targetILNS1_3genE2ELNS1_11target_archE906ELNS1_3gpuE6ELNS1_3repE0EEENS1_30default_config_static_selectorELNS0_4arch9wavefront6targetE0EEEvS11_,"axG",@progbits,_ZN7rocprim17ROCPRIM_400000_NS6detail17trampoline_kernelINS0_14default_configENS1_21merge_config_selectorINS0_5tupleIJyyEEENS0_10empty_typeEEEZNS1_10merge_implIS3_NS0_12zip_iteratorINS5_IJN6thrust23THRUST_200600_302600_NS6detail15normal_iteratorINSC_10device_ptrIKyEEEESI_EEEEESK_NSA_INS5_IJNSC_16discard_iteratorINSC_11use_defaultEEESN_EEEEEPS7_SQ_SQ_NSC_11hip_rocprim7__merge17predicate_wrapperIyyNSC_4lessIyEEEEEE10hipError_tPvRmT0_T1_T2_T3_T4_T5_mmT6_P12ihipStream_tbEUlT_E_NS1_11comp_targetILNS1_3genE2ELNS1_11target_archE906ELNS1_3gpuE6ELNS1_3repE0EEENS1_30default_config_static_selectorELNS0_4arch9wavefront6targetE0EEEvS11_,comdat
	.protected	_ZN7rocprim17ROCPRIM_400000_NS6detail17trampoline_kernelINS0_14default_configENS1_21merge_config_selectorINS0_5tupleIJyyEEENS0_10empty_typeEEEZNS1_10merge_implIS3_NS0_12zip_iteratorINS5_IJN6thrust23THRUST_200600_302600_NS6detail15normal_iteratorINSC_10device_ptrIKyEEEESI_EEEEESK_NSA_INS5_IJNSC_16discard_iteratorINSC_11use_defaultEEESN_EEEEEPS7_SQ_SQ_NSC_11hip_rocprim7__merge17predicate_wrapperIyyNSC_4lessIyEEEEEE10hipError_tPvRmT0_T1_T2_T3_T4_T5_mmT6_P12ihipStream_tbEUlT_E_NS1_11comp_targetILNS1_3genE2ELNS1_11target_archE906ELNS1_3gpuE6ELNS1_3repE0EEENS1_30default_config_static_selectorELNS0_4arch9wavefront6targetE0EEEvS11_ ; -- Begin function _ZN7rocprim17ROCPRIM_400000_NS6detail17trampoline_kernelINS0_14default_configENS1_21merge_config_selectorINS0_5tupleIJyyEEENS0_10empty_typeEEEZNS1_10merge_implIS3_NS0_12zip_iteratorINS5_IJN6thrust23THRUST_200600_302600_NS6detail15normal_iteratorINSC_10device_ptrIKyEEEESI_EEEEESK_NSA_INS5_IJNSC_16discard_iteratorINSC_11use_defaultEEESN_EEEEEPS7_SQ_SQ_NSC_11hip_rocprim7__merge17predicate_wrapperIyyNSC_4lessIyEEEEEE10hipError_tPvRmT0_T1_T2_T3_T4_T5_mmT6_P12ihipStream_tbEUlT_E_NS1_11comp_targetILNS1_3genE2ELNS1_11target_archE906ELNS1_3gpuE6ELNS1_3repE0EEENS1_30default_config_static_selectorELNS0_4arch9wavefront6targetE0EEEvS11_
	.globl	_ZN7rocprim17ROCPRIM_400000_NS6detail17trampoline_kernelINS0_14default_configENS1_21merge_config_selectorINS0_5tupleIJyyEEENS0_10empty_typeEEEZNS1_10merge_implIS3_NS0_12zip_iteratorINS5_IJN6thrust23THRUST_200600_302600_NS6detail15normal_iteratorINSC_10device_ptrIKyEEEESI_EEEEESK_NSA_INS5_IJNSC_16discard_iteratorINSC_11use_defaultEEESN_EEEEEPS7_SQ_SQ_NSC_11hip_rocprim7__merge17predicate_wrapperIyyNSC_4lessIyEEEEEE10hipError_tPvRmT0_T1_T2_T3_T4_T5_mmT6_P12ihipStream_tbEUlT_E_NS1_11comp_targetILNS1_3genE2ELNS1_11target_archE906ELNS1_3gpuE6ELNS1_3repE0EEENS1_30default_config_static_selectorELNS0_4arch9wavefront6targetE0EEEvS11_
	.p2align	8
	.type	_ZN7rocprim17ROCPRIM_400000_NS6detail17trampoline_kernelINS0_14default_configENS1_21merge_config_selectorINS0_5tupleIJyyEEENS0_10empty_typeEEEZNS1_10merge_implIS3_NS0_12zip_iteratorINS5_IJN6thrust23THRUST_200600_302600_NS6detail15normal_iteratorINSC_10device_ptrIKyEEEESI_EEEEESK_NSA_INS5_IJNSC_16discard_iteratorINSC_11use_defaultEEESN_EEEEEPS7_SQ_SQ_NSC_11hip_rocprim7__merge17predicate_wrapperIyyNSC_4lessIyEEEEEE10hipError_tPvRmT0_T1_T2_T3_T4_T5_mmT6_P12ihipStream_tbEUlT_E_NS1_11comp_targetILNS1_3genE2ELNS1_11target_archE906ELNS1_3gpuE6ELNS1_3repE0EEENS1_30default_config_static_selectorELNS0_4arch9wavefront6targetE0EEEvS11_,@function
_ZN7rocprim17ROCPRIM_400000_NS6detail17trampoline_kernelINS0_14default_configENS1_21merge_config_selectorINS0_5tupleIJyyEEENS0_10empty_typeEEEZNS1_10merge_implIS3_NS0_12zip_iteratorINS5_IJN6thrust23THRUST_200600_302600_NS6detail15normal_iteratorINSC_10device_ptrIKyEEEESI_EEEEESK_NSA_INS5_IJNSC_16discard_iteratorINSC_11use_defaultEEESN_EEEEEPS7_SQ_SQ_NSC_11hip_rocprim7__merge17predicate_wrapperIyyNSC_4lessIyEEEEEE10hipError_tPvRmT0_T1_T2_T3_T4_T5_mmT6_P12ihipStream_tbEUlT_E_NS1_11comp_targetILNS1_3genE2ELNS1_11target_archE906ELNS1_3gpuE6ELNS1_3repE0EEENS1_30default_config_static_selectorELNS0_4arch9wavefront6targetE0EEEvS11_: ; @_ZN7rocprim17ROCPRIM_400000_NS6detail17trampoline_kernelINS0_14default_configENS1_21merge_config_selectorINS0_5tupleIJyyEEENS0_10empty_typeEEEZNS1_10merge_implIS3_NS0_12zip_iteratorINS5_IJN6thrust23THRUST_200600_302600_NS6detail15normal_iteratorINSC_10device_ptrIKyEEEESI_EEEEESK_NSA_INS5_IJNSC_16discard_iteratorINSC_11use_defaultEEESN_EEEEEPS7_SQ_SQ_NSC_11hip_rocprim7__merge17predicate_wrapperIyyNSC_4lessIyEEEEEE10hipError_tPvRmT0_T1_T2_T3_T4_T5_mmT6_P12ihipStream_tbEUlT_E_NS1_11comp_targetILNS1_3genE2ELNS1_11target_archE906ELNS1_3gpuE6ELNS1_3repE0EEENS1_30default_config_static_selectorELNS0_4arch9wavefront6targetE0EEEvS11_
; %bb.0:
	.section	.rodata,"a",@progbits
	.p2align	6, 0x0
	.amdhsa_kernel _ZN7rocprim17ROCPRIM_400000_NS6detail17trampoline_kernelINS0_14default_configENS1_21merge_config_selectorINS0_5tupleIJyyEEENS0_10empty_typeEEEZNS1_10merge_implIS3_NS0_12zip_iteratorINS5_IJN6thrust23THRUST_200600_302600_NS6detail15normal_iteratorINSC_10device_ptrIKyEEEESI_EEEEESK_NSA_INS5_IJNSC_16discard_iteratorINSC_11use_defaultEEESN_EEEEEPS7_SQ_SQ_NSC_11hip_rocprim7__merge17predicate_wrapperIyyNSC_4lessIyEEEEEE10hipError_tPvRmT0_T1_T2_T3_T4_T5_mmT6_P12ihipStream_tbEUlT_E_NS1_11comp_targetILNS1_3genE2ELNS1_11target_archE906ELNS1_3gpuE6ELNS1_3repE0EEENS1_30default_config_static_selectorELNS0_4arch9wavefront6targetE0EEEvS11_
		.amdhsa_group_segment_fixed_size 0
		.amdhsa_private_segment_fixed_size 0
		.amdhsa_kernarg_size 64
		.amdhsa_user_sgpr_count 2
		.amdhsa_user_sgpr_dispatch_ptr 0
		.amdhsa_user_sgpr_queue_ptr 0
		.amdhsa_user_sgpr_kernarg_segment_ptr 1
		.amdhsa_user_sgpr_dispatch_id 0
		.amdhsa_user_sgpr_kernarg_preload_length 0
		.amdhsa_user_sgpr_kernarg_preload_offset 0
		.amdhsa_user_sgpr_private_segment_size 0
		.amdhsa_wavefront_size32 1
		.amdhsa_uses_dynamic_stack 0
		.amdhsa_enable_private_segment 0
		.amdhsa_system_sgpr_workgroup_id_x 1
		.amdhsa_system_sgpr_workgroup_id_y 0
		.amdhsa_system_sgpr_workgroup_id_z 0
		.amdhsa_system_sgpr_workgroup_info 0
		.amdhsa_system_vgpr_workitem_id 0
		.amdhsa_next_free_vgpr 1
		.amdhsa_next_free_sgpr 1
		.amdhsa_named_barrier_count 0
		.amdhsa_reserve_vcc 0
		.amdhsa_float_round_mode_32 0
		.amdhsa_float_round_mode_16_64 0
		.amdhsa_float_denorm_mode_32 3
		.amdhsa_float_denorm_mode_16_64 3
		.amdhsa_fp16_overflow 0
		.amdhsa_memory_ordered 1
		.amdhsa_forward_progress 1
		.amdhsa_inst_pref_size 0
		.amdhsa_round_robin_scheduling 0
		.amdhsa_exception_fp_ieee_invalid_op 0
		.amdhsa_exception_fp_denorm_src 0
		.amdhsa_exception_fp_ieee_div_zero 0
		.amdhsa_exception_fp_ieee_overflow 0
		.amdhsa_exception_fp_ieee_underflow 0
		.amdhsa_exception_fp_ieee_inexact 0
		.amdhsa_exception_int_div_zero 0
	.end_amdhsa_kernel
	.section	.text._ZN7rocprim17ROCPRIM_400000_NS6detail17trampoline_kernelINS0_14default_configENS1_21merge_config_selectorINS0_5tupleIJyyEEENS0_10empty_typeEEEZNS1_10merge_implIS3_NS0_12zip_iteratorINS5_IJN6thrust23THRUST_200600_302600_NS6detail15normal_iteratorINSC_10device_ptrIKyEEEESI_EEEEESK_NSA_INS5_IJNSC_16discard_iteratorINSC_11use_defaultEEESN_EEEEEPS7_SQ_SQ_NSC_11hip_rocprim7__merge17predicate_wrapperIyyNSC_4lessIyEEEEEE10hipError_tPvRmT0_T1_T2_T3_T4_T5_mmT6_P12ihipStream_tbEUlT_E_NS1_11comp_targetILNS1_3genE2ELNS1_11target_archE906ELNS1_3gpuE6ELNS1_3repE0EEENS1_30default_config_static_selectorELNS0_4arch9wavefront6targetE0EEEvS11_,"axG",@progbits,_ZN7rocprim17ROCPRIM_400000_NS6detail17trampoline_kernelINS0_14default_configENS1_21merge_config_selectorINS0_5tupleIJyyEEENS0_10empty_typeEEEZNS1_10merge_implIS3_NS0_12zip_iteratorINS5_IJN6thrust23THRUST_200600_302600_NS6detail15normal_iteratorINSC_10device_ptrIKyEEEESI_EEEEESK_NSA_INS5_IJNSC_16discard_iteratorINSC_11use_defaultEEESN_EEEEEPS7_SQ_SQ_NSC_11hip_rocprim7__merge17predicate_wrapperIyyNSC_4lessIyEEEEEE10hipError_tPvRmT0_T1_T2_T3_T4_T5_mmT6_P12ihipStream_tbEUlT_E_NS1_11comp_targetILNS1_3genE2ELNS1_11target_archE906ELNS1_3gpuE6ELNS1_3repE0EEENS1_30default_config_static_selectorELNS0_4arch9wavefront6targetE0EEEvS11_,comdat
.Lfunc_end519:
	.size	_ZN7rocprim17ROCPRIM_400000_NS6detail17trampoline_kernelINS0_14default_configENS1_21merge_config_selectorINS0_5tupleIJyyEEENS0_10empty_typeEEEZNS1_10merge_implIS3_NS0_12zip_iteratorINS5_IJN6thrust23THRUST_200600_302600_NS6detail15normal_iteratorINSC_10device_ptrIKyEEEESI_EEEEESK_NSA_INS5_IJNSC_16discard_iteratorINSC_11use_defaultEEESN_EEEEEPS7_SQ_SQ_NSC_11hip_rocprim7__merge17predicate_wrapperIyyNSC_4lessIyEEEEEE10hipError_tPvRmT0_T1_T2_T3_T4_T5_mmT6_P12ihipStream_tbEUlT_E_NS1_11comp_targetILNS1_3genE2ELNS1_11target_archE906ELNS1_3gpuE6ELNS1_3repE0EEENS1_30default_config_static_selectorELNS0_4arch9wavefront6targetE0EEEvS11_, .Lfunc_end519-_ZN7rocprim17ROCPRIM_400000_NS6detail17trampoline_kernelINS0_14default_configENS1_21merge_config_selectorINS0_5tupleIJyyEEENS0_10empty_typeEEEZNS1_10merge_implIS3_NS0_12zip_iteratorINS5_IJN6thrust23THRUST_200600_302600_NS6detail15normal_iteratorINSC_10device_ptrIKyEEEESI_EEEEESK_NSA_INS5_IJNSC_16discard_iteratorINSC_11use_defaultEEESN_EEEEEPS7_SQ_SQ_NSC_11hip_rocprim7__merge17predicate_wrapperIyyNSC_4lessIyEEEEEE10hipError_tPvRmT0_T1_T2_T3_T4_T5_mmT6_P12ihipStream_tbEUlT_E_NS1_11comp_targetILNS1_3genE2ELNS1_11target_archE906ELNS1_3gpuE6ELNS1_3repE0EEENS1_30default_config_static_selectorELNS0_4arch9wavefront6targetE0EEEvS11_
                                        ; -- End function
	.set _ZN7rocprim17ROCPRIM_400000_NS6detail17trampoline_kernelINS0_14default_configENS1_21merge_config_selectorINS0_5tupleIJyyEEENS0_10empty_typeEEEZNS1_10merge_implIS3_NS0_12zip_iteratorINS5_IJN6thrust23THRUST_200600_302600_NS6detail15normal_iteratorINSC_10device_ptrIKyEEEESI_EEEEESK_NSA_INS5_IJNSC_16discard_iteratorINSC_11use_defaultEEESN_EEEEEPS7_SQ_SQ_NSC_11hip_rocprim7__merge17predicate_wrapperIyyNSC_4lessIyEEEEEE10hipError_tPvRmT0_T1_T2_T3_T4_T5_mmT6_P12ihipStream_tbEUlT_E_NS1_11comp_targetILNS1_3genE2ELNS1_11target_archE906ELNS1_3gpuE6ELNS1_3repE0EEENS1_30default_config_static_selectorELNS0_4arch9wavefront6targetE0EEEvS11_.num_vgpr, 0
	.set _ZN7rocprim17ROCPRIM_400000_NS6detail17trampoline_kernelINS0_14default_configENS1_21merge_config_selectorINS0_5tupleIJyyEEENS0_10empty_typeEEEZNS1_10merge_implIS3_NS0_12zip_iteratorINS5_IJN6thrust23THRUST_200600_302600_NS6detail15normal_iteratorINSC_10device_ptrIKyEEEESI_EEEEESK_NSA_INS5_IJNSC_16discard_iteratorINSC_11use_defaultEEESN_EEEEEPS7_SQ_SQ_NSC_11hip_rocprim7__merge17predicate_wrapperIyyNSC_4lessIyEEEEEE10hipError_tPvRmT0_T1_T2_T3_T4_T5_mmT6_P12ihipStream_tbEUlT_E_NS1_11comp_targetILNS1_3genE2ELNS1_11target_archE906ELNS1_3gpuE6ELNS1_3repE0EEENS1_30default_config_static_selectorELNS0_4arch9wavefront6targetE0EEEvS11_.num_agpr, 0
	.set _ZN7rocprim17ROCPRIM_400000_NS6detail17trampoline_kernelINS0_14default_configENS1_21merge_config_selectorINS0_5tupleIJyyEEENS0_10empty_typeEEEZNS1_10merge_implIS3_NS0_12zip_iteratorINS5_IJN6thrust23THRUST_200600_302600_NS6detail15normal_iteratorINSC_10device_ptrIKyEEEESI_EEEEESK_NSA_INS5_IJNSC_16discard_iteratorINSC_11use_defaultEEESN_EEEEEPS7_SQ_SQ_NSC_11hip_rocprim7__merge17predicate_wrapperIyyNSC_4lessIyEEEEEE10hipError_tPvRmT0_T1_T2_T3_T4_T5_mmT6_P12ihipStream_tbEUlT_E_NS1_11comp_targetILNS1_3genE2ELNS1_11target_archE906ELNS1_3gpuE6ELNS1_3repE0EEENS1_30default_config_static_selectorELNS0_4arch9wavefront6targetE0EEEvS11_.numbered_sgpr, 0
	.set _ZN7rocprim17ROCPRIM_400000_NS6detail17trampoline_kernelINS0_14default_configENS1_21merge_config_selectorINS0_5tupleIJyyEEENS0_10empty_typeEEEZNS1_10merge_implIS3_NS0_12zip_iteratorINS5_IJN6thrust23THRUST_200600_302600_NS6detail15normal_iteratorINSC_10device_ptrIKyEEEESI_EEEEESK_NSA_INS5_IJNSC_16discard_iteratorINSC_11use_defaultEEESN_EEEEEPS7_SQ_SQ_NSC_11hip_rocprim7__merge17predicate_wrapperIyyNSC_4lessIyEEEEEE10hipError_tPvRmT0_T1_T2_T3_T4_T5_mmT6_P12ihipStream_tbEUlT_E_NS1_11comp_targetILNS1_3genE2ELNS1_11target_archE906ELNS1_3gpuE6ELNS1_3repE0EEENS1_30default_config_static_selectorELNS0_4arch9wavefront6targetE0EEEvS11_.num_named_barrier, 0
	.set _ZN7rocprim17ROCPRIM_400000_NS6detail17trampoline_kernelINS0_14default_configENS1_21merge_config_selectorINS0_5tupleIJyyEEENS0_10empty_typeEEEZNS1_10merge_implIS3_NS0_12zip_iteratorINS5_IJN6thrust23THRUST_200600_302600_NS6detail15normal_iteratorINSC_10device_ptrIKyEEEESI_EEEEESK_NSA_INS5_IJNSC_16discard_iteratorINSC_11use_defaultEEESN_EEEEEPS7_SQ_SQ_NSC_11hip_rocprim7__merge17predicate_wrapperIyyNSC_4lessIyEEEEEE10hipError_tPvRmT0_T1_T2_T3_T4_T5_mmT6_P12ihipStream_tbEUlT_E_NS1_11comp_targetILNS1_3genE2ELNS1_11target_archE906ELNS1_3gpuE6ELNS1_3repE0EEENS1_30default_config_static_selectorELNS0_4arch9wavefront6targetE0EEEvS11_.private_seg_size, 0
	.set _ZN7rocprim17ROCPRIM_400000_NS6detail17trampoline_kernelINS0_14default_configENS1_21merge_config_selectorINS0_5tupleIJyyEEENS0_10empty_typeEEEZNS1_10merge_implIS3_NS0_12zip_iteratorINS5_IJN6thrust23THRUST_200600_302600_NS6detail15normal_iteratorINSC_10device_ptrIKyEEEESI_EEEEESK_NSA_INS5_IJNSC_16discard_iteratorINSC_11use_defaultEEESN_EEEEEPS7_SQ_SQ_NSC_11hip_rocprim7__merge17predicate_wrapperIyyNSC_4lessIyEEEEEE10hipError_tPvRmT0_T1_T2_T3_T4_T5_mmT6_P12ihipStream_tbEUlT_E_NS1_11comp_targetILNS1_3genE2ELNS1_11target_archE906ELNS1_3gpuE6ELNS1_3repE0EEENS1_30default_config_static_selectorELNS0_4arch9wavefront6targetE0EEEvS11_.uses_vcc, 0
	.set _ZN7rocprim17ROCPRIM_400000_NS6detail17trampoline_kernelINS0_14default_configENS1_21merge_config_selectorINS0_5tupleIJyyEEENS0_10empty_typeEEEZNS1_10merge_implIS3_NS0_12zip_iteratorINS5_IJN6thrust23THRUST_200600_302600_NS6detail15normal_iteratorINSC_10device_ptrIKyEEEESI_EEEEESK_NSA_INS5_IJNSC_16discard_iteratorINSC_11use_defaultEEESN_EEEEEPS7_SQ_SQ_NSC_11hip_rocprim7__merge17predicate_wrapperIyyNSC_4lessIyEEEEEE10hipError_tPvRmT0_T1_T2_T3_T4_T5_mmT6_P12ihipStream_tbEUlT_E_NS1_11comp_targetILNS1_3genE2ELNS1_11target_archE906ELNS1_3gpuE6ELNS1_3repE0EEENS1_30default_config_static_selectorELNS0_4arch9wavefront6targetE0EEEvS11_.uses_flat_scratch, 0
	.set _ZN7rocprim17ROCPRIM_400000_NS6detail17trampoline_kernelINS0_14default_configENS1_21merge_config_selectorINS0_5tupleIJyyEEENS0_10empty_typeEEEZNS1_10merge_implIS3_NS0_12zip_iteratorINS5_IJN6thrust23THRUST_200600_302600_NS6detail15normal_iteratorINSC_10device_ptrIKyEEEESI_EEEEESK_NSA_INS5_IJNSC_16discard_iteratorINSC_11use_defaultEEESN_EEEEEPS7_SQ_SQ_NSC_11hip_rocprim7__merge17predicate_wrapperIyyNSC_4lessIyEEEEEE10hipError_tPvRmT0_T1_T2_T3_T4_T5_mmT6_P12ihipStream_tbEUlT_E_NS1_11comp_targetILNS1_3genE2ELNS1_11target_archE906ELNS1_3gpuE6ELNS1_3repE0EEENS1_30default_config_static_selectorELNS0_4arch9wavefront6targetE0EEEvS11_.has_dyn_sized_stack, 0
	.set _ZN7rocprim17ROCPRIM_400000_NS6detail17trampoline_kernelINS0_14default_configENS1_21merge_config_selectorINS0_5tupleIJyyEEENS0_10empty_typeEEEZNS1_10merge_implIS3_NS0_12zip_iteratorINS5_IJN6thrust23THRUST_200600_302600_NS6detail15normal_iteratorINSC_10device_ptrIKyEEEESI_EEEEESK_NSA_INS5_IJNSC_16discard_iteratorINSC_11use_defaultEEESN_EEEEEPS7_SQ_SQ_NSC_11hip_rocprim7__merge17predicate_wrapperIyyNSC_4lessIyEEEEEE10hipError_tPvRmT0_T1_T2_T3_T4_T5_mmT6_P12ihipStream_tbEUlT_E_NS1_11comp_targetILNS1_3genE2ELNS1_11target_archE906ELNS1_3gpuE6ELNS1_3repE0EEENS1_30default_config_static_selectorELNS0_4arch9wavefront6targetE0EEEvS11_.has_recursion, 0
	.set _ZN7rocprim17ROCPRIM_400000_NS6detail17trampoline_kernelINS0_14default_configENS1_21merge_config_selectorINS0_5tupleIJyyEEENS0_10empty_typeEEEZNS1_10merge_implIS3_NS0_12zip_iteratorINS5_IJN6thrust23THRUST_200600_302600_NS6detail15normal_iteratorINSC_10device_ptrIKyEEEESI_EEEEESK_NSA_INS5_IJNSC_16discard_iteratorINSC_11use_defaultEEESN_EEEEEPS7_SQ_SQ_NSC_11hip_rocprim7__merge17predicate_wrapperIyyNSC_4lessIyEEEEEE10hipError_tPvRmT0_T1_T2_T3_T4_T5_mmT6_P12ihipStream_tbEUlT_E_NS1_11comp_targetILNS1_3genE2ELNS1_11target_archE906ELNS1_3gpuE6ELNS1_3repE0EEENS1_30default_config_static_selectorELNS0_4arch9wavefront6targetE0EEEvS11_.has_indirect_call, 0
	.section	.AMDGPU.csdata,"",@progbits
; Kernel info:
; codeLenInByte = 0
; TotalNumSgprs: 0
; NumVgprs: 0
; ScratchSize: 0
; MemoryBound: 0
; FloatMode: 240
; IeeeMode: 1
; LDSByteSize: 0 bytes/workgroup (compile time only)
; SGPRBlocks: 0
; VGPRBlocks: 0
; NumSGPRsForWavesPerEU: 1
; NumVGPRsForWavesPerEU: 1
; NamedBarCnt: 0
; Occupancy: 16
; WaveLimiterHint : 0
; COMPUTE_PGM_RSRC2:SCRATCH_EN: 0
; COMPUTE_PGM_RSRC2:USER_SGPR: 2
; COMPUTE_PGM_RSRC2:TRAP_HANDLER: 0
; COMPUTE_PGM_RSRC2:TGID_X_EN: 1
; COMPUTE_PGM_RSRC2:TGID_Y_EN: 0
; COMPUTE_PGM_RSRC2:TGID_Z_EN: 0
; COMPUTE_PGM_RSRC2:TIDIG_COMP_CNT: 0
	.section	.text._ZN7rocprim17ROCPRIM_400000_NS6detail17trampoline_kernelINS0_14default_configENS1_21merge_config_selectorINS0_5tupleIJyyEEENS0_10empty_typeEEEZNS1_10merge_implIS3_NS0_12zip_iteratorINS5_IJN6thrust23THRUST_200600_302600_NS6detail15normal_iteratorINSC_10device_ptrIKyEEEESI_EEEEESK_NSA_INS5_IJNSC_16discard_iteratorINSC_11use_defaultEEESN_EEEEEPS7_SQ_SQ_NSC_11hip_rocprim7__merge17predicate_wrapperIyyNSC_4lessIyEEEEEE10hipError_tPvRmT0_T1_T2_T3_T4_T5_mmT6_P12ihipStream_tbEUlT_E_NS1_11comp_targetILNS1_3genE10ELNS1_11target_archE1201ELNS1_3gpuE5ELNS1_3repE0EEENS1_30default_config_static_selectorELNS0_4arch9wavefront6targetE0EEEvS11_,"axG",@progbits,_ZN7rocprim17ROCPRIM_400000_NS6detail17trampoline_kernelINS0_14default_configENS1_21merge_config_selectorINS0_5tupleIJyyEEENS0_10empty_typeEEEZNS1_10merge_implIS3_NS0_12zip_iteratorINS5_IJN6thrust23THRUST_200600_302600_NS6detail15normal_iteratorINSC_10device_ptrIKyEEEESI_EEEEESK_NSA_INS5_IJNSC_16discard_iteratorINSC_11use_defaultEEESN_EEEEEPS7_SQ_SQ_NSC_11hip_rocprim7__merge17predicate_wrapperIyyNSC_4lessIyEEEEEE10hipError_tPvRmT0_T1_T2_T3_T4_T5_mmT6_P12ihipStream_tbEUlT_E_NS1_11comp_targetILNS1_3genE10ELNS1_11target_archE1201ELNS1_3gpuE5ELNS1_3repE0EEENS1_30default_config_static_selectorELNS0_4arch9wavefront6targetE0EEEvS11_,comdat
	.protected	_ZN7rocprim17ROCPRIM_400000_NS6detail17trampoline_kernelINS0_14default_configENS1_21merge_config_selectorINS0_5tupleIJyyEEENS0_10empty_typeEEEZNS1_10merge_implIS3_NS0_12zip_iteratorINS5_IJN6thrust23THRUST_200600_302600_NS6detail15normal_iteratorINSC_10device_ptrIKyEEEESI_EEEEESK_NSA_INS5_IJNSC_16discard_iteratorINSC_11use_defaultEEESN_EEEEEPS7_SQ_SQ_NSC_11hip_rocprim7__merge17predicate_wrapperIyyNSC_4lessIyEEEEEE10hipError_tPvRmT0_T1_T2_T3_T4_T5_mmT6_P12ihipStream_tbEUlT_E_NS1_11comp_targetILNS1_3genE10ELNS1_11target_archE1201ELNS1_3gpuE5ELNS1_3repE0EEENS1_30default_config_static_selectorELNS0_4arch9wavefront6targetE0EEEvS11_ ; -- Begin function _ZN7rocprim17ROCPRIM_400000_NS6detail17trampoline_kernelINS0_14default_configENS1_21merge_config_selectorINS0_5tupleIJyyEEENS0_10empty_typeEEEZNS1_10merge_implIS3_NS0_12zip_iteratorINS5_IJN6thrust23THRUST_200600_302600_NS6detail15normal_iteratorINSC_10device_ptrIKyEEEESI_EEEEESK_NSA_INS5_IJNSC_16discard_iteratorINSC_11use_defaultEEESN_EEEEEPS7_SQ_SQ_NSC_11hip_rocprim7__merge17predicate_wrapperIyyNSC_4lessIyEEEEEE10hipError_tPvRmT0_T1_T2_T3_T4_T5_mmT6_P12ihipStream_tbEUlT_E_NS1_11comp_targetILNS1_3genE10ELNS1_11target_archE1201ELNS1_3gpuE5ELNS1_3repE0EEENS1_30default_config_static_selectorELNS0_4arch9wavefront6targetE0EEEvS11_
	.globl	_ZN7rocprim17ROCPRIM_400000_NS6detail17trampoline_kernelINS0_14default_configENS1_21merge_config_selectorINS0_5tupleIJyyEEENS0_10empty_typeEEEZNS1_10merge_implIS3_NS0_12zip_iteratorINS5_IJN6thrust23THRUST_200600_302600_NS6detail15normal_iteratorINSC_10device_ptrIKyEEEESI_EEEEESK_NSA_INS5_IJNSC_16discard_iteratorINSC_11use_defaultEEESN_EEEEEPS7_SQ_SQ_NSC_11hip_rocprim7__merge17predicate_wrapperIyyNSC_4lessIyEEEEEE10hipError_tPvRmT0_T1_T2_T3_T4_T5_mmT6_P12ihipStream_tbEUlT_E_NS1_11comp_targetILNS1_3genE10ELNS1_11target_archE1201ELNS1_3gpuE5ELNS1_3repE0EEENS1_30default_config_static_selectorELNS0_4arch9wavefront6targetE0EEEvS11_
	.p2align	8
	.type	_ZN7rocprim17ROCPRIM_400000_NS6detail17trampoline_kernelINS0_14default_configENS1_21merge_config_selectorINS0_5tupleIJyyEEENS0_10empty_typeEEEZNS1_10merge_implIS3_NS0_12zip_iteratorINS5_IJN6thrust23THRUST_200600_302600_NS6detail15normal_iteratorINSC_10device_ptrIKyEEEESI_EEEEESK_NSA_INS5_IJNSC_16discard_iteratorINSC_11use_defaultEEESN_EEEEEPS7_SQ_SQ_NSC_11hip_rocprim7__merge17predicate_wrapperIyyNSC_4lessIyEEEEEE10hipError_tPvRmT0_T1_T2_T3_T4_T5_mmT6_P12ihipStream_tbEUlT_E_NS1_11comp_targetILNS1_3genE10ELNS1_11target_archE1201ELNS1_3gpuE5ELNS1_3repE0EEENS1_30default_config_static_selectorELNS0_4arch9wavefront6targetE0EEEvS11_,@function
_ZN7rocprim17ROCPRIM_400000_NS6detail17trampoline_kernelINS0_14default_configENS1_21merge_config_selectorINS0_5tupleIJyyEEENS0_10empty_typeEEEZNS1_10merge_implIS3_NS0_12zip_iteratorINS5_IJN6thrust23THRUST_200600_302600_NS6detail15normal_iteratorINSC_10device_ptrIKyEEEESI_EEEEESK_NSA_INS5_IJNSC_16discard_iteratorINSC_11use_defaultEEESN_EEEEEPS7_SQ_SQ_NSC_11hip_rocprim7__merge17predicate_wrapperIyyNSC_4lessIyEEEEEE10hipError_tPvRmT0_T1_T2_T3_T4_T5_mmT6_P12ihipStream_tbEUlT_E_NS1_11comp_targetILNS1_3genE10ELNS1_11target_archE1201ELNS1_3gpuE5ELNS1_3repE0EEENS1_30default_config_static_selectorELNS0_4arch9wavefront6targetE0EEEvS11_: ; @_ZN7rocprim17ROCPRIM_400000_NS6detail17trampoline_kernelINS0_14default_configENS1_21merge_config_selectorINS0_5tupleIJyyEEENS0_10empty_typeEEEZNS1_10merge_implIS3_NS0_12zip_iteratorINS5_IJN6thrust23THRUST_200600_302600_NS6detail15normal_iteratorINSC_10device_ptrIKyEEEESI_EEEEESK_NSA_INS5_IJNSC_16discard_iteratorINSC_11use_defaultEEESN_EEEEEPS7_SQ_SQ_NSC_11hip_rocprim7__merge17predicate_wrapperIyyNSC_4lessIyEEEEEE10hipError_tPvRmT0_T1_T2_T3_T4_T5_mmT6_P12ihipStream_tbEUlT_E_NS1_11comp_targetILNS1_3genE10ELNS1_11target_archE1201ELNS1_3gpuE5ELNS1_3repE0EEENS1_30default_config_static_selectorELNS0_4arch9wavefront6targetE0EEEvS11_
; %bb.0:
	.section	.rodata,"a",@progbits
	.p2align	6, 0x0
	.amdhsa_kernel _ZN7rocprim17ROCPRIM_400000_NS6detail17trampoline_kernelINS0_14default_configENS1_21merge_config_selectorINS0_5tupleIJyyEEENS0_10empty_typeEEEZNS1_10merge_implIS3_NS0_12zip_iteratorINS5_IJN6thrust23THRUST_200600_302600_NS6detail15normal_iteratorINSC_10device_ptrIKyEEEESI_EEEEESK_NSA_INS5_IJNSC_16discard_iteratorINSC_11use_defaultEEESN_EEEEEPS7_SQ_SQ_NSC_11hip_rocprim7__merge17predicate_wrapperIyyNSC_4lessIyEEEEEE10hipError_tPvRmT0_T1_T2_T3_T4_T5_mmT6_P12ihipStream_tbEUlT_E_NS1_11comp_targetILNS1_3genE10ELNS1_11target_archE1201ELNS1_3gpuE5ELNS1_3repE0EEENS1_30default_config_static_selectorELNS0_4arch9wavefront6targetE0EEEvS11_
		.amdhsa_group_segment_fixed_size 0
		.amdhsa_private_segment_fixed_size 0
		.amdhsa_kernarg_size 64
		.amdhsa_user_sgpr_count 2
		.amdhsa_user_sgpr_dispatch_ptr 0
		.amdhsa_user_sgpr_queue_ptr 0
		.amdhsa_user_sgpr_kernarg_segment_ptr 1
		.amdhsa_user_sgpr_dispatch_id 0
		.amdhsa_user_sgpr_kernarg_preload_length 0
		.amdhsa_user_sgpr_kernarg_preload_offset 0
		.amdhsa_user_sgpr_private_segment_size 0
		.amdhsa_wavefront_size32 1
		.amdhsa_uses_dynamic_stack 0
		.amdhsa_enable_private_segment 0
		.amdhsa_system_sgpr_workgroup_id_x 1
		.amdhsa_system_sgpr_workgroup_id_y 0
		.amdhsa_system_sgpr_workgroup_id_z 0
		.amdhsa_system_sgpr_workgroup_info 0
		.amdhsa_system_vgpr_workitem_id 0
		.amdhsa_next_free_vgpr 1
		.amdhsa_next_free_sgpr 1
		.amdhsa_named_barrier_count 0
		.amdhsa_reserve_vcc 0
		.amdhsa_float_round_mode_32 0
		.amdhsa_float_round_mode_16_64 0
		.amdhsa_float_denorm_mode_32 3
		.amdhsa_float_denorm_mode_16_64 3
		.amdhsa_fp16_overflow 0
		.amdhsa_memory_ordered 1
		.amdhsa_forward_progress 1
		.amdhsa_inst_pref_size 0
		.amdhsa_round_robin_scheduling 0
		.amdhsa_exception_fp_ieee_invalid_op 0
		.amdhsa_exception_fp_denorm_src 0
		.amdhsa_exception_fp_ieee_div_zero 0
		.amdhsa_exception_fp_ieee_overflow 0
		.amdhsa_exception_fp_ieee_underflow 0
		.amdhsa_exception_fp_ieee_inexact 0
		.amdhsa_exception_int_div_zero 0
	.end_amdhsa_kernel
	.section	.text._ZN7rocprim17ROCPRIM_400000_NS6detail17trampoline_kernelINS0_14default_configENS1_21merge_config_selectorINS0_5tupleIJyyEEENS0_10empty_typeEEEZNS1_10merge_implIS3_NS0_12zip_iteratorINS5_IJN6thrust23THRUST_200600_302600_NS6detail15normal_iteratorINSC_10device_ptrIKyEEEESI_EEEEESK_NSA_INS5_IJNSC_16discard_iteratorINSC_11use_defaultEEESN_EEEEEPS7_SQ_SQ_NSC_11hip_rocprim7__merge17predicate_wrapperIyyNSC_4lessIyEEEEEE10hipError_tPvRmT0_T1_T2_T3_T4_T5_mmT6_P12ihipStream_tbEUlT_E_NS1_11comp_targetILNS1_3genE10ELNS1_11target_archE1201ELNS1_3gpuE5ELNS1_3repE0EEENS1_30default_config_static_selectorELNS0_4arch9wavefront6targetE0EEEvS11_,"axG",@progbits,_ZN7rocprim17ROCPRIM_400000_NS6detail17trampoline_kernelINS0_14default_configENS1_21merge_config_selectorINS0_5tupleIJyyEEENS0_10empty_typeEEEZNS1_10merge_implIS3_NS0_12zip_iteratorINS5_IJN6thrust23THRUST_200600_302600_NS6detail15normal_iteratorINSC_10device_ptrIKyEEEESI_EEEEESK_NSA_INS5_IJNSC_16discard_iteratorINSC_11use_defaultEEESN_EEEEEPS7_SQ_SQ_NSC_11hip_rocprim7__merge17predicate_wrapperIyyNSC_4lessIyEEEEEE10hipError_tPvRmT0_T1_T2_T3_T4_T5_mmT6_P12ihipStream_tbEUlT_E_NS1_11comp_targetILNS1_3genE10ELNS1_11target_archE1201ELNS1_3gpuE5ELNS1_3repE0EEENS1_30default_config_static_selectorELNS0_4arch9wavefront6targetE0EEEvS11_,comdat
.Lfunc_end520:
	.size	_ZN7rocprim17ROCPRIM_400000_NS6detail17trampoline_kernelINS0_14default_configENS1_21merge_config_selectorINS0_5tupleIJyyEEENS0_10empty_typeEEEZNS1_10merge_implIS3_NS0_12zip_iteratorINS5_IJN6thrust23THRUST_200600_302600_NS6detail15normal_iteratorINSC_10device_ptrIKyEEEESI_EEEEESK_NSA_INS5_IJNSC_16discard_iteratorINSC_11use_defaultEEESN_EEEEEPS7_SQ_SQ_NSC_11hip_rocprim7__merge17predicate_wrapperIyyNSC_4lessIyEEEEEE10hipError_tPvRmT0_T1_T2_T3_T4_T5_mmT6_P12ihipStream_tbEUlT_E_NS1_11comp_targetILNS1_3genE10ELNS1_11target_archE1201ELNS1_3gpuE5ELNS1_3repE0EEENS1_30default_config_static_selectorELNS0_4arch9wavefront6targetE0EEEvS11_, .Lfunc_end520-_ZN7rocprim17ROCPRIM_400000_NS6detail17trampoline_kernelINS0_14default_configENS1_21merge_config_selectorINS0_5tupleIJyyEEENS0_10empty_typeEEEZNS1_10merge_implIS3_NS0_12zip_iteratorINS5_IJN6thrust23THRUST_200600_302600_NS6detail15normal_iteratorINSC_10device_ptrIKyEEEESI_EEEEESK_NSA_INS5_IJNSC_16discard_iteratorINSC_11use_defaultEEESN_EEEEEPS7_SQ_SQ_NSC_11hip_rocprim7__merge17predicate_wrapperIyyNSC_4lessIyEEEEEE10hipError_tPvRmT0_T1_T2_T3_T4_T5_mmT6_P12ihipStream_tbEUlT_E_NS1_11comp_targetILNS1_3genE10ELNS1_11target_archE1201ELNS1_3gpuE5ELNS1_3repE0EEENS1_30default_config_static_selectorELNS0_4arch9wavefront6targetE0EEEvS11_
                                        ; -- End function
	.set _ZN7rocprim17ROCPRIM_400000_NS6detail17trampoline_kernelINS0_14default_configENS1_21merge_config_selectorINS0_5tupleIJyyEEENS0_10empty_typeEEEZNS1_10merge_implIS3_NS0_12zip_iteratorINS5_IJN6thrust23THRUST_200600_302600_NS6detail15normal_iteratorINSC_10device_ptrIKyEEEESI_EEEEESK_NSA_INS5_IJNSC_16discard_iteratorINSC_11use_defaultEEESN_EEEEEPS7_SQ_SQ_NSC_11hip_rocprim7__merge17predicate_wrapperIyyNSC_4lessIyEEEEEE10hipError_tPvRmT0_T1_T2_T3_T4_T5_mmT6_P12ihipStream_tbEUlT_E_NS1_11comp_targetILNS1_3genE10ELNS1_11target_archE1201ELNS1_3gpuE5ELNS1_3repE0EEENS1_30default_config_static_selectorELNS0_4arch9wavefront6targetE0EEEvS11_.num_vgpr, 0
	.set _ZN7rocprim17ROCPRIM_400000_NS6detail17trampoline_kernelINS0_14default_configENS1_21merge_config_selectorINS0_5tupleIJyyEEENS0_10empty_typeEEEZNS1_10merge_implIS3_NS0_12zip_iteratorINS5_IJN6thrust23THRUST_200600_302600_NS6detail15normal_iteratorINSC_10device_ptrIKyEEEESI_EEEEESK_NSA_INS5_IJNSC_16discard_iteratorINSC_11use_defaultEEESN_EEEEEPS7_SQ_SQ_NSC_11hip_rocprim7__merge17predicate_wrapperIyyNSC_4lessIyEEEEEE10hipError_tPvRmT0_T1_T2_T3_T4_T5_mmT6_P12ihipStream_tbEUlT_E_NS1_11comp_targetILNS1_3genE10ELNS1_11target_archE1201ELNS1_3gpuE5ELNS1_3repE0EEENS1_30default_config_static_selectorELNS0_4arch9wavefront6targetE0EEEvS11_.num_agpr, 0
	.set _ZN7rocprim17ROCPRIM_400000_NS6detail17trampoline_kernelINS0_14default_configENS1_21merge_config_selectorINS0_5tupleIJyyEEENS0_10empty_typeEEEZNS1_10merge_implIS3_NS0_12zip_iteratorINS5_IJN6thrust23THRUST_200600_302600_NS6detail15normal_iteratorINSC_10device_ptrIKyEEEESI_EEEEESK_NSA_INS5_IJNSC_16discard_iteratorINSC_11use_defaultEEESN_EEEEEPS7_SQ_SQ_NSC_11hip_rocprim7__merge17predicate_wrapperIyyNSC_4lessIyEEEEEE10hipError_tPvRmT0_T1_T2_T3_T4_T5_mmT6_P12ihipStream_tbEUlT_E_NS1_11comp_targetILNS1_3genE10ELNS1_11target_archE1201ELNS1_3gpuE5ELNS1_3repE0EEENS1_30default_config_static_selectorELNS0_4arch9wavefront6targetE0EEEvS11_.numbered_sgpr, 0
	.set _ZN7rocprim17ROCPRIM_400000_NS6detail17trampoline_kernelINS0_14default_configENS1_21merge_config_selectorINS0_5tupleIJyyEEENS0_10empty_typeEEEZNS1_10merge_implIS3_NS0_12zip_iteratorINS5_IJN6thrust23THRUST_200600_302600_NS6detail15normal_iteratorINSC_10device_ptrIKyEEEESI_EEEEESK_NSA_INS5_IJNSC_16discard_iteratorINSC_11use_defaultEEESN_EEEEEPS7_SQ_SQ_NSC_11hip_rocprim7__merge17predicate_wrapperIyyNSC_4lessIyEEEEEE10hipError_tPvRmT0_T1_T2_T3_T4_T5_mmT6_P12ihipStream_tbEUlT_E_NS1_11comp_targetILNS1_3genE10ELNS1_11target_archE1201ELNS1_3gpuE5ELNS1_3repE0EEENS1_30default_config_static_selectorELNS0_4arch9wavefront6targetE0EEEvS11_.num_named_barrier, 0
	.set _ZN7rocprim17ROCPRIM_400000_NS6detail17trampoline_kernelINS0_14default_configENS1_21merge_config_selectorINS0_5tupleIJyyEEENS0_10empty_typeEEEZNS1_10merge_implIS3_NS0_12zip_iteratorINS5_IJN6thrust23THRUST_200600_302600_NS6detail15normal_iteratorINSC_10device_ptrIKyEEEESI_EEEEESK_NSA_INS5_IJNSC_16discard_iteratorINSC_11use_defaultEEESN_EEEEEPS7_SQ_SQ_NSC_11hip_rocprim7__merge17predicate_wrapperIyyNSC_4lessIyEEEEEE10hipError_tPvRmT0_T1_T2_T3_T4_T5_mmT6_P12ihipStream_tbEUlT_E_NS1_11comp_targetILNS1_3genE10ELNS1_11target_archE1201ELNS1_3gpuE5ELNS1_3repE0EEENS1_30default_config_static_selectorELNS0_4arch9wavefront6targetE0EEEvS11_.private_seg_size, 0
	.set _ZN7rocprim17ROCPRIM_400000_NS6detail17trampoline_kernelINS0_14default_configENS1_21merge_config_selectorINS0_5tupleIJyyEEENS0_10empty_typeEEEZNS1_10merge_implIS3_NS0_12zip_iteratorINS5_IJN6thrust23THRUST_200600_302600_NS6detail15normal_iteratorINSC_10device_ptrIKyEEEESI_EEEEESK_NSA_INS5_IJNSC_16discard_iteratorINSC_11use_defaultEEESN_EEEEEPS7_SQ_SQ_NSC_11hip_rocprim7__merge17predicate_wrapperIyyNSC_4lessIyEEEEEE10hipError_tPvRmT0_T1_T2_T3_T4_T5_mmT6_P12ihipStream_tbEUlT_E_NS1_11comp_targetILNS1_3genE10ELNS1_11target_archE1201ELNS1_3gpuE5ELNS1_3repE0EEENS1_30default_config_static_selectorELNS0_4arch9wavefront6targetE0EEEvS11_.uses_vcc, 0
	.set _ZN7rocprim17ROCPRIM_400000_NS6detail17trampoline_kernelINS0_14default_configENS1_21merge_config_selectorINS0_5tupleIJyyEEENS0_10empty_typeEEEZNS1_10merge_implIS3_NS0_12zip_iteratorINS5_IJN6thrust23THRUST_200600_302600_NS6detail15normal_iteratorINSC_10device_ptrIKyEEEESI_EEEEESK_NSA_INS5_IJNSC_16discard_iteratorINSC_11use_defaultEEESN_EEEEEPS7_SQ_SQ_NSC_11hip_rocprim7__merge17predicate_wrapperIyyNSC_4lessIyEEEEEE10hipError_tPvRmT0_T1_T2_T3_T4_T5_mmT6_P12ihipStream_tbEUlT_E_NS1_11comp_targetILNS1_3genE10ELNS1_11target_archE1201ELNS1_3gpuE5ELNS1_3repE0EEENS1_30default_config_static_selectorELNS0_4arch9wavefront6targetE0EEEvS11_.uses_flat_scratch, 0
	.set _ZN7rocprim17ROCPRIM_400000_NS6detail17trampoline_kernelINS0_14default_configENS1_21merge_config_selectorINS0_5tupleIJyyEEENS0_10empty_typeEEEZNS1_10merge_implIS3_NS0_12zip_iteratorINS5_IJN6thrust23THRUST_200600_302600_NS6detail15normal_iteratorINSC_10device_ptrIKyEEEESI_EEEEESK_NSA_INS5_IJNSC_16discard_iteratorINSC_11use_defaultEEESN_EEEEEPS7_SQ_SQ_NSC_11hip_rocprim7__merge17predicate_wrapperIyyNSC_4lessIyEEEEEE10hipError_tPvRmT0_T1_T2_T3_T4_T5_mmT6_P12ihipStream_tbEUlT_E_NS1_11comp_targetILNS1_3genE10ELNS1_11target_archE1201ELNS1_3gpuE5ELNS1_3repE0EEENS1_30default_config_static_selectorELNS0_4arch9wavefront6targetE0EEEvS11_.has_dyn_sized_stack, 0
	.set _ZN7rocprim17ROCPRIM_400000_NS6detail17trampoline_kernelINS0_14default_configENS1_21merge_config_selectorINS0_5tupleIJyyEEENS0_10empty_typeEEEZNS1_10merge_implIS3_NS0_12zip_iteratorINS5_IJN6thrust23THRUST_200600_302600_NS6detail15normal_iteratorINSC_10device_ptrIKyEEEESI_EEEEESK_NSA_INS5_IJNSC_16discard_iteratorINSC_11use_defaultEEESN_EEEEEPS7_SQ_SQ_NSC_11hip_rocprim7__merge17predicate_wrapperIyyNSC_4lessIyEEEEEE10hipError_tPvRmT0_T1_T2_T3_T4_T5_mmT6_P12ihipStream_tbEUlT_E_NS1_11comp_targetILNS1_3genE10ELNS1_11target_archE1201ELNS1_3gpuE5ELNS1_3repE0EEENS1_30default_config_static_selectorELNS0_4arch9wavefront6targetE0EEEvS11_.has_recursion, 0
	.set _ZN7rocprim17ROCPRIM_400000_NS6detail17trampoline_kernelINS0_14default_configENS1_21merge_config_selectorINS0_5tupleIJyyEEENS0_10empty_typeEEEZNS1_10merge_implIS3_NS0_12zip_iteratorINS5_IJN6thrust23THRUST_200600_302600_NS6detail15normal_iteratorINSC_10device_ptrIKyEEEESI_EEEEESK_NSA_INS5_IJNSC_16discard_iteratorINSC_11use_defaultEEESN_EEEEEPS7_SQ_SQ_NSC_11hip_rocprim7__merge17predicate_wrapperIyyNSC_4lessIyEEEEEE10hipError_tPvRmT0_T1_T2_T3_T4_T5_mmT6_P12ihipStream_tbEUlT_E_NS1_11comp_targetILNS1_3genE10ELNS1_11target_archE1201ELNS1_3gpuE5ELNS1_3repE0EEENS1_30default_config_static_selectorELNS0_4arch9wavefront6targetE0EEEvS11_.has_indirect_call, 0
	.section	.AMDGPU.csdata,"",@progbits
; Kernel info:
; codeLenInByte = 0
; TotalNumSgprs: 0
; NumVgprs: 0
; ScratchSize: 0
; MemoryBound: 0
; FloatMode: 240
; IeeeMode: 1
; LDSByteSize: 0 bytes/workgroup (compile time only)
; SGPRBlocks: 0
; VGPRBlocks: 0
; NumSGPRsForWavesPerEU: 1
; NumVGPRsForWavesPerEU: 1
; NamedBarCnt: 0
; Occupancy: 16
; WaveLimiterHint : 0
; COMPUTE_PGM_RSRC2:SCRATCH_EN: 0
; COMPUTE_PGM_RSRC2:USER_SGPR: 2
; COMPUTE_PGM_RSRC2:TRAP_HANDLER: 0
; COMPUTE_PGM_RSRC2:TGID_X_EN: 1
; COMPUTE_PGM_RSRC2:TGID_Y_EN: 0
; COMPUTE_PGM_RSRC2:TGID_Z_EN: 0
; COMPUTE_PGM_RSRC2:TIDIG_COMP_CNT: 0
	.section	.text._ZN7rocprim17ROCPRIM_400000_NS6detail17trampoline_kernelINS0_14default_configENS1_21merge_config_selectorINS0_5tupleIJyyEEENS0_10empty_typeEEEZNS1_10merge_implIS3_NS0_12zip_iteratorINS5_IJN6thrust23THRUST_200600_302600_NS6detail15normal_iteratorINSC_10device_ptrIKyEEEESI_EEEEESK_NSA_INS5_IJNSC_16discard_iteratorINSC_11use_defaultEEESN_EEEEEPS7_SQ_SQ_NSC_11hip_rocprim7__merge17predicate_wrapperIyyNSC_4lessIyEEEEEE10hipError_tPvRmT0_T1_T2_T3_T4_T5_mmT6_P12ihipStream_tbEUlT_E_NS1_11comp_targetILNS1_3genE10ELNS1_11target_archE1200ELNS1_3gpuE4ELNS1_3repE0EEENS1_30default_config_static_selectorELNS0_4arch9wavefront6targetE0EEEvS11_,"axG",@progbits,_ZN7rocprim17ROCPRIM_400000_NS6detail17trampoline_kernelINS0_14default_configENS1_21merge_config_selectorINS0_5tupleIJyyEEENS0_10empty_typeEEEZNS1_10merge_implIS3_NS0_12zip_iteratorINS5_IJN6thrust23THRUST_200600_302600_NS6detail15normal_iteratorINSC_10device_ptrIKyEEEESI_EEEEESK_NSA_INS5_IJNSC_16discard_iteratorINSC_11use_defaultEEESN_EEEEEPS7_SQ_SQ_NSC_11hip_rocprim7__merge17predicate_wrapperIyyNSC_4lessIyEEEEEE10hipError_tPvRmT0_T1_T2_T3_T4_T5_mmT6_P12ihipStream_tbEUlT_E_NS1_11comp_targetILNS1_3genE10ELNS1_11target_archE1200ELNS1_3gpuE4ELNS1_3repE0EEENS1_30default_config_static_selectorELNS0_4arch9wavefront6targetE0EEEvS11_,comdat
	.protected	_ZN7rocprim17ROCPRIM_400000_NS6detail17trampoline_kernelINS0_14default_configENS1_21merge_config_selectorINS0_5tupleIJyyEEENS0_10empty_typeEEEZNS1_10merge_implIS3_NS0_12zip_iteratorINS5_IJN6thrust23THRUST_200600_302600_NS6detail15normal_iteratorINSC_10device_ptrIKyEEEESI_EEEEESK_NSA_INS5_IJNSC_16discard_iteratorINSC_11use_defaultEEESN_EEEEEPS7_SQ_SQ_NSC_11hip_rocprim7__merge17predicate_wrapperIyyNSC_4lessIyEEEEEE10hipError_tPvRmT0_T1_T2_T3_T4_T5_mmT6_P12ihipStream_tbEUlT_E_NS1_11comp_targetILNS1_3genE10ELNS1_11target_archE1200ELNS1_3gpuE4ELNS1_3repE0EEENS1_30default_config_static_selectorELNS0_4arch9wavefront6targetE0EEEvS11_ ; -- Begin function _ZN7rocprim17ROCPRIM_400000_NS6detail17trampoline_kernelINS0_14default_configENS1_21merge_config_selectorINS0_5tupleIJyyEEENS0_10empty_typeEEEZNS1_10merge_implIS3_NS0_12zip_iteratorINS5_IJN6thrust23THRUST_200600_302600_NS6detail15normal_iteratorINSC_10device_ptrIKyEEEESI_EEEEESK_NSA_INS5_IJNSC_16discard_iteratorINSC_11use_defaultEEESN_EEEEEPS7_SQ_SQ_NSC_11hip_rocprim7__merge17predicate_wrapperIyyNSC_4lessIyEEEEEE10hipError_tPvRmT0_T1_T2_T3_T4_T5_mmT6_P12ihipStream_tbEUlT_E_NS1_11comp_targetILNS1_3genE10ELNS1_11target_archE1200ELNS1_3gpuE4ELNS1_3repE0EEENS1_30default_config_static_selectorELNS0_4arch9wavefront6targetE0EEEvS11_
	.globl	_ZN7rocprim17ROCPRIM_400000_NS6detail17trampoline_kernelINS0_14default_configENS1_21merge_config_selectorINS0_5tupleIJyyEEENS0_10empty_typeEEEZNS1_10merge_implIS3_NS0_12zip_iteratorINS5_IJN6thrust23THRUST_200600_302600_NS6detail15normal_iteratorINSC_10device_ptrIKyEEEESI_EEEEESK_NSA_INS5_IJNSC_16discard_iteratorINSC_11use_defaultEEESN_EEEEEPS7_SQ_SQ_NSC_11hip_rocprim7__merge17predicate_wrapperIyyNSC_4lessIyEEEEEE10hipError_tPvRmT0_T1_T2_T3_T4_T5_mmT6_P12ihipStream_tbEUlT_E_NS1_11comp_targetILNS1_3genE10ELNS1_11target_archE1200ELNS1_3gpuE4ELNS1_3repE0EEENS1_30default_config_static_selectorELNS0_4arch9wavefront6targetE0EEEvS11_
	.p2align	8
	.type	_ZN7rocprim17ROCPRIM_400000_NS6detail17trampoline_kernelINS0_14default_configENS1_21merge_config_selectorINS0_5tupleIJyyEEENS0_10empty_typeEEEZNS1_10merge_implIS3_NS0_12zip_iteratorINS5_IJN6thrust23THRUST_200600_302600_NS6detail15normal_iteratorINSC_10device_ptrIKyEEEESI_EEEEESK_NSA_INS5_IJNSC_16discard_iteratorINSC_11use_defaultEEESN_EEEEEPS7_SQ_SQ_NSC_11hip_rocprim7__merge17predicate_wrapperIyyNSC_4lessIyEEEEEE10hipError_tPvRmT0_T1_T2_T3_T4_T5_mmT6_P12ihipStream_tbEUlT_E_NS1_11comp_targetILNS1_3genE10ELNS1_11target_archE1200ELNS1_3gpuE4ELNS1_3repE0EEENS1_30default_config_static_selectorELNS0_4arch9wavefront6targetE0EEEvS11_,@function
_ZN7rocprim17ROCPRIM_400000_NS6detail17trampoline_kernelINS0_14default_configENS1_21merge_config_selectorINS0_5tupleIJyyEEENS0_10empty_typeEEEZNS1_10merge_implIS3_NS0_12zip_iteratorINS5_IJN6thrust23THRUST_200600_302600_NS6detail15normal_iteratorINSC_10device_ptrIKyEEEESI_EEEEESK_NSA_INS5_IJNSC_16discard_iteratorINSC_11use_defaultEEESN_EEEEEPS7_SQ_SQ_NSC_11hip_rocprim7__merge17predicate_wrapperIyyNSC_4lessIyEEEEEE10hipError_tPvRmT0_T1_T2_T3_T4_T5_mmT6_P12ihipStream_tbEUlT_E_NS1_11comp_targetILNS1_3genE10ELNS1_11target_archE1200ELNS1_3gpuE4ELNS1_3repE0EEENS1_30default_config_static_selectorELNS0_4arch9wavefront6targetE0EEEvS11_: ; @_ZN7rocprim17ROCPRIM_400000_NS6detail17trampoline_kernelINS0_14default_configENS1_21merge_config_selectorINS0_5tupleIJyyEEENS0_10empty_typeEEEZNS1_10merge_implIS3_NS0_12zip_iteratorINS5_IJN6thrust23THRUST_200600_302600_NS6detail15normal_iteratorINSC_10device_ptrIKyEEEESI_EEEEESK_NSA_INS5_IJNSC_16discard_iteratorINSC_11use_defaultEEESN_EEEEEPS7_SQ_SQ_NSC_11hip_rocprim7__merge17predicate_wrapperIyyNSC_4lessIyEEEEEE10hipError_tPvRmT0_T1_T2_T3_T4_T5_mmT6_P12ihipStream_tbEUlT_E_NS1_11comp_targetILNS1_3genE10ELNS1_11target_archE1200ELNS1_3gpuE4ELNS1_3repE0EEENS1_30default_config_static_selectorELNS0_4arch9wavefront6targetE0EEEvS11_
; %bb.0:
	.section	.rodata,"a",@progbits
	.p2align	6, 0x0
	.amdhsa_kernel _ZN7rocprim17ROCPRIM_400000_NS6detail17trampoline_kernelINS0_14default_configENS1_21merge_config_selectorINS0_5tupleIJyyEEENS0_10empty_typeEEEZNS1_10merge_implIS3_NS0_12zip_iteratorINS5_IJN6thrust23THRUST_200600_302600_NS6detail15normal_iteratorINSC_10device_ptrIKyEEEESI_EEEEESK_NSA_INS5_IJNSC_16discard_iteratorINSC_11use_defaultEEESN_EEEEEPS7_SQ_SQ_NSC_11hip_rocprim7__merge17predicate_wrapperIyyNSC_4lessIyEEEEEE10hipError_tPvRmT0_T1_T2_T3_T4_T5_mmT6_P12ihipStream_tbEUlT_E_NS1_11comp_targetILNS1_3genE10ELNS1_11target_archE1200ELNS1_3gpuE4ELNS1_3repE0EEENS1_30default_config_static_selectorELNS0_4arch9wavefront6targetE0EEEvS11_
		.amdhsa_group_segment_fixed_size 0
		.amdhsa_private_segment_fixed_size 0
		.amdhsa_kernarg_size 64
		.amdhsa_user_sgpr_count 2
		.amdhsa_user_sgpr_dispatch_ptr 0
		.amdhsa_user_sgpr_queue_ptr 0
		.amdhsa_user_sgpr_kernarg_segment_ptr 1
		.amdhsa_user_sgpr_dispatch_id 0
		.amdhsa_user_sgpr_kernarg_preload_length 0
		.amdhsa_user_sgpr_kernarg_preload_offset 0
		.amdhsa_user_sgpr_private_segment_size 0
		.amdhsa_wavefront_size32 1
		.amdhsa_uses_dynamic_stack 0
		.amdhsa_enable_private_segment 0
		.amdhsa_system_sgpr_workgroup_id_x 1
		.amdhsa_system_sgpr_workgroup_id_y 0
		.amdhsa_system_sgpr_workgroup_id_z 0
		.amdhsa_system_sgpr_workgroup_info 0
		.amdhsa_system_vgpr_workitem_id 0
		.amdhsa_next_free_vgpr 1
		.amdhsa_next_free_sgpr 1
		.amdhsa_named_barrier_count 0
		.amdhsa_reserve_vcc 0
		.amdhsa_float_round_mode_32 0
		.amdhsa_float_round_mode_16_64 0
		.amdhsa_float_denorm_mode_32 3
		.amdhsa_float_denorm_mode_16_64 3
		.amdhsa_fp16_overflow 0
		.amdhsa_memory_ordered 1
		.amdhsa_forward_progress 1
		.amdhsa_inst_pref_size 0
		.amdhsa_round_robin_scheduling 0
		.amdhsa_exception_fp_ieee_invalid_op 0
		.amdhsa_exception_fp_denorm_src 0
		.amdhsa_exception_fp_ieee_div_zero 0
		.amdhsa_exception_fp_ieee_overflow 0
		.amdhsa_exception_fp_ieee_underflow 0
		.amdhsa_exception_fp_ieee_inexact 0
		.amdhsa_exception_int_div_zero 0
	.end_amdhsa_kernel
	.section	.text._ZN7rocprim17ROCPRIM_400000_NS6detail17trampoline_kernelINS0_14default_configENS1_21merge_config_selectorINS0_5tupleIJyyEEENS0_10empty_typeEEEZNS1_10merge_implIS3_NS0_12zip_iteratorINS5_IJN6thrust23THRUST_200600_302600_NS6detail15normal_iteratorINSC_10device_ptrIKyEEEESI_EEEEESK_NSA_INS5_IJNSC_16discard_iteratorINSC_11use_defaultEEESN_EEEEEPS7_SQ_SQ_NSC_11hip_rocprim7__merge17predicate_wrapperIyyNSC_4lessIyEEEEEE10hipError_tPvRmT0_T1_T2_T3_T4_T5_mmT6_P12ihipStream_tbEUlT_E_NS1_11comp_targetILNS1_3genE10ELNS1_11target_archE1200ELNS1_3gpuE4ELNS1_3repE0EEENS1_30default_config_static_selectorELNS0_4arch9wavefront6targetE0EEEvS11_,"axG",@progbits,_ZN7rocprim17ROCPRIM_400000_NS6detail17trampoline_kernelINS0_14default_configENS1_21merge_config_selectorINS0_5tupleIJyyEEENS0_10empty_typeEEEZNS1_10merge_implIS3_NS0_12zip_iteratorINS5_IJN6thrust23THRUST_200600_302600_NS6detail15normal_iteratorINSC_10device_ptrIKyEEEESI_EEEEESK_NSA_INS5_IJNSC_16discard_iteratorINSC_11use_defaultEEESN_EEEEEPS7_SQ_SQ_NSC_11hip_rocprim7__merge17predicate_wrapperIyyNSC_4lessIyEEEEEE10hipError_tPvRmT0_T1_T2_T3_T4_T5_mmT6_P12ihipStream_tbEUlT_E_NS1_11comp_targetILNS1_3genE10ELNS1_11target_archE1200ELNS1_3gpuE4ELNS1_3repE0EEENS1_30default_config_static_selectorELNS0_4arch9wavefront6targetE0EEEvS11_,comdat
.Lfunc_end521:
	.size	_ZN7rocprim17ROCPRIM_400000_NS6detail17trampoline_kernelINS0_14default_configENS1_21merge_config_selectorINS0_5tupleIJyyEEENS0_10empty_typeEEEZNS1_10merge_implIS3_NS0_12zip_iteratorINS5_IJN6thrust23THRUST_200600_302600_NS6detail15normal_iteratorINSC_10device_ptrIKyEEEESI_EEEEESK_NSA_INS5_IJNSC_16discard_iteratorINSC_11use_defaultEEESN_EEEEEPS7_SQ_SQ_NSC_11hip_rocprim7__merge17predicate_wrapperIyyNSC_4lessIyEEEEEE10hipError_tPvRmT0_T1_T2_T3_T4_T5_mmT6_P12ihipStream_tbEUlT_E_NS1_11comp_targetILNS1_3genE10ELNS1_11target_archE1200ELNS1_3gpuE4ELNS1_3repE0EEENS1_30default_config_static_selectorELNS0_4arch9wavefront6targetE0EEEvS11_, .Lfunc_end521-_ZN7rocprim17ROCPRIM_400000_NS6detail17trampoline_kernelINS0_14default_configENS1_21merge_config_selectorINS0_5tupleIJyyEEENS0_10empty_typeEEEZNS1_10merge_implIS3_NS0_12zip_iteratorINS5_IJN6thrust23THRUST_200600_302600_NS6detail15normal_iteratorINSC_10device_ptrIKyEEEESI_EEEEESK_NSA_INS5_IJNSC_16discard_iteratorINSC_11use_defaultEEESN_EEEEEPS7_SQ_SQ_NSC_11hip_rocprim7__merge17predicate_wrapperIyyNSC_4lessIyEEEEEE10hipError_tPvRmT0_T1_T2_T3_T4_T5_mmT6_P12ihipStream_tbEUlT_E_NS1_11comp_targetILNS1_3genE10ELNS1_11target_archE1200ELNS1_3gpuE4ELNS1_3repE0EEENS1_30default_config_static_selectorELNS0_4arch9wavefront6targetE0EEEvS11_
                                        ; -- End function
	.set _ZN7rocprim17ROCPRIM_400000_NS6detail17trampoline_kernelINS0_14default_configENS1_21merge_config_selectorINS0_5tupleIJyyEEENS0_10empty_typeEEEZNS1_10merge_implIS3_NS0_12zip_iteratorINS5_IJN6thrust23THRUST_200600_302600_NS6detail15normal_iteratorINSC_10device_ptrIKyEEEESI_EEEEESK_NSA_INS5_IJNSC_16discard_iteratorINSC_11use_defaultEEESN_EEEEEPS7_SQ_SQ_NSC_11hip_rocprim7__merge17predicate_wrapperIyyNSC_4lessIyEEEEEE10hipError_tPvRmT0_T1_T2_T3_T4_T5_mmT6_P12ihipStream_tbEUlT_E_NS1_11comp_targetILNS1_3genE10ELNS1_11target_archE1200ELNS1_3gpuE4ELNS1_3repE0EEENS1_30default_config_static_selectorELNS0_4arch9wavefront6targetE0EEEvS11_.num_vgpr, 0
	.set _ZN7rocprim17ROCPRIM_400000_NS6detail17trampoline_kernelINS0_14default_configENS1_21merge_config_selectorINS0_5tupleIJyyEEENS0_10empty_typeEEEZNS1_10merge_implIS3_NS0_12zip_iteratorINS5_IJN6thrust23THRUST_200600_302600_NS6detail15normal_iteratorINSC_10device_ptrIKyEEEESI_EEEEESK_NSA_INS5_IJNSC_16discard_iteratorINSC_11use_defaultEEESN_EEEEEPS7_SQ_SQ_NSC_11hip_rocprim7__merge17predicate_wrapperIyyNSC_4lessIyEEEEEE10hipError_tPvRmT0_T1_T2_T3_T4_T5_mmT6_P12ihipStream_tbEUlT_E_NS1_11comp_targetILNS1_3genE10ELNS1_11target_archE1200ELNS1_3gpuE4ELNS1_3repE0EEENS1_30default_config_static_selectorELNS0_4arch9wavefront6targetE0EEEvS11_.num_agpr, 0
	.set _ZN7rocprim17ROCPRIM_400000_NS6detail17trampoline_kernelINS0_14default_configENS1_21merge_config_selectorINS0_5tupleIJyyEEENS0_10empty_typeEEEZNS1_10merge_implIS3_NS0_12zip_iteratorINS5_IJN6thrust23THRUST_200600_302600_NS6detail15normal_iteratorINSC_10device_ptrIKyEEEESI_EEEEESK_NSA_INS5_IJNSC_16discard_iteratorINSC_11use_defaultEEESN_EEEEEPS7_SQ_SQ_NSC_11hip_rocprim7__merge17predicate_wrapperIyyNSC_4lessIyEEEEEE10hipError_tPvRmT0_T1_T2_T3_T4_T5_mmT6_P12ihipStream_tbEUlT_E_NS1_11comp_targetILNS1_3genE10ELNS1_11target_archE1200ELNS1_3gpuE4ELNS1_3repE0EEENS1_30default_config_static_selectorELNS0_4arch9wavefront6targetE0EEEvS11_.numbered_sgpr, 0
	.set _ZN7rocprim17ROCPRIM_400000_NS6detail17trampoline_kernelINS0_14default_configENS1_21merge_config_selectorINS0_5tupleIJyyEEENS0_10empty_typeEEEZNS1_10merge_implIS3_NS0_12zip_iteratorINS5_IJN6thrust23THRUST_200600_302600_NS6detail15normal_iteratorINSC_10device_ptrIKyEEEESI_EEEEESK_NSA_INS5_IJNSC_16discard_iteratorINSC_11use_defaultEEESN_EEEEEPS7_SQ_SQ_NSC_11hip_rocprim7__merge17predicate_wrapperIyyNSC_4lessIyEEEEEE10hipError_tPvRmT0_T1_T2_T3_T4_T5_mmT6_P12ihipStream_tbEUlT_E_NS1_11comp_targetILNS1_3genE10ELNS1_11target_archE1200ELNS1_3gpuE4ELNS1_3repE0EEENS1_30default_config_static_selectorELNS0_4arch9wavefront6targetE0EEEvS11_.num_named_barrier, 0
	.set _ZN7rocprim17ROCPRIM_400000_NS6detail17trampoline_kernelINS0_14default_configENS1_21merge_config_selectorINS0_5tupleIJyyEEENS0_10empty_typeEEEZNS1_10merge_implIS3_NS0_12zip_iteratorINS5_IJN6thrust23THRUST_200600_302600_NS6detail15normal_iteratorINSC_10device_ptrIKyEEEESI_EEEEESK_NSA_INS5_IJNSC_16discard_iteratorINSC_11use_defaultEEESN_EEEEEPS7_SQ_SQ_NSC_11hip_rocprim7__merge17predicate_wrapperIyyNSC_4lessIyEEEEEE10hipError_tPvRmT0_T1_T2_T3_T4_T5_mmT6_P12ihipStream_tbEUlT_E_NS1_11comp_targetILNS1_3genE10ELNS1_11target_archE1200ELNS1_3gpuE4ELNS1_3repE0EEENS1_30default_config_static_selectorELNS0_4arch9wavefront6targetE0EEEvS11_.private_seg_size, 0
	.set _ZN7rocprim17ROCPRIM_400000_NS6detail17trampoline_kernelINS0_14default_configENS1_21merge_config_selectorINS0_5tupleIJyyEEENS0_10empty_typeEEEZNS1_10merge_implIS3_NS0_12zip_iteratorINS5_IJN6thrust23THRUST_200600_302600_NS6detail15normal_iteratorINSC_10device_ptrIKyEEEESI_EEEEESK_NSA_INS5_IJNSC_16discard_iteratorINSC_11use_defaultEEESN_EEEEEPS7_SQ_SQ_NSC_11hip_rocprim7__merge17predicate_wrapperIyyNSC_4lessIyEEEEEE10hipError_tPvRmT0_T1_T2_T3_T4_T5_mmT6_P12ihipStream_tbEUlT_E_NS1_11comp_targetILNS1_3genE10ELNS1_11target_archE1200ELNS1_3gpuE4ELNS1_3repE0EEENS1_30default_config_static_selectorELNS0_4arch9wavefront6targetE0EEEvS11_.uses_vcc, 0
	.set _ZN7rocprim17ROCPRIM_400000_NS6detail17trampoline_kernelINS0_14default_configENS1_21merge_config_selectorINS0_5tupleIJyyEEENS0_10empty_typeEEEZNS1_10merge_implIS3_NS0_12zip_iteratorINS5_IJN6thrust23THRUST_200600_302600_NS6detail15normal_iteratorINSC_10device_ptrIKyEEEESI_EEEEESK_NSA_INS5_IJNSC_16discard_iteratorINSC_11use_defaultEEESN_EEEEEPS7_SQ_SQ_NSC_11hip_rocprim7__merge17predicate_wrapperIyyNSC_4lessIyEEEEEE10hipError_tPvRmT0_T1_T2_T3_T4_T5_mmT6_P12ihipStream_tbEUlT_E_NS1_11comp_targetILNS1_3genE10ELNS1_11target_archE1200ELNS1_3gpuE4ELNS1_3repE0EEENS1_30default_config_static_selectorELNS0_4arch9wavefront6targetE0EEEvS11_.uses_flat_scratch, 0
	.set _ZN7rocprim17ROCPRIM_400000_NS6detail17trampoline_kernelINS0_14default_configENS1_21merge_config_selectorINS0_5tupleIJyyEEENS0_10empty_typeEEEZNS1_10merge_implIS3_NS0_12zip_iteratorINS5_IJN6thrust23THRUST_200600_302600_NS6detail15normal_iteratorINSC_10device_ptrIKyEEEESI_EEEEESK_NSA_INS5_IJNSC_16discard_iteratorINSC_11use_defaultEEESN_EEEEEPS7_SQ_SQ_NSC_11hip_rocprim7__merge17predicate_wrapperIyyNSC_4lessIyEEEEEE10hipError_tPvRmT0_T1_T2_T3_T4_T5_mmT6_P12ihipStream_tbEUlT_E_NS1_11comp_targetILNS1_3genE10ELNS1_11target_archE1200ELNS1_3gpuE4ELNS1_3repE0EEENS1_30default_config_static_selectorELNS0_4arch9wavefront6targetE0EEEvS11_.has_dyn_sized_stack, 0
	.set _ZN7rocprim17ROCPRIM_400000_NS6detail17trampoline_kernelINS0_14default_configENS1_21merge_config_selectorINS0_5tupleIJyyEEENS0_10empty_typeEEEZNS1_10merge_implIS3_NS0_12zip_iteratorINS5_IJN6thrust23THRUST_200600_302600_NS6detail15normal_iteratorINSC_10device_ptrIKyEEEESI_EEEEESK_NSA_INS5_IJNSC_16discard_iteratorINSC_11use_defaultEEESN_EEEEEPS7_SQ_SQ_NSC_11hip_rocprim7__merge17predicate_wrapperIyyNSC_4lessIyEEEEEE10hipError_tPvRmT0_T1_T2_T3_T4_T5_mmT6_P12ihipStream_tbEUlT_E_NS1_11comp_targetILNS1_3genE10ELNS1_11target_archE1200ELNS1_3gpuE4ELNS1_3repE0EEENS1_30default_config_static_selectorELNS0_4arch9wavefront6targetE0EEEvS11_.has_recursion, 0
	.set _ZN7rocprim17ROCPRIM_400000_NS6detail17trampoline_kernelINS0_14default_configENS1_21merge_config_selectorINS0_5tupleIJyyEEENS0_10empty_typeEEEZNS1_10merge_implIS3_NS0_12zip_iteratorINS5_IJN6thrust23THRUST_200600_302600_NS6detail15normal_iteratorINSC_10device_ptrIKyEEEESI_EEEEESK_NSA_INS5_IJNSC_16discard_iteratorINSC_11use_defaultEEESN_EEEEEPS7_SQ_SQ_NSC_11hip_rocprim7__merge17predicate_wrapperIyyNSC_4lessIyEEEEEE10hipError_tPvRmT0_T1_T2_T3_T4_T5_mmT6_P12ihipStream_tbEUlT_E_NS1_11comp_targetILNS1_3genE10ELNS1_11target_archE1200ELNS1_3gpuE4ELNS1_3repE0EEENS1_30default_config_static_selectorELNS0_4arch9wavefront6targetE0EEEvS11_.has_indirect_call, 0
	.section	.AMDGPU.csdata,"",@progbits
; Kernel info:
; codeLenInByte = 0
; TotalNumSgprs: 0
; NumVgprs: 0
; ScratchSize: 0
; MemoryBound: 0
; FloatMode: 240
; IeeeMode: 1
; LDSByteSize: 0 bytes/workgroup (compile time only)
; SGPRBlocks: 0
; VGPRBlocks: 0
; NumSGPRsForWavesPerEU: 1
; NumVGPRsForWavesPerEU: 1
; NamedBarCnt: 0
; Occupancy: 16
; WaveLimiterHint : 0
; COMPUTE_PGM_RSRC2:SCRATCH_EN: 0
; COMPUTE_PGM_RSRC2:USER_SGPR: 2
; COMPUTE_PGM_RSRC2:TRAP_HANDLER: 0
; COMPUTE_PGM_RSRC2:TGID_X_EN: 1
; COMPUTE_PGM_RSRC2:TGID_Y_EN: 0
; COMPUTE_PGM_RSRC2:TGID_Z_EN: 0
; COMPUTE_PGM_RSRC2:TIDIG_COMP_CNT: 0
	.section	.text._ZN7rocprim17ROCPRIM_400000_NS6detail17trampoline_kernelINS0_14default_configENS1_21merge_config_selectorINS0_5tupleIJyyEEENS0_10empty_typeEEEZNS1_10merge_implIS3_NS0_12zip_iteratorINS5_IJN6thrust23THRUST_200600_302600_NS6detail15normal_iteratorINSC_10device_ptrIKyEEEESI_EEEEESK_NSA_INS5_IJNSC_16discard_iteratorINSC_11use_defaultEEESN_EEEEEPS7_SQ_SQ_NSC_11hip_rocprim7__merge17predicate_wrapperIyyNSC_4lessIyEEEEEE10hipError_tPvRmT0_T1_T2_T3_T4_T5_mmT6_P12ihipStream_tbEUlT_E_NS1_11comp_targetILNS1_3genE9ELNS1_11target_archE1100ELNS1_3gpuE3ELNS1_3repE0EEENS1_30default_config_static_selectorELNS0_4arch9wavefront6targetE0EEEvS11_,"axG",@progbits,_ZN7rocprim17ROCPRIM_400000_NS6detail17trampoline_kernelINS0_14default_configENS1_21merge_config_selectorINS0_5tupleIJyyEEENS0_10empty_typeEEEZNS1_10merge_implIS3_NS0_12zip_iteratorINS5_IJN6thrust23THRUST_200600_302600_NS6detail15normal_iteratorINSC_10device_ptrIKyEEEESI_EEEEESK_NSA_INS5_IJNSC_16discard_iteratorINSC_11use_defaultEEESN_EEEEEPS7_SQ_SQ_NSC_11hip_rocprim7__merge17predicate_wrapperIyyNSC_4lessIyEEEEEE10hipError_tPvRmT0_T1_T2_T3_T4_T5_mmT6_P12ihipStream_tbEUlT_E_NS1_11comp_targetILNS1_3genE9ELNS1_11target_archE1100ELNS1_3gpuE3ELNS1_3repE0EEENS1_30default_config_static_selectorELNS0_4arch9wavefront6targetE0EEEvS11_,comdat
	.protected	_ZN7rocprim17ROCPRIM_400000_NS6detail17trampoline_kernelINS0_14default_configENS1_21merge_config_selectorINS0_5tupleIJyyEEENS0_10empty_typeEEEZNS1_10merge_implIS3_NS0_12zip_iteratorINS5_IJN6thrust23THRUST_200600_302600_NS6detail15normal_iteratorINSC_10device_ptrIKyEEEESI_EEEEESK_NSA_INS5_IJNSC_16discard_iteratorINSC_11use_defaultEEESN_EEEEEPS7_SQ_SQ_NSC_11hip_rocprim7__merge17predicate_wrapperIyyNSC_4lessIyEEEEEE10hipError_tPvRmT0_T1_T2_T3_T4_T5_mmT6_P12ihipStream_tbEUlT_E_NS1_11comp_targetILNS1_3genE9ELNS1_11target_archE1100ELNS1_3gpuE3ELNS1_3repE0EEENS1_30default_config_static_selectorELNS0_4arch9wavefront6targetE0EEEvS11_ ; -- Begin function _ZN7rocprim17ROCPRIM_400000_NS6detail17trampoline_kernelINS0_14default_configENS1_21merge_config_selectorINS0_5tupleIJyyEEENS0_10empty_typeEEEZNS1_10merge_implIS3_NS0_12zip_iteratorINS5_IJN6thrust23THRUST_200600_302600_NS6detail15normal_iteratorINSC_10device_ptrIKyEEEESI_EEEEESK_NSA_INS5_IJNSC_16discard_iteratorINSC_11use_defaultEEESN_EEEEEPS7_SQ_SQ_NSC_11hip_rocprim7__merge17predicate_wrapperIyyNSC_4lessIyEEEEEE10hipError_tPvRmT0_T1_T2_T3_T4_T5_mmT6_P12ihipStream_tbEUlT_E_NS1_11comp_targetILNS1_3genE9ELNS1_11target_archE1100ELNS1_3gpuE3ELNS1_3repE0EEENS1_30default_config_static_selectorELNS0_4arch9wavefront6targetE0EEEvS11_
	.globl	_ZN7rocprim17ROCPRIM_400000_NS6detail17trampoline_kernelINS0_14default_configENS1_21merge_config_selectorINS0_5tupleIJyyEEENS0_10empty_typeEEEZNS1_10merge_implIS3_NS0_12zip_iteratorINS5_IJN6thrust23THRUST_200600_302600_NS6detail15normal_iteratorINSC_10device_ptrIKyEEEESI_EEEEESK_NSA_INS5_IJNSC_16discard_iteratorINSC_11use_defaultEEESN_EEEEEPS7_SQ_SQ_NSC_11hip_rocprim7__merge17predicate_wrapperIyyNSC_4lessIyEEEEEE10hipError_tPvRmT0_T1_T2_T3_T4_T5_mmT6_P12ihipStream_tbEUlT_E_NS1_11comp_targetILNS1_3genE9ELNS1_11target_archE1100ELNS1_3gpuE3ELNS1_3repE0EEENS1_30default_config_static_selectorELNS0_4arch9wavefront6targetE0EEEvS11_
	.p2align	8
	.type	_ZN7rocprim17ROCPRIM_400000_NS6detail17trampoline_kernelINS0_14default_configENS1_21merge_config_selectorINS0_5tupleIJyyEEENS0_10empty_typeEEEZNS1_10merge_implIS3_NS0_12zip_iteratorINS5_IJN6thrust23THRUST_200600_302600_NS6detail15normal_iteratorINSC_10device_ptrIKyEEEESI_EEEEESK_NSA_INS5_IJNSC_16discard_iteratorINSC_11use_defaultEEESN_EEEEEPS7_SQ_SQ_NSC_11hip_rocprim7__merge17predicate_wrapperIyyNSC_4lessIyEEEEEE10hipError_tPvRmT0_T1_T2_T3_T4_T5_mmT6_P12ihipStream_tbEUlT_E_NS1_11comp_targetILNS1_3genE9ELNS1_11target_archE1100ELNS1_3gpuE3ELNS1_3repE0EEENS1_30default_config_static_selectorELNS0_4arch9wavefront6targetE0EEEvS11_,@function
_ZN7rocprim17ROCPRIM_400000_NS6detail17trampoline_kernelINS0_14default_configENS1_21merge_config_selectorINS0_5tupleIJyyEEENS0_10empty_typeEEEZNS1_10merge_implIS3_NS0_12zip_iteratorINS5_IJN6thrust23THRUST_200600_302600_NS6detail15normal_iteratorINSC_10device_ptrIKyEEEESI_EEEEESK_NSA_INS5_IJNSC_16discard_iteratorINSC_11use_defaultEEESN_EEEEEPS7_SQ_SQ_NSC_11hip_rocprim7__merge17predicate_wrapperIyyNSC_4lessIyEEEEEE10hipError_tPvRmT0_T1_T2_T3_T4_T5_mmT6_P12ihipStream_tbEUlT_E_NS1_11comp_targetILNS1_3genE9ELNS1_11target_archE1100ELNS1_3gpuE3ELNS1_3repE0EEENS1_30default_config_static_selectorELNS0_4arch9wavefront6targetE0EEEvS11_: ; @_ZN7rocprim17ROCPRIM_400000_NS6detail17trampoline_kernelINS0_14default_configENS1_21merge_config_selectorINS0_5tupleIJyyEEENS0_10empty_typeEEEZNS1_10merge_implIS3_NS0_12zip_iteratorINS5_IJN6thrust23THRUST_200600_302600_NS6detail15normal_iteratorINSC_10device_ptrIKyEEEESI_EEEEESK_NSA_INS5_IJNSC_16discard_iteratorINSC_11use_defaultEEESN_EEEEEPS7_SQ_SQ_NSC_11hip_rocprim7__merge17predicate_wrapperIyyNSC_4lessIyEEEEEE10hipError_tPvRmT0_T1_T2_T3_T4_T5_mmT6_P12ihipStream_tbEUlT_E_NS1_11comp_targetILNS1_3genE9ELNS1_11target_archE1100ELNS1_3gpuE3ELNS1_3repE0EEENS1_30default_config_static_selectorELNS0_4arch9wavefront6targetE0EEEvS11_
; %bb.0:
	.section	.rodata,"a",@progbits
	.p2align	6, 0x0
	.amdhsa_kernel _ZN7rocprim17ROCPRIM_400000_NS6detail17trampoline_kernelINS0_14default_configENS1_21merge_config_selectorINS0_5tupleIJyyEEENS0_10empty_typeEEEZNS1_10merge_implIS3_NS0_12zip_iteratorINS5_IJN6thrust23THRUST_200600_302600_NS6detail15normal_iteratorINSC_10device_ptrIKyEEEESI_EEEEESK_NSA_INS5_IJNSC_16discard_iteratorINSC_11use_defaultEEESN_EEEEEPS7_SQ_SQ_NSC_11hip_rocprim7__merge17predicate_wrapperIyyNSC_4lessIyEEEEEE10hipError_tPvRmT0_T1_T2_T3_T4_T5_mmT6_P12ihipStream_tbEUlT_E_NS1_11comp_targetILNS1_3genE9ELNS1_11target_archE1100ELNS1_3gpuE3ELNS1_3repE0EEENS1_30default_config_static_selectorELNS0_4arch9wavefront6targetE0EEEvS11_
		.amdhsa_group_segment_fixed_size 0
		.amdhsa_private_segment_fixed_size 0
		.amdhsa_kernarg_size 64
		.amdhsa_user_sgpr_count 2
		.amdhsa_user_sgpr_dispatch_ptr 0
		.amdhsa_user_sgpr_queue_ptr 0
		.amdhsa_user_sgpr_kernarg_segment_ptr 1
		.amdhsa_user_sgpr_dispatch_id 0
		.amdhsa_user_sgpr_kernarg_preload_length 0
		.amdhsa_user_sgpr_kernarg_preload_offset 0
		.amdhsa_user_sgpr_private_segment_size 0
		.amdhsa_wavefront_size32 1
		.amdhsa_uses_dynamic_stack 0
		.amdhsa_enable_private_segment 0
		.amdhsa_system_sgpr_workgroup_id_x 1
		.amdhsa_system_sgpr_workgroup_id_y 0
		.amdhsa_system_sgpr_workgroup_id_z 0
		.amdhsa_system_sgpr_workgroup_info 0
		.amdhsa_system_vgpr_workitem_id 0
		.amdhsa_next_free_vgpr 1
		.amdhsa_next_free_sgpr 1
		.amdhsa_named_barrier_count 0
		.amdhsa_reserve_vcc 0
		.amdhsa_float_round_mode_32 0
		.amdhsa_float_round_mode_16_64 0
		.amdhsa_float_denorm_mode_32 3
		.amdhsa_float_denorm_mode_16_64 3
		.amdhsa_fp16_overflow 0
		.amdhsa_memory_ordered 1
		.amdhsa_forward_progress 1
		.amdhsa_inst_pref_size 0
		.amdhsa_round_robin_scheduling 0
		.amdhsa_exception_fp_ieee_invalid_op 0
		.amdhsa_exception_fp_denorm_src 0
		.amdhsa_exception_fp_ieee_div_zero 0
		.amdhsa_exception_fp_ieee_overflow 0
		.amdhsa_exception_fp_ieee_underflow 0
		.amdhsa_exception_fp_ieee_inexact 0
		.amdhsa_exception_int_div_zero 0
	.end_amdhsa_kernel
	.section	.text._ZN7rocprim17ROCPRIM_400000_NS6detail17trampoline_kernelINS0_14default_configENS1_21merge_config_selectorINS0_5tupleIJyyEEENS0_10empty_typeEEEZNS1_10merge_implIS3_NS0_12zip_iteratorINS5_IJN6thrust23THRUST_200600_302600_NS6detail15normal_iteratorINSC_10device_ptrIKyEEEESI_EEEEESK_NSA_INS5_IJNSC_16discard_iteratorINSC_11use_defaultEEESN_EEEEEPS7_SQ_SQ_NSC_11hip_rocprim7__merge17predicate_wrapperIyyNSC_4lessIyEEEEEE10hipError_tPvRmT0_T1_T2_T3_T4_T5_mmT6_P12ihipStream_tbEUlT_E_NS1_11comp_targetILNS1_3genE9ELNS1_11target_archE1100ELNS1_3gpuE3ELNS1_3repE0EEENS1_30default_config_static_selectorELNS0_4arch9wavefront6targetE0EEEvS11_,"axG",@progbits,_ZN7rocprim17ROCPRIM_400000_NS6detail17trampoline_kernelINS0_14default_configENS1_21merge_config_selectorINS0_5tupleIJyyEEENS0_10empty_typeEEEZNS1_10merge_implIS3_NS0_12zip_iteratorINS5_IJN6thrust23THRUST_200600_302600_NS6detail15normal_iteratorINSC_10device_ptrIKyEEEESI_EEEEESK_NSA_INS5_IJNSC_16discard_iteratorINSC_11use_defaultEEESN_EEEEEPS7_SQ_SQ_NSC_11hip_rocprim7__merge17predicate_wrapperIyyNSC_4lessIyEEEEEE10hipError_tPvRmT0_T1_T2_T3_T4_T5_mmT6_P12ihipStream_tbEUlT_E_NS1_11comp_targetILNS1_3genE9ELNS1_11target_archE1100ELNS1_3gpuE3ELNS1_3repE0EEENS1_30default_config_static_selectorELNS0_4arch9wavefront6targetE0EEEvS11_,comdat
.Lfunc_end522:
	.size	_ZN7rocprim17ROCPRIM_400000_NS6detail17trampoline_kernelINS0_14default_configENS1_21merge_config_selectorINS0_5tupleIJyyEEENS0_10empty_typeEEEZNS1_10merge_implIS3_NS0_12zip_iteratorINS5_IJN6thrust23THRUST_200600_302600_NS6detail15normal_iteratorINSC_10device_ptrIKyEEEESI_EEEEESK_NSA_INS5_IJNSC_16discard_iteratorINSC_11use_defaultEEESN_EEEEEPS7_SQ_SQ_NSC_11hip_rocprim7__merge17predicate_wrapperIyyNSC_4lessIyEEEEEE10hipError_tPvRmT0_T1_T2_T3_T4_T5_mmT6_P12ihipStream_tbEUlT_E_NS1_11comp_targetILNS1_3genE9ELNS1_11target_archE1100ELNS1_3gpuE3ELNS1_3repE0EEENS1_30default_config_static_selectorELNS0_4arch9wavefront6targetE0EEEvS11_, .Lfunc_end522-_ZN7rocprim17ROCPRIM_400000_NS6detail17trampoline_kernelINS0_14default_configENS1_21merge_config_selectorINS0_5tupleIJyyEEENS0_10empty_typeEEEZNS1_10merge_implIS3_NS0_12zip_iteratorINS5_IJN6thrust23THRUST_200600_302600_NS6detail15normal_iteratorINSC_10device_ptrIKyEEEESI_EEEEESK_NSA_INS5_IJNSC_16discard_iteratorINSC_11use_defaultEEESN_EEEEEPS7_SQ_SQ_NSC_11hip_rocprim7__merge17predicate_wrapperIyyNSC_4lessIyEEEEEE10hipError_tPvRmT0_T1_T2_T3_T4_T5_mmT6_P12ihipStream_tbEUlT_E_NS1_11comp_targetILNS1_3genE9ELNS1_11target_archE1100ELNS1_3gpuE3ELNS1_3repE0EEENS1_30default_config_static_selectorELNS0_4arch9wavefront6targetE0EEEvS11_
                                        ; -- End function
	.set _ZN7rocprim17ROCPRIM_400000_NS6detail17trampoline_kernelINS0_14default_configENS1_21merge_config_selectorINS0_5tupleIJyyEEENS0_10empty_typeEEEZNS1_10merge_implIS3_NS0_12zip_iteratorINS5_IJN6thrust23THRUST_200600_302600_NS6detail15normal_iteratorINSC_10device_ptrIKyEEEESI_EEEEESK_NSA_INS5_IJNSC_16discard_iteratorINSC_11use_defaultEEESN_EEEEEPS7_SQ_SQ_NSC_11hip_rocprim7__merge17predicate_wrapperIyyNSC_4lessIyEEEEEE10hipError_tPvRmT0_T1_T2_T3_T4_T5_mmT6_P12ihipStream_tbEUlT_E_NS1_11comp_targetILNS1_3genE9ELNS1_11target_archE1100ELNS1_3gpuE3ELNS1_3repE0EEENS1_30default_config_static_selectorELNS0_4arch9wavefront6targetE0EEEvS11_.num_vgpr, 0
	.set _ZN7rocprim17ROCPRIM_400000_NS6detail17trampoline_kernelINS0_14default_configENS1_21merge_config_selectorINS0_5tupleIJyyEEENS0_10empty_typeEEEZNS1_10merge_implIS3_NS0_12zip_iteratorINS5_IJN6thrust23THRUST_200600_302600_NS6detail15normal_iteratorINSC_10device_ptrIKyEEEESI_EEEEESK_NSA_INS5_IJNSC_16discard_iteratorINSC_11use_defaultEEESN_EEEEEPS7_SQ_SQ_NSC_11hip_rocprim7__merge17predicate_wrapperIyyNSC_4lessIyEEEEEE10hipError_tPvRmT0_T1_T2_T3_T4_T5_mmT6_P12ihipStream_tbEUlT_E_NS1_11comp_targetILNS1_3genE9ELNS1_11target_archE1100ELNS1_3gpuE3ELNS1_3repE0EEENS1_30default_config_static_selectorELNS0_4arch9wavefront6targetE0EEEvS11_.num_agpr, 0
	.set _ZN7rocprim17ROCPRIM_400000_NS6detail17trampoline_kernelINS0_14default_configENS1_21merge_config_selectorINS0_5tupleIJyyEEENS0_10empty_typeEEEZNS1_10merge_implIS3_NS0_12zip_iteratorINS5_IJN6thrust23THRUST_200600_302600_NS6detail15normal_iteratorINSC_10device_ptrIKyEEEESI_EEEEESK_NSA_INS5_IJNSC_16discard_iteratorINSC_11use_defaultEEESN_EEEEEPS7_SQ_SQ_NSC_11hip_rocprim7__merge17predicate_wrapperIyyNSC_4lessIyEEEEEE10hipError_tPvRmT0_T1_T2_T3_T4_T5_mmT6_P12ihipStream_tbEUlT_E_NS1_11comp_targetILNS1_3genE9ELNS1_11target_archE1100ELNS1_3gpuE3ELNS1_3repE0EEENS1_30default_config_static_selectorELNS0_4arch9wavefront6targetE0EEEvS11_.numbered_sgpr, 0
	.set _ZN7rocprim17ROCPRIM_400000_NS6detail17trampoline_kernelINS0_14default_configENS1_21merge_config_selectorINS0_5tupleIJyyEEENS0_10empty_typeEEEZNS1_10merge_implIS3_NS0_12zip_iteratorINS5_IJN6thrust23THRUST_200600_302600_NS6detail15normal_iteratorINSC_10device_ptrIKyEEEESI_EEEEESK_NSA_INS5_IJNSC_16discard_iteratorINSC_11use_defaultEEESN_EEEEEPS7_SQ_SQ_NSC_11hip_rocprim7__merge17predicate_wrapperIyyNSC_4lessIyEEEEEE10hipError_tPvRmT0_T1_T2_T3_T4_T5_mmT6_P12ihipStream_tbEUlT_E_NS1_11comp_targetILNS1_3genE9ELNS1_11target_archE1100ELNS1_3gpuE3ELNS1_3repE0EEENS1_30default_config_static_selectorELNS0_4arch9wavefront6targetE0EEEvS11_.num_named_barrier, 0
	.set _ZN7rocprim17ROCPRIM_400000_NS6detail17trampoline_kernelINS0_14default_configENS1_21merge_config_selectorINS0_5tupleIJyyEEENS0_10empty_typeEEEZNS1_10merge_implIS3_NS0_12zip_iteratorINS5_IJN6thrust23THRUST_200600_302600_NS6detail15normal_iteratorINSC_10device_ptrIKyEEEESI_EEEEESK_NSA_INS5_IJNSC_16discard_iteratorINSC_11use_defaultEEESN_EEEEEPS7_SQ_SQ_NSC_11hip_rocprim7__merge17predicate_wrapperIyyNSC_4lessIyEEEEEE10hipError_tPvRmT0_T1_T2_T3_T4_T5_mmT6_P12ihipStream_tbEUlT_E_NS1_11comp_targetILNS1_3genE9ELNS1_11target_archE1100ELNS1_3gpuE3ELNS1_3repE0EEENS1_30default_config_static_selectorELNS0_4arch9wavefront6targetE0EEEvS11_.private_seg_size, 0
	.set _ZN7rocprim17ROCPRIM_400000_NS6detail17trampoline_kernelINS0_14default_configENS1_21merge_config_selectorINS0_5tupleIJyyEEENS0_10empty_typeEEEZNS1_10merge_implIS3_NS0_12zip_iteratorINS5_IJN6thrust23THRUST_200600_302600_NS6detail15normal_iteratorINSC_10device_ptrIKyEEEESI_EEEEESK_NSA_INS5_IJNSC_16discard_iteratorINSC_11use_defaultEEESN_EEEEEPS7_SQ_SQ_NSC_11hip_rocprim7__merge17predicate_wrapperIyyNSC_4lessIyEEEEEE10hipError_tPvRmT0_T1_T2_T3_T4_T5_mmT6_P12ihipStream_tbEUlT_E_NS1_11comp_targetILNS1_3genE9ELNS1_11target_archE1100ELNS1_3gpuE3ELNS1_3repE0EEENS1_30default_config_static_selectorELNS0_4arch9wavefront6targetE0EEEvS11_.uses_vcc, 0
	.set _ZN7rocprim17ROCPRIM_400000_NS6detail17trampoline_kernelINS0_14default_configENS1_21merge_config_selectorINS0_5tupleIJyyEEENS0_10empty_typeEEEZNS1_10merge_implIS3_NS0_12zip_iteratorINS5_IJN6thrust23THRUST_200600_302600_NS6detail15normal_iteratorINSC_10device_ptrIKyEEEESI_EEEEESK_NSA_INS5_IJNSC_16discard_iteratorINSC_11use_defaultEEESN_EEEEEPS7_SQ_SQ_NSC_11hip_rocprim7__merge17predicate_wrapperIyyNSC_4lessIyEEEEEE10hipError_tPvRmT0_T1_T2_T3_T4_T5_mmT6_P12ihipStream_tbEUlT_E_NS1_11comp_targetILNS1_3genE9ELNS1_11target_archE1100ELNS1_3gpuE3ELNS1_3repE0EEENS1_30default_config_static_selectorELNS0_4arch9wavefront6targetE0EEEvS11_.uses_flat_scratch, 0
	.set _ZN7rocprim17ROCPRIM_400000_NS6detail17trampoline_kernelINS0_14default_configENS1_21merge_config_selectorINS0_5tupleIJyyEEENS0_10empty_typeEEEZNS1_10merge_implIS3_NS0_12zip_iteratorINS5_IJN6thrust23THRUST_200600_302600_NS6detail15normal_iteratorINSC_10device_ptrIKyEEEESI_EEEEESK_NSA_INS5_IJNSC_16discard_iteratorINSC_11use_defaultEEESN_EEEEEPS7_SQ_SQ_NSC_11hip_rocprim7__merge17predicate_wrapperIyyNSC_4lessIyEEEEEE10hipError_tPvRmT0_T1_T2_T3_T4_T5_mmT6_P12ihipStream_tbEUlT_E_NS1_11comp_targetILNS1_3genE9ELNS1_11target_archE1100ELNS1_3gpuE3ELNS1_3repE0EEENS1_30default_config_static_selectorELNS0_4arch9wavefront6targetE0EEEvS11_.has_dyn_sized_stack, 0
	.set _ZN7rocprim17ROCPRIM_400000_NS6detail17trampoline_kernelINS0_14default_configENS1_21merge_config_selectorINS0_5tupleIJyyEEENS0_10empty_typeEEEZNS1_10merge_implIS3_NS0_12zip_iteratorINS5_IJN6thrust23THRUST_200600_302600_NS6detail15normal_iteratorINSC_10device_ptrIKyEEEESI_EEEEESK_NSA_INS5_IJNSC_16discard_iteratorINSC_11use_defaultEEESN_EEEEEPS7_SQ_SQ_NSC_11hip_rocprim7__merge17predicate_wrapperIyyNSC_4lessIyEEEEEE10hipError_tPvRmT0_T1_T2_T3_T4_T5_mmT6_P12ihipStream_tbEUlT_E_NS1_11comp_targetILNS1_3genE9ELNS1_11target_archE1100ELNS1_3gpuE3ELNS1_3repE0EEENS1_30default_config_static_selectorELNS0_4arch9wavefront6targetE0EEEvS11_.has_recursion, 0
	.set _ZN7rocprim17ROCPRIM_400000_NS6detail17trampoline_kernelINS0_14default_configENS1_21merge_config_selectorINS0_5tupleIJyyEEENS0_10empty_typeEEEZNS1_10merge_implIS3_NS0_12zip_iteratorINS5_IJN6thrust23THRUST_200600_302600_NS6detail15normal_iteratorINSC_10device_ptrIKyEEEESI_EEEEESK_NSA_INS5_IJNSC_16discard_iteratorINSC_11use_defaultEEESN_EEEEEPS7_SQ_SQ_NSC_11hip_rocprim7__merge17predicate_wrapperIyyNSC_4lessIyEEEEEE10hipError_tPvRmT0_T1_T2_T3_T4_T5_mmT6_P12ihipStream_tbEUlT_E_NS1_11comp_targetILNS1_3genE9ELNS1_11target_archE1100ELNS1_3gpuE3ELNS1_3repE0EEENS1_30default_config_static_selectorELNS0_4arch9wavefront6targetE0EEEvS11_.has_indirect_call, 0
	.section	.AMDGPU.csdata,"",@progbits
; Kernel info:
; codeLenInByte = 0
; TotalNumSgprs: 0
; NumVgprs: 0
; ScratchSize: 0
; MemoryBound: 0
; FloatMode: 240
; IeeeMode: 1
; LDSByteSize: 0 bytes/workgroup (compile time only)
; SGPRBlocks: 0
; VGPRBlocks: 0
; NumSGPRsForWavesPerEU: 1
; NumVGPRsForWavesPerEU: 1
; NamedBarCnt: 0
; Occupancy: 16
; WaveLimiterHint : 0
; COMPUTE_PGM_RSRC2:SCRATCH_EN: 0
; COMPUTE_PGM_RSRC2:USER_SGPR: 2
; COMPUTE_PGM_RSRC2:TRAP_HANDLER: 0
; COMPUTE_PGM_RSRC2:TGID_X_EN: 1
; COMPUTE_PGM_RSRC2:TGID_Y_EN: 0
; COMPUTE_PGM_RSRC2:TGID_Z_EN: 0
; COMPUTE_PGM_RSRC2:TIDIG_COMP_CNT: 0
	.section	.text._ZN7rocprim17ROCPRIM_400000_NS6detail17trampoline_kernelINS0_14default_configENS1_21merge_config_selectorINS0_5tupleIJyyEEENS0_10empty_typeEEEZNS1_10merge_implIS3_NS0_12zip_iteratorINS5_IJN6thrust23THRUST_200600_302600_NS6detail15normal_iteratorINSC_10device_ptrIKyEEEESI_EEEEESK_NSA_INS5_IJNSC_16discard_iteratorINSC_11use_defaultEEESN_EEEEEPS7_SQ_SQ_NSC_11hip_rocprim7__merge17predicate_wrapperIyyNSC_4lessIyEEEEEE10hipError_tPvRmT0_T1_T2_T3_T4_T5_mmT6_P12ihipStream_tbEUlT_E_NS1_11comp_targetILNS1_3genE8ELNS1_11target_archE1030ELNS1_3gpuE2ELNS1_3repE0EEENS1_30default_config_static_selectorELNS0_4arch9wavefront6targetE0EEEvS11_,"axG",@progbits,_ZN7rocprim17ROCPRIM_400000_NS6detail17trampoline_kernelINS0_14default_configENS1_21merge_config_selectorINS0_5tupleIJyyEEENS0_10empty_typeEEEZNS1_10merge_implIS3_NS0_12zip_iteratorINS5_IJN6thrust23THRUST_200600_302600_NS6detail15normal_iteratorINSC_10device_ptrIKyEEEESI_EEEEESK_NSA_INS5_IJNSC_16discard_iteratorINSC_11use_defaultEEESN_EEEEEPS7_SQ_SQ_NSC_11hip_rocprim7__merge17predicate_wrapperIyyNSC_4lessIyEEEEEE10hipError_tPvRmT0_T1_T2_T3_T4_T5_mmT6_P12ihipStream_tbEUlT_E_NS1_11comp_targetILNS1_3genE8ELNS1_11target_archE1030ELNS1_3gpuE2ELNS1_3repE0EEENS1_30default_config_static_selectorELNS0_4arch9wavefront6targetE0EEEvS11_,comdat
	.protected	_ZN7rocprim17ROCPRIM_400000_NS6detail17trampoline_kernelINS0_14default_configENS1_21merge_config_selectorINS0_5tupleIJyyEEENS0_10empty_typeEEEZNS1_10merge_implIS3_NS0_12zip_iteratorINS5_IJN6thrust23THRUST_200600_302600_NS6detail15normal_iteratorINSC_10device_ptrIKyEEEESI_EEEEESK_NSA_INS5_IJNSC_16discard_iteratorINSC_11use_defaultEEESN_EEEEEPS7_SQ_SQ_NSC_11hip_rocprim7__merge17predicate_wrapperIyyNSC_4lessIyEEEEEE10hipError_tPvRmT0_T1_T2_T3_T4_T5_mmT6_P12ihipStream_tbEUlT_E_NS1_11comp_targetILNS1_3genE8ELNS1_11target_archE1030ELNS1_3gpuE2ELNS1_3repE0EEENS1_30default_config_static_selectorELNS0_4arch9wavefront6targetE0EEEvS11_ ; -- Begin function _ZN7rocprim17ROCPRIM_400000_NS6detail17trampoline_kernelINS0_14default_configENS1_21merge_config_selectorINS0_5tupleIJyyEEENS0_10empty_typeEEEZNS1_10merge_implIS3_NS0_12zip_iteratorINS5_IJN6thrust23THRUST_200600_302600_NS6detail15normal_iteratorINSC_10device_ptrIKyEEEESI_EEEEESK_NSA_INS5_IJNSC_16discard_iteratorINSC_11use_defaultEEESN_EEEEEPS7_SQ_SQ_NSC_11hip_rocprim7__merge17predicate_wrapperIyyNSC_4lessIyEEEEEE10hipError_tPvRmT0_T1_T2_T3_T4_T5_mmT6_P12ihipStream_tbEUlT_E_NS1_11comp_targetILNS1_3genE8ELNS1_11target_archE1030ELNS1_3gpuE2ELNS1_3repE0EEENS1_30default_config_static_selectorELNS0_4arch9wavefront6targetE0EEEvS11_
	.globl	_ZN7rocprim17ROCPRIM_400000_NS6detail17trampoline_kernelINS0_14default_configENS1_21merge_config_selectorINS0_5tupleIJyyEEENS0_10empty_typeEEEZNS1_10merge_implIS3_NS0_12zip_iteratorINS5_IJN6thrust23THRUST_200600_302600_NS6detail15normal_iteratorINSC_10device_ptrIKyEEEESI_EEEEESK_NSA_INS5_IJNSC_16discard_iteratorINSC_11use_defaultEEESN_EEEEEPS7_SQ_SQ_NSC_11hip_rocprim7__merge17predicate_wrapperIyyNSC_4lessIyEEEEEE10hipError_tPvRmT0_T1_T2_T3_T4_T5_mmT6_P12ihipStream_tbEUlT_E_NS1_11comp_targetILNS1_3genE8ELNS1_11target_archE1030ELNS1_3gpuE2ELNS1_3repE0EEENS1_30default_config_static_selectorELNS0_4arch9wavefront6targetE0EEEvS11_
	.p2align	8
	.type	_ZN7rocprim17ROCPRIM_400000_NS6detail17trampoline_kernelINS0_14default_configENS1_21merge_config_selectorINS0_5tupleIJyyEEENS0_10empty_typeEEEZNS1_10merge_implIS3_NS0_12zip_iteratorINS5_IJN6thrust23THRUST_200600_302600_NS6detail15normal_iteratorINSC_10device_ptrIKyEEEESI_EEEEESK_NSA_INS5_IJNSC_16discard_iteratorINSC_11use_defaultEEESN_EEEEEPS7_SQ_SQ_NSC_11hip_rocprim7__merge17predicate_wrapperIyyNSC_4lessIyEEEEEE10hipError_tPvRmT0_T1_T2_T3_T4_T5_mmT6_P12ihipStream_tbEUlT_E_NS1_11comp_targetILNS1_3genE8ELNS1_11target_archE1030ELNS1_3gpuE2ELNS1_3repE0EEENS1_30default_config_static_selectorELNS0_4arch9wavefront6targetE0EEEvS11_,@function
_ZN7rocprim17ROCPRIM_400000_NS6detail17trampoline_kernelINS0_14default_configENS1_21merge_config_selectorINS0_5tupleIJyyEEENS0_10empty_typeEEEZNS1_10merge_implIS3_NS0_12zip_iteratorINS5_IJN6thrust23THRUST_200600_302600_NS6detail15normal_iteratorINSC_10device_ptrIKyEEEESI_EEEEESK_NSA_INS5_IJNSC_16discard_iteratorINSC_11use_defaultEEESN_EEEEEPS7_SQ_SQ_NSC_11hip_rocprim7__merge17predicate_wrapperIyyNSC_4lessIyEEEEEE10hipError_tPvRmT0_T1_T2_T3_T4_T5_mmT6_P12ihipStream_tbEUlT_E_NS1_11comp_targetILNS1_3genE8ELNS1_11target_archE1030ELNS1_3gpuE2ELNS1_3repE0EEENS1_30default_config_static_selectorELNS0_4arch9wavefront6targetE0EEEvS11_: ; @_ZN7rocprim17ROCPRIM_400000_NS6detail17trampoline_kernelINS0_14default_configENS1_21merge_config_selectorINS0_5tupleIJyyEEENS0_10empty_typeEEEZNS1_10merge_implIS3_NS0_12zip_iteratorINS5_IJN6thrust23THRUST_200600_302600_NS6detail15normal_iteratorINSC_10device_ptrIKyEEEESI_EEEEESK_NSA_INS5_IJNSC_16discard_iteratorINSC_11use_defaultEEESN_EEEEEPS7_SQ_SQ_NSC_11hip_rocprim7__merge17predicate_wrapperIyyNSC_4lessIyEEEEEE10hipError_tPvRmT0_T1_T2_T3_T4_T5_mmT6_P12ihipStream_tbEUlT_E_NS1_11comp_targetILNS1_3genE8ELNS1_11target_archE1030ELNS1_3gpuE2ELNS1_3repE0EEENS1_30default_config_static_selectorELNS0_4arch9wavefront6targetE0EEEvS11_
; %bb.0:
	.section	.rodata,"a",@progbits
	.p2align	6, 0x0
	.amdhsa_kernel _ZN7rocprim17ROCPRIM_400000_NS6detail17trampoline_kernelINS0_14default_configENS1_21merge_config_selectorINS0_5tupleIJyyEEENS0_10empty_typeEEEZNS1_10merge_implIS3_NS0_12zip_iteratorINS5_IJN6thrust23THRUST_200600_302600_NS6detail15normal_iteratorINSC_10device_ptrIKyEEEESI_EEEEESK_NSA_INS5_IJNSC_16discard_iteratorINSC_11use_defaultEEESN_EEEEEPS7_SQ_SQ_NSC_11hip_rocprim7__merge17predicate_wrapperIyyNSC_4lessIyEEEEEE10hipError_tPvRmT0_T1_T2_T3_T4_T5_mmT6_P12ihipStream_tbEUlT_E_NS1_11comp_targetILNS1_3genE8ELNS1_11target_archE1030ELNS1_3gpuE2ELNS1_3repE0EEENS1_30default_config_static_selectorELNS0_4arch9wavefront6targetE0EEEvS11_
		.amdhsa_group_segment_fixed_size 0
		.amdhsa_private_segment_fixed_size 0
		.amdhsa_kernarg_size 64
		.amdhsa_user_sgpr_count 2
		.amdhsa_user_sgpr_dispatch_ptr 0
		.amdhsa_user_sgpr_queue_ptr 0
		.amdhsa_user_sgpr_kernarg_segment_ptr 1
		.amdhsa_user_sgpr_dispatch_id 0
		.amdhsa_user_sgpr_kernarg_preload_length 0
		.amdhsa_user_sgpr_kernarg_preload_offset 0
		.amdhsa_user_sgpr_private_segment_size 0
		.amdhsa_wavefront_size32 1
		.amdhsa_uses_dynamic_stack 0
		.amdhsa_enable_private_segment 0
		.amdhsa_system_sgpr_workgroup_id_x 1
		.amdhsa_system_sgpr_workgroup_id_y 0
		.amdhsa_system_sgpr_workgroup_id_z 0
		.amdhsa_system_sgpr_workgroup_info 0
		.amdhsa_system_vgpr_workitem_id 0
		.amdhsa_next_free_vgpr 1
		.amdhsa_next_free_sgpr 1
		.amdhsa_named_barrier_count 0
		.amdhsa_reserve_vcc 0
		.amdhsa_float_round_mode_32 0
		.amdhsa_float_round_mode_16_64 0
		.amdhsa_float_denorm_mode_32 3
		.amdhsa_float_denorm_mode_16_64 3
		.amdhsa_fp16_overflow 0
		.amdhsa_memory_ordered 1
		.amdhsa_forward_progress 1
		.amdhsa_inst_pref_size 0
		.amdhsa_round_robin_scheduling 0
		.amdhsa_exception_fp_ieee_invalid_op 0
		.amdhsa_exception_fp_denorm_src 0
		.amdhsa_exception_fp_ieee_div_zero 0
		.amdhsa_exception_fp_ieee_overflow 0
		.amdhsa_exception_fp_ieee_underflow 0
		.amdhsa_exception_fp_ieee_inexact 0
		.amdhsa_exception_int_div_zero 0
	.end_amdhsa_kernel
	.section	.text._ZN7rocprim17ROCPRIM_400000_NS6detail17trampoline_kernelINS0_14default_configENS1_21merge_config_selectorINS0_5tupleIJyyEEENS0_10empty_typeEEEZNS1_10merge_implIS3_NS0_12zip_iteratorINS5_IJN6thrust23THRUST_200600_302600_NS6detail15normal_iteratorINSC_10device_ptrIKyEEEESI_EEEEESK_NSA_INS5_IJNSC_16discard_iteratorINSC_11use_defaultEEESN_EEEEEPS7_SQ_SQ_NSC_11hip_rocprim7__merge17predicate_wrapperIyyNSC_4lessIyEEEEEE10hipError_tPvRmT0_T1_T2_T3_T4_T5_mmT6_P12ihipStream_tbEUlT_E_NS1_11comp_targetILNS1_3genE8ELNS1_11target_archE1030ELNS1_3gpuE2ELNS1_3repE0EEENS1_30default_config_static_selectorELNS0_4arch9wavefront6targetE0EEEvS11_,"axG",@progbits,_ZN7rocprim17ROCPRIM_400000_NS6detail17trampoline_kernelINS0_14default_configENS1_21merge_config_selectorINS0_5tupleIJyyEEENS0_10empty_typeEEEZNS1_10merge_implIS3_NS0_12zip_iteratorINS5_IJN6thrust23THRUST_200600_302600_NS6detail15normal_iteratorINSC_10device_ptrIKyEEEESI_EEEEESK_NSA_INS5_IJNSC_16discard_iteratorINSC_11use_defaultEEESN_EEEEEPS7_SQ_SQ_NSC_11hip_rocprim7__merge17predicate_wrapperIyyNSC_4lessIyEEEEEE10hipError_tPvRmT0_T1_T2_T3_T4_T5_mmT6_P12ihipStream_tbEUlT_E_NS1_11comp_targetILNS1_3genE8ELNS1_11target_archE1030ELNS1_3gpuE2ELNS1_3repE0EEENS1_30default_config_static_selectorELNS0_4arch9wavefront6targetE0EEEvS11_,comdat
.Lfunc_end523:
	.size	_ZN7rocprim17ROCPRIM_400000_NS6detail17trampoline_kernelINS0_14default_configENS1_21merge_config_selectorINS0_5tupleIJyyEEENS0_10empty_typeEEEZNS1_10merge_implIS3_NS0_12zip_iteratorINS5_IJN6thrust23THRUST_200600_302600_NS6detail15normal_iteratorINSC_10device_ptrIKyEEEESI_EEEEESK_NSA_INS5_IJNSC_16discard_iteratorINSC_11use_defaultEEESN_EEEEEPS7_SQ_SQ_NSC_11hip_rocprim7__merge17predicate_wrapperIyyNSC_4lessIyEEEEEE10hipError_tPvRmT0_T1_T2_T3_T4_T5_mmT6_P12ihipStream_tbEUlT_E_NS1_11comp_targetILNS1_3genE8ELNS1_11target_archE1030ELNS1_3gpuE2ELNS1_3repE0EEENS1_30default_config_static_selectorELNS0_4arch9wavefront6targetE0EEEvS11_, .Lfunc_end523-_ZN7rocprim17ROCPRIM_400000_NS6detail17trampoline_kernelINS0_14default_configENS1_21merge_config_selectorINS0_5tupleIJyyEEENS0_10empty_typeEEEZNS1_10merge_implIS3_NS0_12zip_iteratorINS5_IJN6thrust23THRUST_200600_302600_NS6detail15normal_iteratorINSC_10device_ptrIKyEEEESI_EEEEESK_NSA_INS5_IJNSC_16discard_iteratorINSC_11use_defaultEEESN_EEEEEPS7_SQ_SQ_NSC_11hip_rocprim7__merge17predicate_wrapperIyyNSC_4lessIyEEEEEE10hipError_tPvRmT0_T1_T2_T3_T4_T5_mmT6_P12ihipStream_tbEUlT_E_NS1_11comp_targetILNS1_3genE8ELNS1_11target_archE1030ELNS1_3gpuE2ELNS1_3repE0EEENS1_30default_config_static_selectorELNS0_4arch9wavefront6targetE0EEEvS11_
                                        ; -- End function
	.set _ZN7rocprim17ROCPRIM_400000_NS6detail17trampoline_kernelINS0_14default_configENS1_21merge_config_selectorINS0_5tupleIJyyEEENS0_10empty_typeEEEZNS1_10merge_implIS3_NS0_12zip_iteratorINS5_IJN6thrust23THRUST_200600_302600_NS6detail15normal_iteratorINSC_10device_ptrIKyEEEESI_EEEEESK_NSA_INS5_IJNSC_16discard_iteratorINSC_11use_defaultEEESN_EEEEEPS7_SQ_SQ_NSC_11hip_rocprim7__merge17predicate_wrapperIyyNSC_4lessIyEEEEEE10hipError_tPvRmT0_T1_T2_T3_T4_T5_mmT6_P12ihipStream_tbEUlT_E_NS1_11comp_targetILNS1_3genE8ELNS1_11target_archE1030ELNS1_3gpuE2ELNS1_3repE0EEENS1_30default_config_static_selectorELNS0_4arch9wavefront6targetE0EEEvS11_.num_vgpr, 0
	.set _ZN7rocprim17ROCPRIM_400000_NS6detail17trampoline_kernelINS0_14default_configENS1_21merge_config_selectorINS0_5tupleIJyyEEENS0_10empty_typeEEEZNS1_10merge_implIS3_NS0_12zip_iteratorINS5_IJN6thrust23THRUST_200600_302600_NS6detail15normal_iteratorINSC_10device_ptrIKyEEEESI_EEEEESK_NSA_INS5_IJNSC_16discard_iteratorINSC_11use_defaultEEESN_EEEEEPS7_SQ_SQ_NSC_11hip_rocprim7__merge17predicate_wrapperIyyNSC_4lessIyEEEEEE10hipError_tPvRmT0_T1_T2_T3_T4_T5_mmT6_P12ihipStream_tbEUlT_E_NS1_11comp_targetILNS1_3genE8ELNS1_11target_archE1030ELNS1_3gpuE2ELNS1_3repE0EEENS1_30default_config_static_selectorELNS0_4arch9wavefront6targetE0EEEvS11_.num_agpr, 0
	.set _ZN7rocprim17ROCPRIM_400000_NS6detail17trampoline_kernelINS0_14default_configENS1_21merge_config_selectorINS0_5tupleIJyyEEENS0_10empty_typeEEEZNS1_10merge_implIS3_NS0_12zip_iteratorINS5_IJN6thrust23THRUST_200600_302600_NS6detail15normal_iteratorINSC_10device_ptrIKyEEEESI_EEEEESK_NSA_INS5_IJNSC_16discard_iteratorINSC_11use_defaultEEESN_EEEEEPS7_SQ_SQ_NSC_11hip_rocprim7__merge17predicate_wrapperIyyNSC_4lessIyEEEEEE10hipError_tPvRmT0_T1_T2_T3_T4_T5_mmT6_P12ihipStream_tbEUlT_E_NS1_11comp_targetILNS1_3genE8ELNS1_11target_archE1030ELNS1_3gpuE2ELNS1_3repE0EEENS1_30default_config_static_selectorELNS0_4arch9wavefront6targetE0EEEvS11_.numbered_sgpr, 0
	.set _ZN7rocprim17ROCPRIM_400000_NS6detail17trampoline_kernelINS0_14default_configENS1_21merge_config_selectorINS0_5tupleIJyyEEENS0_10empty_typeEEEZNS1_10merge_implIS3_NS0_12zip_iteratorINS5_IJN6thrust23THRUST_200600_302600_NS6detail15normal_iteratorINSC_10device_ptrIKyEEEESI_EEEEESK_NSA_INS5_IJNSC_16discard_iteratorINSC_11use_defaultEEESN_EEEEEPS7_SQ_SQ_NSC_11hip_rocprim7__merge17predicate_wrapperIyyNSC_4lessIyEEEEEE10hipError_tPvRmT0_T1_T2_T3_T4_T5_mmT6_P12ihipStream_tbEUlT_E_NS1_11comp_targetILNS1_3genE8ELNS1_11target_archE1030ELNS1_3gpuE2ELNS1_3repE0EEENS1_30default_config_static_selectorELNS0_4arch9wavefront6targetE0EEEvS11_.num_named_barrier, 0
	.set _ZN7rocprim17ROCPRIM_400000_NS6detail17trampoline_kernelINS0_14default_configENS1_21merge_config_selectorINS0_5tupleIJyyEEENS0_10empty_typeEEEZNS1_10merge_implIS3_NS0_12zip_iteratorINS5_IJN6thrust23THRUST_200600_302600_NS6detail15normal_iteratorINSC_10device_ptrIKyEEEESI_EEEEESK_NSA_INS5_IJNSC_16discard_iteratorINSC_11use_defaultEEESN_EEEEEPS7_SQ_SQ_NSC_11hip_rocprim7__merge17predicate_wrapperIyyNSC_4lessIyEEEEEE10hipError_tPvRmT0_T1_T2_T3_T4_T5_mmT6_P12ihipStream_tbEUlT_E_NS1_11comp_targetILNS1_3genE8ELNS1_11target_archE1030ELNS1_3gpuE2ELNS1_3repE0EEENS1_30default_config_static_selectorELNS0_4arch9wavefront6targetE0EEEvS11_.private_seg_size, 0
	.set _ZN7rocprim17ROCPRIM_400000_NS6detail17trampoline_kernelINS0_14default_configENS1_21merge_config_selectorINS0_5tupleIJyyEEENS0_10empty_typeEEEZNS1_10merge_implIS3_NS0_12zip_iteratorINS5_IJN6thrust23THRUST_200600_302600_NS6detail15normal_iteratorINSC_10device_ptrIKyEEEESI_EEEEESK_NSA_INS5_IJNSC_16discard_iteratorINSC_11use_defaultEEESN_EEEEEPS7_SQ_SQ_NSC_11hip_rocprim7__merge17predicate_wrapperIyyNSC_4lessIyEEEEEE10hipError_tPvRmT0_T1_T2_T3_T4_T5_mmT6_P12ihipStream_tbEUlT_E_NS1_11comp_targetILNS1_3genE8ELNS1_11target_archE1030ELNS1_3gpuE2ELNS1_3repE0EEENS1_30default_config_static_selectorELNS0_4arch9wavefront6targetE0EEEvS11_.uses_vcc, 0
	.set _ZN7rocprim17ROCPRIM_400000_NS6detail17trampoline_kernelINS0_14default_configENS1_21merge_config_selectorINS0_5tupleIJyyEEENS0_10empty_typeEEEZNS1_10merge_implIS3_NS0_12zip_iteratorINS5_IJN6thrust23THRUST_200600_302600_NS6detail15normal_iteratorINSC_10device_ptrIKyEEEESI_EEEEESK_NSA_INS5_IJNSC_16discard_iteratorINSC_11use_defaultEEESN_EEEEEPS7_SQ_SQ_NSC_11hip_rocprim7__merge17predicate_wrapperIyyNSC_4lessIyEEEEEE10hipError_tPvRmT0_T1_T2_T3_T4_T5_mmT6_P12ihipStream_tbEUlT_E_NS1_11comp_targetILNS1_3genE8ELNS1_11target_archE1030ELNS1_3gpuE2ELNS1_3repE0EEENS1_30default_config_static_selectorELNS0_4arch9wavefront6targetE0EEEvS11_.uses_flat_scratch, 0
	.set _ZN7rocprim17ROCPRIM_400000_NS6detail17trampoline_kernelINS0_14default_configENS1_21merge_config_selectorINS0_5tupleIJyyEEENS0_10empty_typeEEEZNS1_10merge_implIS3_NS0_12zip_iteratorINS5_IJN6thrust23THRUST_200600_302600_NS6detail15normal_iteratorINSC_10device_ptrIKyEEEESI_EEEEESK_NSA_INS5_IJNSC_16discard_iteratorINSC_11use_defaultEEESN_EEEEEPS7_SQ_SQ_NSC_11hip_rocprim7__merge17predicate_wrapperIyyNSC_4lessIyEEEEEE10hipError_tPvRmT0_T1_T2_T3_T4_T5_mmT6_P12ihipStream_tbEUlT_E_NS1_11comp_targetILNS1_3genE8ELNS1_11target_archE1030ELNS1_3gpuE2ELNS1_3repE0EEENS1_30default_config_static_selectorELNS0_4arch9wavefront6targetE0EEEvS11_.has_dyn_sized_stack, 0
	.set _ZN7rocprim17ROCPRIM_400000_NS6detail17trampoline_kernelINS0_14default_configENS1_21merge_config_selectorINS0_5tupleIJyyEEENS0_10empty_typeEEEZNS1_10merge_implIS3_NS0_12zip_iteratorINS5_IJN6thrust23THRUST_200600_302600_NS6detail15normal_iteratorINSC_10device_ptrIKyEEEESI_EEEEESK_NSA_INS5_IJNSC_16discard_iteratorINSC_11use_defaultEEESN_EEEEEPS7_SQ_SQ_NSC_11hip_rocprim7__merge17predicate_wrapperIyyNSC_4lessIyEEEEEE10hipError_tPvRmT0_T1_T2_T3_T4_T5_mmT6_P12ihipStream_tbEUlT_E_NS1_11comp_targetILNS1_3genE8ELNS1_11target_archE1030ELNS1_3gpuE2ELNS1_3repE0EEENS1_30default_config_static_selectorELNS0_4arch9wavefront6targetE0EEEvS11_.has_recursion, 0
	.set _ZN7rocprim17ROCPRIM_400000_NS6detail17trampoline_kernelINS0_14default_configENS1_21merge_config_selectorINS0_5tupleIJyyEEENS0_10empty_typeEEEZNS1_10merge_implIS3_NS0_12zip_iteratorINS5_IJN6thrust23THRUST_200600_302600_NS6detail15normal_iteratorINSC_10device_ptrIKyEEEESI_EEEEESK_NSA_INS5_IJNSC_16discard_iteratorINSC_11use_defaultEEESN_EEEEEPS7_SQ_SQ_NSC_11hip_rocprim7__merge17predicate_wrapperIyyNSC_4lessIyEEEEEE10hipError_tPvRmT0_T1_T2_T3_T4_T5_mmT6_P12ihipStream_tbEUlT_E_NS1_11comp_targetILNS1_3genE8ELNS1_11target_archE1030ELNS1_3gpuE2ELNS1_3repE0EEENS1_30default_config_static_selectorELNS0_4arch9wavefront6targetE0EEEvS11_.has_indirect_call, 0
	.section	.AMDGPU.csdata,"",@progbits
; Kernel info:
; codeLenInByte = 0
; TotalNumSgprs: 0
; NumVgprs: 0
; ScratchSize: 0
; MemoryBound: 0
; FloatMode: 240
; IeeeMode: 1
; LDSByteSize: 0 bytes/workgroup (compile time only)
; SGPRBlocks: 0
; VGPRBlocks: 0
; NumSGPRsForWavesPerEU: 1
; NumVGPRsForWavesPerEU: 1
; NamedBarCnt: 0
; Occupancy: 16
; WaveLimiterHint : 0
; COMPUTE_PGM_RSRC2:SCRATCH_EN: 0
; COMPUTE_PGM_RSRC2:USER_SGPR: 2
; COMPUTE_PGM_RSRC2:TRAP_HANDLER: 0
; COMPUTE_PGM_RSRC2:TGID_X_EN: 1
; COMPUTE_PGM_RSRC2:TGID_Y_EN: 0
; COMPUTE_PGM_RSRC2:TGID_Z_EN: 0
; COMPUTE_PGM_RSRC2:TIDIG_COMP_CNT: 0
	.section	.text._ZN7rocprim17ROCPRIM_400000_NS6detail17trampoline_kernelINS0_14default_configENS1_21merge_config_selectorINS0_5tupleIJyyEEENS0_10empty_typeEEEZNS1_10merge_implIS3_NS0_12zip_iteratorINS5_IJN6thrust23THRUST_200600_302600_NS6detail15normal_iteratorINSC_10device_ptrIKyEEEESI_EEEEESK_NSA_INS5_IJNSC_16discard_iteratorINSC_11use_defaultEEESN_EEEEEPS7_SQ_SQ_NSC_11hip_rocprim7__merge17predicate_wrapperIyyNSC_4lessIyEEEEEE10hipError_tPvRmT0_T1_T2_T3_T4_T5_mmT6_P12ihipStream_tbEUlT_E0_NS1_11comp_targetILNS1_3genE0ELNS1_11target_archE4294967295ELNS1_3gpuE0ELNS1_3repE0EEENS1_30default_config_static_selectorELNS0_4arch9wavefront6targetE0EEEvS11_,"axG",@progbits,_ZN7rocprim17ROCPRIM_400000_NS6detail17trampoline_kernelINS0_14default_configENS1_21merge_config_selectorINS0_5tupleIJyyEEENS0_10empty_typeEEEZNS1_10merge_implIS3_NS0_12zip_iteratorINS5_IJN6thrust23THRUST_200600_302600_NS6detail15normal_iteratorINSC_10device_ptrIKyEEEESI_EEEEESK_NSA_INS5_IJNSC_16discard_iteratorINSC_11use_defaultEEESN_EEEEEPS7_SQ_SQ_NSC_11hip_rocprim7__merge17predicate_wrapperIyyNSC_4lessIyEEEEEE10hipError_tPvRmT0_T1_T2_T3_T4_T5_mmT6_P12ihipStream_tbEUlT_E0_NS1_11comp_targetILNS1_3genE0ELNS1_11target_archE4294967295ELNS1_3gpuE0ELNS1_3repE0EEENS1_30default_config_static_selectorELNS0_4arch9wavefront6targetE0EEEvS11_,comdat
	.protected	_ZN7rocprim17ROCPRIM_400000_NS6detail17trampoline_kernelINS0_14default_configENS1_21merge_config_selectorINS0_5tupleIJyyEEENS0_10empty_typeEEEZNS1_10merge_implIS3_NS0_12zip_iteratorINS5_IJN6thrust23THRUST_200600_302600_NS6detail15normal_iteratorINSC_10device_ptrIKyEEEESI_EEEEESK_NSA_INS5_IJNSC_16discard_iteratorINSC_11use_defaultEEESN_EEEEEPS7_SQ_SQ_NSC_11hip_rocprim7__merge17predicate_wrapperIyyNSC_4lessIyEEEEEE10hipError_tPvRmT0_T1_T2_T3_T4_T5_mmT6_P12ihipStream_tbEUlT_E0_NS1_11comp_targetILNS1_3genE0ELNS1_11target_archE4294967295ELNS1_3gpuE0ELNS1_3repE0EEENS1_30default_config_static_selectorELNS0_4arch9wavefront6targetE0EEEvS11_ ; -- Begin function _ZN7rocprim17ROCPRIM_400000_NS6detail17trampoline_kernelINS0_14default_configENS1_21merge_config_selectorINS0_5tupleIJyyEEENS0_10empty_typeEEEZNS1_10merge_implIS3_NS0_12zip_iteratorINS5_IJN6thrust23THRUST_200600_302600_NS6detail15normal_iteratorINSC_10device_ptrIKyEEEESI_EEEEESK_NSA_INS5_IJNSC_16discard_iteratorINSC_11use_defaultEEESN_EEEEEPS7_SQ_SQ_NSC_11hip_rocprim7__merge17predicate_wrapperIyyNSC_4lessIyEEEEEE10hipError_tPvRmT0_T1_T2_T3_T4_T5_mmT6_P12ihipStream_tbEUlT_E0_NS1_11comp_targetILNS1_3genE0ELNS1_11target_archE4294967295ELNS1_3gpuE0ELNS1_3repE0EEENS1_30default_config_static_selectorELNS0_4arch9wavefront6targetE0EEEvS11_
	.globl	_ZN7rocprim17ROCPRIM_400000_NS6detail17trampoline_kernelINS0_14default_configENS1_21merge_config_selectorINS0_5tupleIJyyEEENS0_10empty_typeEEEZNS1_10merge_implIS3_NS0_12zip_iteratorINS5_IJN6thrust23THRUST_200600_302600_NS6detail15normal_iteratorINSC_10device_ptrIKyEEEESI_EEEEESK_NSA_INS5_IJNSC_16discard_iteratorINSC_11use_defaultEEESN_EEEEEPS7_SQ_SQ_NSC_11hip_rocprim7__merge17predicate_wrapperIyyNSC_4lessIyEEEEEE10hipError_tPvRmT0_T1_T2_T3_T4_T5_mmT6_P12ihipStream_tbEUlT_E0_NS1_11comp_targetILNS1_3genE0ELNS1_11target_archE4294967295ELNS1_3gpuE0ELNS1_3repE0EEENS1_30default_config_static_selectorELNS0_4arch9wavefront6targetE0EEEvS11_
	.p2align	8
	.type	_ZN7rocprim17ROCPRIM_400000_NS6detail17trampoline_kernelINS0_14default_configENS1_21merge_config_selectorINS0_5tupleIJyyEEENS0_10empty_typeEEEZNS1_10merge_implIS3_NS0_12zip_iteratorINS5_IJN6thrust23THRUST_200600_302600_NS6detail15normal_iteratorINSC_10device_ptrIKyEEEESI_EEEEESK_NSA_INS5_IJNSC_16discard_iteratorINSC_11use_defaultEEESN_EEEEEPS7_SQ_SQ_NSC_11hip_rocprim7__merge17predicate_wrapperIyyNSC_4lessIyEEEEEE10hipError_tPvRmT0_T1_T2_T3_T4_T5_mmT6_P12ihipStream_tbEUlT_E0_NS1_11comp_targetILNS1_3genE0ELNS1_11target_archE4294967295ELNS1_3gpuE0ELNS1_3repE0EEENS1_30default_config_static_selectorELNS0_4arch9wavefront6targetE0EEEvS11_,@function
_ZN7rocprim17ROCPRIM_400000_NS6detail17trampoline_kernelINS0_14default_configENS1_21merge_config_selectorINS0_5tupleIJyyEEENS0_10empty_typeEEEZNS1_10merge_implIS3_NS0_12zip_iteratorINS5_IJN6thrust23THRUST_200600_302600_NS6detail15normal_iteratorINSC_10device_ptrIKyEEEESI_EEEEESK_NSA_INS5_IJNSC_16discard_iteratorINSC_11use_defaultEEESN_EEEEEPS7_SQ_SQ_NSC_11hip_rocprim7__merge17predicate_wrapperIyyNSC_4lessIyEEEEEE10hipError_tPvRmT0_T1_T2_T3_T4_T5_mmT6_P12ihipStream_tbEUlT_E0_NS1_11comp_targetILNS1_3genE0ELNS1_11target_archE4294967295ELNS1_3gpuE0ELNS1_3repE0EEENS1_30default_config_static_selectorELNS0_4arch9wavefront6targetE0EEEvS11_: ; @_ZN7rocprim17ROCPRIM_400000_NS6detail17trampoline_kernelINS0_14default_configENS1_21merge_config_selectorINS0_5tupleIJyyEEENS0_10empty_typeEEEZNS1_10merge_implIS3_NS0_12zip_iteratorINS5_IJN6thrust23THRUST_200600_302600_NS6detail15normal_iteratorINSC_10device_ptrIKyEEEESI_EEEEESK_NSA_INS5_IJNSC_16discard_iteratorINSC_11use_defaultEEESN_EEEEEPS7_SQ_SQ_NSC_11hip_rocprim7__merge17predicate_wrapperIyyNSC_4lessIyEEEEEE10hipError_tPvRmT0_T1_T2_T3_T4_T5_mmT6_P12ihipStream_tbEUlT_E0_NS1_11comp_targetILNS1_3genE0ELNS1_11target_archE4294967295ELNS1_3gpuE0ELNS1_3repE0EEENS1_30default_config_static_selectorELNS0_4arch9wavefront6targetE0EEEvS11_
; %bb.0:
	s_clause 0x1
	s_load_b128 s[12:15], s[0:1], 0x68
	s_load_b256 s[4:11], s[0:1], 0x8
	s_bfe_u32 s2, ttmp6, 0x4000c
	s_and_b32 s3, ttmp6, 15
	s_add_co_i32 s2, s2, 1
	s_wait_kmcnt 0x0
	s_getreg_b32 s13, hwreg(HW_REG_IB_STS2, 6, 4)
	s_mul_i32 s2, ttmp9, s2
	v_mov_b32_e32 v1, 0
	s_add_co_i32 s3, s3, s2
	s_cmp_eq_u32 s13, 0
	s_cselect_b32 s15, ttmp9, s3
	s_delay_alu instid0(SALU_CYCLE_1) | instskip(SKIP_2) | instid1(SALU_CYCLE_1)
	s_add_co_i32 s3, s15, 1
	s_lshl_b32 s17, s15, 10
	s_add_co_i32 s16, s14, s12
	s_add_co_i32 s2, s16, 0x3ff
	s_delay_alu instid0(SALU_CYCLE_1) | instskip(NEXT) | instid1(SALU_CYCLE_1)
	s_lshr_b32 s2, s2, 10
	s_min_u32 s14, s15, s2
	s_min_u32 s3, s3, s2
	s_clause 0x1
	s_load_b32 s2, s[4:5], s14 offset:0x0 scale_offset
	s_load_b32 s20, s[4:5], s3 offset:0x0 scale_offset
	s_load_b64 s[12:13], s[0:1], 0x28
	s_wait_xcnt 0x0
	s_mov_b32 s3, 0
	s_add_co_i32 s0, s17, 0x400
	s_mov_b32 s1, s3
	s_min_u32 s21, s16, s0
	s_wait_kmcnt 0x0
	s_sub_co_i32 s0, s17, s2
	s_lshl_b64 s[14:15], s[2:3], 3
	s_lshl_b64 s[18:19], s[0:1], 3
	s_add_co_i32 s0, s0, s20
	s_sub_co_i32 s2, s20, s2
	s_sub_co_i32 s0, s21, s0
	s_add_nc_u64 s[4:5], s[10:11], s[18:19]
	s_add_nc_u64 s[10:11], s[12:13], s[18:19]
	;; [unrolled: 1-line block ×3, first 2 shown]
	s_mov_b32 s1, exec_lo
	v_cmpx_le_u32_e64 s2, v0
	s_xor_b32 s1, exec_lo, s1
	s_cbranch_execz .LBB524_4
; %bb.1:
	s_mov_b32 s18, exec_lo
	v_cmpx_gt_u64_e64 s[12:13], v[0:1]
	s_cbranch_execz .LBB524_3
; %bb.2:
	v_subrev_nc_u32_e32 v6, s2, v0
	s_clause 0x1
	global_load_b64 v[2:3], v6, s[4:5] scale_offset
	global_load_b64 v[4:5], v6, s[10:11] scale_offset
	s_wait_xcnt 0x0
	v_lshlrev_b32_e32 v6, 4, v0
	s_wait_loadcnt 0x0
	ds_store_b128 v6, v[2:5]
.LBB524_3:
	s_or_b32 exec_lo, exec_lo, s18
.LBB524_4:
	s_or_saveexec_b32 s1, s1
	v_lshlrev_b32_e32 v4, 4, v0
	s_add_nc_u64 s[6:7], s[6:7], s[14:15]
	s_add_nc_u64 s[8:9], s[8:9], s[14:15]
	s_xor_b32 exec_lo, exec_lo, s1
	s_cbranch_execz .LBB524_6
; %bb.5:
	s_clause 0x1
	global_load_b64 v[6:7], v0, s[6:7] scale_offset
	global_load_b64 v[8:9], v0, s[8:9] scale_offset
	s_wait_loadcnt 0x0
	ds_store_b128 v4, v[6:9]
.LBB524_6:
	s_or_b32 exec_lo, exec_lo, s1
	v_or_b32_e32 v2, 0x200, v0
	s_mov_b32 s1, exec_lo
	s_delay_alu instid0(VALU_DEP_1)
	v_cmpx_le_u32_e64 s2, v2
	s_xor_b32 s1, exec_lo, s1
	s_cbranch_execz .LBB524_10
; %bb.7:
	v_mov_b32_e32 v3, 0
	s_delay_alu instid0(VALU_DEP_1)
	v_cmp_gt_u64_e32 vcc_lo, s[12:13], v[2:3]
	s_and_saveexec_b32 s12, vcc_lo
	s_cbranch_execz .LBB524_9
; %bb.8:
	v_sub_nc_u64_e64 v[2:3], v[0:1], s[2:3]
	s_delay_alu instid0(VALU_DEP_1) | instskip(NEXT) | instid1(VALU_DEP_1)
	v_lshlrev_b64_e32 v[2:3], 3, v[2:3]
	v_add_nc_u64_e32 v[10:11], s[4:5], v[2:3]
	v_add_nc_u64_e32 v[2:3], s[10:11], v[2:3]
	global_load_b64 v[6:7], v[10:11], off offset:4096
	global_load_b64 v[8:9], v[2:3], off offset:4096
	s_wait_loadcnt 0x0
	ds_store_b128 v4, v[6:9] offset:8192
.LBB524_9:
	s_or_b32 exec_lo, exec_lo, s12
                                        ; implicit-def: $vgpr4
.LBB524_10:
	s_and_not1_saveexec_b32 s1, s1
	s_cbranch_execz .LBB524_12
; %bb.11:
	s_clause 0x1
	global_load_b64 v[6:7], v0, s[6:7] offset:4096 scale_offset
	global_load_b64 v[8:9], v0, s[8:9] offset:4096 scale_offset
	s_wait_loadcnt 0x0
	ds_store_b128 v4, v[6:9] offset:8192
.LBB524_12:
	s_or_b32 exec_lo, exec_lo, s1
	v_lshlrev_b32_e32 v1, 1, v0
	s_mov_b32 s1, exec_lo
	s_wait_dscnt 0x0
	s_barrier_signal -1
	s_barrier_wait -1
	v_sub_nc_u32_e64 v14, v1, s0 clamp
	v_min_u32_e32 v2, s2, v1
	s_delay_alu instid0(VALU_DEP_1)
	v_cmpx_lt_u32_e64 v14, v2
	s_cbranch_execz .LBB524_16
; %bb.13:
	v_lshlrev_b32_e32 v3, 4, v1
	s_delay_alu instid0(VALU_DEP_1)
	v_lshl_add_u32 v3, s2, 4, v3
.LBB524_14:                             ; =>This Inner Loop Header: Depth=1
	v_add_nc_u32_e32 v4, v2, v14
	s_delay_alu instid0(VALU_DEP_1) | instskip(NEXT) | instid1(VALU_DEP_1)
	v_lshrrev_b32_e32 v8, 1, v4
	v_not_b32_e32 v4, v8
	v_lshlrev_b32_e32 v5, 4, v8
	s_delay_alu instid0(VALU_DEP_2)
	v_lshl_add_u32 v6, v4, 4, v3
	ds_load_b64 v[4:5], v5
	ds_load_b64 v[6:7], v6
	s_wait_dscnt 0x0
	v_cmp_lt_u64_e32 vcc_lo, v[6:7], v[4:5]
	v_add_nc_u32_e32 v4, 1, v8
	s_delay_alu instid0(VALU_DEP_1) | instskip(NEXT) | instid1(VALU_DEP_1)
	v_dual_cndmask_b32 v14, v4, v14, vcc_lo :: v_dual_cndmask_b32 v2, v2, v8, vcc_lo
	v_cmp_ge_u32_e32 vcc_lo, v14, v2
	s_or_b32 s3, vcc_lo, s3
	s_delay_alu instid0(SALU_CYCLE_1)
	s_and_not1_b32 exec_lo, exec_lo, s3
	s_cbranch_execnz .LBB524_14
; %bb.15:
	s_or_b32 exec_lo, exec_lo, s3
.LBB524_16:
	s_delay_alu instid0(SALU_CYCLE_1)
	s_or_b32 exec_lo, exec_lo, s1
	v_add_nc_u32_e32 v2, s2, v1
	s_add_co_i32 s4, s0, s2
	v_cmp_ge_u32_e32 vcc_lo, s2, v14
	v_mov_b64_e32 v[12:13], 0
	v_mov_b64_e32 v[4:5], 0
	v_sub_nc_u32_e32 v15, v2, v14
	v_mov_b64_e32 v[2:3], 0
	v_mov_b64_e32 v[10:11], 0
	s_delay_alu instid0(VALU_DEP_3) | instskip(SKIP_1) | instid1(SALU_CYCLE_1)
	v_cmp_ge_u32_e64 s0, s4, v15
	s_or_b32 s0, vcc_lo, s0
	s_and_saveexec_b32 s3, s0
	s_cbranch_execz .LBB524_22
; %bb.17:
	v_mov_b64_e32 v[8:9], 0
	v_mov_b64_e32 v[4:5], 0
	v_mov_b64_e32 v[2:3], 0
	v_cmp_gt_u32_e32 vcc_lo, s2, v14
	s_and_saveexec_b32 s0, vcc_lo
; %bb.18:
	v_lshlrev_b32_e32 v2, 4, v14
	ds_load_b128 v[2:5], v2
; %bb.19:
	s_or_b32 exec_lo, exec_lo, s0
	v_mov_b64_e32 v[6:7], 0
	v_cmp_le_u32_e64 s0, s4, v15
	s_mov_b32 s5, exec_lo
	v_cmpx_gt_u32_e64 s4, v15
; %bb.20:
	v_lshlrev_b32_e32 v6, 4, v15
	ds_load_b128 v[6:9], v6
; %bb.21:
	s_or_b32 exec_lo, exec_lo, s5
	s_wait_dscnt 0x0
	v_cmp_ge_u64_e64 s1, v[6:7], v[2:3]
	s_and_b32 s1, vcc_lo, s1
	s_delay_alu instid0(SALU_CYCLE_1) | instskip(SKIP_2) | instid1(VALU_DEP_2)
	s_or_b32 vcc_lo, s0, s1
	v_dual_mov_b32 v10, s2 :: v_dual_cndmask_b32 v11, v15, v14
	v_cndmask_b32_e32 v13, v9, v5, vcc_lo
	v_dual_cndmask_b32 v10, s4, v10, vcc_lo :: v_dual_add_nc_u32 v12, 1, v11
	v_cndmask_b32_e32 v11, v7, v3, vcc_lo
	s_delay_alu instid0(VALU_DEP_2) | instskip(NEXT) | instid1(VALU_DEP_1)
	v_add_min_u32_e64 v10, v10, -1, v12
	v_lshlrev_b32_e32 v10, 4, v10
	ds_load_b128 v[16:19], v10
	s_wait_dscnt 0x0
	v_dual_cndmask_b32 v10, v6, v2 :: v_dual_cndmask_b32 v21, v17, v7
	v_dual_cndmask_b32 v20, v16, v6 :: v_dual_cndmask_b32 v17, v3, v17
	v_cndmask_b32_e32 v16, v2, v16, vcc_lo
	v_dual_cndmask_b32 v2, v14, v12 :: v_dual_cndmask_b32 v3, v12, v15
	v_dual_cndmask_b32 v12, v8, v4 :: v_dual_cndmask_b32 v7, v19, v9
	s_delay_alu instid0(VALU_DEP_3) | instskip(NEXT) | instid1(VALU_DEP_3)
	v_cmp_ge_u64_e64 s0, v[20:21], v[16:17]
	v_cmp_gt_u32_e64 s1, s2, v2
	s_delay_alu instid0(VALU_DEP_4) | instskip(SKIP_3) | instid1(SALU_CYCLE_1)
	v_cmp_le_u32_e64 s2, s4, v3
	v_dual_cndmask_b32 v6, v18, v8 :: v_dual_cndmask_b32 v5, v5, v19
	v_cndmask_b32_e32 v4, v4, v18, vcc_lo
	s_and_b32 s0, s1, s0
	s_or_b32 vcc_lo, s2, s0
	v_dual_cndmask_b32 v3, v21, v17 :: v_dual_cndmask_b32 v2, v20, v16
	s_delay_alu instid0(VALU_DEP_2)
	v_dual_cndmask_b32 v5, v7, v5 :: v_dual_cndmask_b32 v4, v6, v4
.LBB524_22:
	s_or_b32 exec_lo, exec_lo, s3
	v_and_b32_e32 v0, 0x1f0, v0
	s_sub_co_i32 s1, s16, s17
	s_mov_b32 s0, -1
	s_cmp_gt_u32 s1, 0x3ff
	s_delay_alu instid0(VALU_DEP_1)
	v_lshl_add_u32 v0, v1, 4, v0
	s_barrier_signal -1
	s_barrier_wait -1
	ds_store_b128 v0, v[10:13]
	ds_store_b128 v0, v[2:5] offset:16
	s_wait_dscnt 0x0
	s_cbranch_scc1 .LBB524_25
; %bb.23:
	s_and_not1_b32 vcc_lo, exec_lo, s0
	s_cbranch_vccz .LBB524_26
.LBB524_24:
	s_endpgm
.LBB524_25:
	s_barrier_signal -1
	s_barrier_wait -1
	s_cbranch_execnz .LBB524_24
.LBB524_26:
	s_barrier_signal -1
	s_barrier_wait -1
	s_endpgm
	.section	.rodata,"a",@progbits
	.p2align	6, 0x0
	.amdhsa_kernel _ZN7rocprim17ROCPRIM_400000_NS6detail17trampoline_kernelINS0_14default_configENS1_21merge_config_selectorINS0_5tupleIJyyEEENS0_10empty_typeEEEZNS1_10merge_implIS3_NS0_12zip_iteratorINS5_IJN6thrust23THRUST_200600_302600_NS6detail15normal_iteratorINSC_10device_ptrIKyEEEESI_EEEEESK_NSA_INS5_IJNSC_16discard_iteratorINSC_11use_defaultEEESN_EEEEEPS7_SQ_SQ_NSC_11hip_rocprim7__merge17predicate_wrapperIyyNSC_4lessIyEEEEEE10hipError_tPvRmT0_T1_T2_T3_T4_T5_mmT6_P12ihipStream_tbEUlT_E0_NS1_11comp_targetILNS1_3genE0ELNS1_11target_archE4294967295ELNS1_3gpuE0ELNS1_3repE0EEENS1_30default_config_static_selectorELNS0_4arch9wavefront6targetE0EEEvS11_
		.amdhsa_group_segment_fixed_size 16896
		.amdhsa_private_segment_fixed_size 0
		.amdhsa_kernarg_size 128
		.amdhsa_user_sgpr_count 2
		.amdhsa_user_sgpr_dispatch_ptr 0
		.amdhsa_user_sgpr_queue_ptr 0
		.amdhsa_user_sgpr_kernarg_segment_ptr 1
		.amdhsa_user_sgpr_dispatch_id 0
		.amdhsa_user_sgpr_kernarg_preload_length 0
		.amdhsa_user_sgpr_kernarg_preload_offset 0
		.amdhsa_user_sgpr_private_segment_size 0
		.amdhsa_wavefront_size32 1
		.amdhsa_uses_dynamic_stack 0
		.amdhsa_enable_private_segment 0
		.amdhsa_system_sgpr_workgroup_id_x 1
		.amdhsa_system_sgpr_workgroup_id_y 0
		.amdhsa_system_sgpr_workgroup_id_z 0
		.amdhsa_system_sgpr_workgroup_info 0
		.amdhsa_system_vgpr_workitem_id 0
		.amdhsa_next_free_vgpr 22
		.amdhsa_next_free_sgpr 22
		.amdhsa_named_barrier_count 0
		.amdhsa_reserve_vcc 1
		.amdhsa_float_round_mode_32 0
		.amdhsa_float_round_mode_16_64 0
		.amdhsa_float_denorm_mode_32 3
		.amdhsa_float_denorm_mode_16_64 3
		.amdhsa_fp16_overflow 0
		.amdhsa_memory_ordered 1
		.amdhsa_forward_progress 1
		.amdhsa_inst_pref_size 9
		.amdhsa_round_robin_scheduling 0
		.amdhsa_exception_fp_ieee_invalid_op 0
		.amdhsa_exception_fp_denorm_src 0
		.amdhsa_exception_fp_ieee_div_zero 0
		.amdhsa_exception_fp_ieee_overflow 0
		.amdhsa_exception_fp_ieee_underflow 0
		.amdhsa_exception_fp_ieee_inexact 0
		.amdhsa_exception_int_div_zero 0
	.end_amdhsa_kernel
	.section	.text._ZN7rocprim17ROCPRIM_400000_NS6detail17trampoline_kernelINS0_14default_configENS1_21merge_config_selectorINS0_5tupleIJyyEEENS0_10empty_typeEEEZNS1_10merge_implIS3_NS0_12zip_iteratorINS5_IJN6thrust23THRUST_200600_302600_NS6detail15normal_iteratorINSC_10device_ptrIKyEEEESI_EEEEESK_NSA_INS5_IJNSC_16discard_iteratorINSC_11use_defaultEEESN_EEEEEPS7_SQ_SQ_NSC_11hip_rocprim7__merge17predicate_wrapperIyyNSC_4lessIyEEEEEE10hipError_tPvRmT0_T1_T2_T3_T4_T5_mmT6_P12ihipStream_tbEUlT_E0_NS1_11comp_targetILNS1_3genE0ELNS1_11target_archE4294967295ELNS1_3gpuE0ELNS1_3repE0EEENS1_30default_config_static_selectorELNS0_4arch9wavefront6targetE0EEEvS11_,"axG",@progbits,_ZN7rocprim17ROCPRIM_400000_NS6detail17trampoline_kernelINS0_14default_configENS1_21merge_config_selectorINS0_5tupleIJyyEEENS0_10empty_typeEEEZNS1_10merge_implIS3_NS0_12zip_iteratorINS5_IJN6thrust23THRUST_200600_302600_NS6detail15normal_iteratorINSC_10device_ptrIKyEEEESI_EEEEESK_NSA_INS5_IJNSC_16discard_iteratorINSC_11use_defaultEEESN_EEEEEPS7_SQ_SQ_NSC_11hip_rocprim7__merge17predicate_wrapperIyyNSC_4lessIyEEEEEE10hipError_tPvRmT0_T1_T2_T3_T4_T5_mmT6_P12ihipStream_tbEUlT_E0_NS1_11comp_targetILNS1_3genE0ELNS1_11target_archE4294967295ELNS1_3gpuE0ELNS1_3repE0EEENS1_30default_config_static_selectorELNS0_4arch9wavefront6targetE0EEEvS11_,comdat
.Lfunc_end524:
	.size	_ZN7rocprim17ROCPRIM_400000_NS6detail17trampoline_kernelINS0_14default_configENS1_21merge_config_selectorINS0_5tupleIJyyEEENS0_10empty_typeEEEZNS1_10merge_implIS3_NS0_12zip_iteratorINS5_IJN6thrust23THRUST_200600_302600_NS6detail15normal_iteratorINSC_10device_ptrIKyEEEESI_EEEEESK_NSA_INS5_IJNSC_16discard_iteratorINSC_11use_defaultEEESN_EEEEEPS7_SQ_SQ_NSC_11hip_rocprim7__merge17predicate_wrapperIyyNSC_4lessIyEEEEEE10hipError_tPvRmT0_T1_T2_T3_T4_T5_mmT6_P12ihipStream_tbEUlT_E0_NS1_11comp_targetILNS1_3genE0ELNS1_11target_archE4294967295ELNS1_3gpuE0ELNS1_3repE0EEENS1_30default_config_static_selectorELNS0_4arch9wavefront6targetE0EEEvS11_, .Lfunc_end524-_ZN7rocprim17ROCPRIM_400000_NS6detail17trampoline_kernelINS0_14default_configENS1_21merge_config_selectorINS0_5tupleIJyyEEENS0_10empty_typeEEEZNS1_10merge_implIS3_NS0_12zip_iteratorINS5_IJN6thrust23THRUST_200600_302600_NS6detail15normal_iteratorINSC_10device_ptrIKyEEEESI_EEEEESK_NSA_INS5_IJNSC_16discard_iteratorINSC_11use_defaultEEESN_EEEEEPS7_SQ_SQ_NSC_11hip_rocprim7__merge17predicate_wrapperIyyNSC_4lessIyEEEEEE10hipError_tPvRmT0_T1_T2_T3_T4_T5_mmT6_P12ihipStream_tbEUlT_E0_NS1_11comp_targetILNS1_3genE0ELNS1_11target_archE4294967295ELNS1_3gpuE0ELNS1_3repE0EEENS1_30default_config_static_selectorELNS0_4arch9wavefront6targetE0EEEvS11_
                                        ; -- End function
	.set _ZN7rocprim17ROCPRIM_400000_NS6detail17trampoline_kernelINS0_14default_configENS1_21merge_config_selectorINS0_5tupleIJyyEEENS0_10empty_typeEEEZNS1_10merge_implIS3_NS0_12zip_iteratorINS5_IJN6thrust23THRUST_200600_302600_NS6detail15normal_iteratorINSC_10device_ptrIKyEEEESI_EEEEESK_NSA_INS5_IJNSC_16discard_iteratorINSC_11use_defaultEEESN_EEEEEPS7_SQ_SQ_NSC_11hip_rocprim7__merge17predicate_wrapperIyyNSC_4lessIyEEEEEE10hipError_tPvRmT0_T1_T2_T3_T4_T5_mmT6_P12ihipStream_tbEUlT_E0_NS1_11comp_targetILNS1_3genE0ELNS1_11target_archE4294967295ELNS1_3gpuE0ELNS1_3repE0EEENS1_30default_config_static_selectorELNS0_4arch9wavefront6targetE0EEEvS11_.num_vgpr, 22
	.set _ZN7rocprim17ROCPRIM_400000_NS6detail17trampoline_kernelINS0_14default_configENS1_21merge_config_selectorINS0_5tupleIJyyEEENS0_10empty_typeEEEZNS1_10merge_implIS3_NS0_12zip_iteratorINS5_IJN6thrust23THRUST_200600_302600_NS6detail15normal_iteratorINSC_10device_ptrIKyEEEESI_EEEEESK_NSA_INS5_IJNSC_16discard_iteratorINSC_11use_defaultEEESN_EEEEEPS7_SQ_SQ_NSC_11hip_rocprim7__merge17predicate_wrapperIyyNSC_4lessIyEEEEEE10hipError_tPvRmT0_T1_T2_T3_T4_T5_mmT6_P12ihipStream_tbEUlT_E0_NS1_11comp_targetILNS1_3genE0ELNS1_11target_archE4294967295ELNS1_3gpuE0ELNS1_3repE0EEENS1_30default_config_static_selectorELNS0_4arch9wavefront6targetE0EEEvS11_.num_agpr, 0
	.set _ZN7rocprim17ROCPRIM_400000_NS6detail17trampoline_kernelINS0_14default_configENS1_21merge_config_selectorINS0_5tupleIJyyEEENS0_10empty_typeEEEZNS1_10merge_implIS3_NS0_12zip_iteratorINS5_IJN6thrust23THRUST_200600_302600_NS6detail15normal_iteratorINSC_10device_ptrIKyEEEESI_EEEEESK_NSA_INS5_IJNSC_16discard_iteratorINSC_11use_defaultEEESN_EEEEEPS7_SQ_SQ_NSC_11hip_rocprim7__merge17predicate_wrapperIyyNSC_4lessIyEEEEEE10hipError_tPvRmT0_T1_T2_T3_T4_T5_mmT6_P12ihipStream_tbEUlT_E0_NS1_11comp_targetILNS1_3genE0ELNS1_11target_archE4294967295ELNS1_3gpuE0ELNS1_3repE0EEENS1_30default_config_static_selectorELNS0_4arch9wavefront6targetE0EEEvS11_.numbered_sgpr, 22
	.set _ZN7rocprim17ROCPRIM_400000_NS6detail17trampoline_kernelINS0_14default_configENS1_21merge_config_selectorINS0_5tupleIJyyEEENS0_10empty_typeEEEZNS1_10merge_implIS3_NS0_12zip_iteratorINS5_IJN6thrust23THRUST_200600_302600_NS6detail15normal_iteratorINSC_10device_ptrIKyEEEESI_EEEEESK_NSA_INS5_IJNSC_16discard_iteratorINSC_11use_defaultEEESN_EEEEEPS7_SQ_SQ_NSC_11hip_rocprim7__merge17predicate_wrapperIyyNSC_4lessIyEEEEEE10hipError_tPvRmT0_T1_T2_T3_T4_T5_mmT6_P12ihipStream_tbEUlT_E0_NS1_11comp_targetILNS1_3genE0ELNS1_11target_archE4294967295ELNS1_3gpuE0ELNS1_3repE0EEENS1_30default_config_static_selectorELNS0_4arch9wavefront6targetE0EEEvS11_.num_named_barrier, 0
	.set _ZN7rocprim17ROCPRIM_400000_NS6detail17trampoline_kernelINS0_14default_configENS1_21merge_config_selectorINS0_5tupleIJyyEEENS0_10empty_typeEEEZNS1_10merge_implIS3_NS0_12zip_iteratorINS5_IJN6thrust23THRUST_200600_302600_NS6detail15normal_iteratorINSC_10device_ptrIKyEEEESI_EEEEESK_NSA_INS5_IJNSC_16discard_iteratorINSC_11use_defaultEEESN_EEEEEPS7_SQ_SQ_NSC_11hip_rocprim7__merge17predicate_wrapperIyyNSC_4lessIyEEEEEE10hipError_tPvRmT0_T1_T2_T3_T4_T5_mmT6_P12ihipStream_tbEUlT_E0_NS1_11comp_targetILNS1_3genE0ELNS1_11target_archE4294967295ELNS1_3gpuE0ELNS1_3repE0EEENS1_30default_config_static_selectorELNS0_4arch9wavefront6targetE0EEEvS11_.private_seg_size, 0
	.set _ZN7rocprim17ROCPRIM_400000_NS6detail17trampoline_kernelINS0_14default_configENS1_21merge_config_selectorINS0_5tupleIJyyEEENS0_10empty_typeEEEZNS1_10merge_implIS3_NS0_12zip_iteratorINS5_IJN6thrust23THRUST_200600_302600_NS6detail15normal_iteratorINSC_10device_ptrIKyEEEESI_EEEEESK_NSA_INS5_IJNSC_16discard_iteratorINSC_11use_defaultEEESN_EEEEEPS7_SQ_SQ_NSC_11hip_rocprim7__merge17predicate_wrapperIyyNSC_4lessIyEEEEEE10hipError_tPvRmT0_T1_T2_T3_T4_T5_mmT6_P12ihipStream_tbEUlT_E0_NS1_11comp_targetILNS1_3genE0ELNS1_11target_archE4294967295ELNS1_3gpuE0ELNS1_3repE0EEENS1_30default_config_static_selectorELNS0_4arch9wavefront6targetE0EEEvS11_.uses_vcc, 1
	.set _ZN7rocprim17ROCPRIM_400000_NS6detail17trampoline_kernelINS0_14default_configENS1_21merge_config_selectorINS0_5tupleIJyyEEENS0_10empty_typeEEEZNS1_10merge_implIS3_NS0_12zip_iteratorINS5_IJN6thrust23THRUST_200600_302600_NS6detail15normal_iteratorINSC_10device_ptrIKyEEEESI_EEEEESK_NSA_INS5_IJNSC_16discard_iteratorINSC_11use_defaultEEESN_EEEEEPS7_SQ_SQ_NSC_11hip_rocprim7__merge17predicate_wrapperIyyNSC_4lessIyEEEEEE10hipError_tPvRmT0_T1_T2_T3_T4_T5_mmT6_P12ihipStream_tbEUlT_E0_NS1_11comp_targetILNS1_3genE0ELNS1_11target_archE4294967295ELNS1_3gpuE0ELNS1_3repE0EEENS1_30default_config_static_selectorELNS0_4arch9wavefront6targetE0EEEvS11_.uses_flat_scratch, 0
	.set _ZN7rocprim17ROCPRIM_400000_NS6detail17trampoline_kernelINS0_14default_configENS1_21merge_config_selectorINS0_5tupleIJyyEEENS0_10empty_typeEEEZNS1_10merge_implIS3_NS0_12zip_iteratorINS5_IJN6thrust23THRUST_200600_302600_NS6detail15normal_iteratorINSC_10device_ptrIKyEEEESI_EEEEESK_NSA_INS5_IJNSC_16discard_iteratorINSC_11use_defaultEEESN_EEEEEPS7_SQ_SQ_NSC_11hip_rocprim7__merge17predicate_wrapperIyyNSC_4lessIyEEEEEE10hipError_tPvRmT0_T1_T2_T3_T4_T5_mmT6_P12ihipStream_tbEUlT_E0_NS1_11comp_targetILNS1_3genE0ELNS1_11target_archE4294967295ELNS1_3gpuE0ELNS1_3repE0EEENS1_30default_config_static_selectorELNS0_4arch9wavefront6targetE0EEEvS11_.has_dyn_sized_stack, 0
	.set _ZN7rocprim17ROCPRIM_400000_NS6detail17trampoline_kernelINS0_14default_configENS1_21merge_config_selectorINS0_5tupleIJyyEEENS0_10empty_typeEEEZNS1_10merge_implIS3_NS0_12zip_iteratorINS5_IJN6thrust23THRUST_200600_302600_NS6detail15normal_iteratorINSC_10device_ptrIKyEEEESI_EEEEESK_NSA_INS5_IJNSC_16discard_iteratorINSC_11use_defaultEEESN_EEEEEPS7_SQ_SQ_NSC_11hip_rocprim7__merge17predicate_wrapperIyyNSC_4lessIyEEEEEE10hipError_tPvRmT0_T1_T2_T3_T4_T5_mmT6_P12ihipStream_tbEUlT_E0_NS1_11comp_targetILNS1_3genE0ELNS1_11target_archE4294967295ELNS1_3gpuE0ELNS1_3repE0EEENS1_30default_config_static_selectorELNS0_4arch9wavefront6targetE0EEEvS11_.has_recursion, 0
	.set _ZN7rocprim17ROCPRIM_400000_NS6detail17trampoline_kernelINS0_14default_configENS1_21merge_config_selectorINS0_5tupleIJyyEEENS0_10empty_typeEEEZNS1_10merge_implIS3_NS0_12zip_iteratorINS5_IJN6thrust23THRUST_200600_302600_NS6detail15normal_iteratorINSC_10device_ptrIKyEEEESI_EEEEESK_NSA_INS5_IJNSC_16discard_iteratorINSC_11use_defaultEEESN_EEEEEPS7_SQ_SQ_NSC_11hip_rocprim7__merge17predicate_wrapperIyyNSC_4lessIyEEEEEE10hipError_tPvRmT0_T1_T2_T3_T4_T5_mmT6_P12ihipStream_tbEUlT_E0_NS1_11comp_targetILNS1_3genE0ELNS1_11target_archE4294967295ELNS1_3gpuE0ELNS1_3repE0EEENS1_30default_config_static_selectorELNS0_4arch9wavefront6targetE0EEEvS11_.has_indirect_call, 0
	.section	.AMDGPU.csdata,"",@progbits
; Kernel info:
; codeLenInByte = 1124
; TotalNumSgprs: 24
; NumVgprs: 22
; ScratchSize: 0
; MemoryBound: 0
; FloatMode: 240
; IeeeMode: 1
; LDSByteSize: 16896 bytes/workgroup (compile time only)
; SGPRBlocks: 0
; VGPRBlocks: 1
; NumSGPRsForWavesPerEU: 24
; NumVGPRsForWavesPerEU: 22
; NamedBarCnt: 0
; Occupancy: 16
; WaveLimiterHint : 1
; COMPUTE_PGM_RSRC2:SCRATCH_EN: 0
; COMPUTE_PGM_RSRC2:USER_SGPR: 2
; COMPUTE_PGM_RSRC2:TRAP_HANDLER: 0
; COMPUTE_PGM_RSRC2:TGID_X_EN: 1
; COMPUTE_PGM_RSRC2:TGID_Y_EN: 0
; COMPUTE_PGM_RSRC2:TGID_Z_EN: 0
; COMPUTE_PGM_RSRC2:TIDIG_COMP_CNT: 0
	.section	.text._ZN7rocprim17ROCPRIM_400000_NS6detail17trampoline_kernelINS0_14default_configENS1_21merge_config_selectorINS0_5tupleIJyyEEENS0_10empty_typeEEEZNS1_10merge_implIS3_NS0_12zip_iteratorINS5_IJN6thrust23THRUST_200600_302600_NS6detail15normal_iteratorINSC_10device_ptrIKyEEEESI_EEEEESK_NSA_INS5_IJNSC_16discard_iteratorINSC_11use_defaultEEESN_EEEEEPS7_SQ_SQ_NSC_11hip_rocprim7__merge17predicate_wrapperIyyNSC_4lessIyEEEEEE10hipError_tPvRmT0_T1_T2_T3_T4_T5_mmT6_P12ihipStream_tbEUlT_E0_NS1_11comp_targetILNS1_3genE5ELNS1_11target_archE942ELNS1_3gpuE9ELNS1_3repE0EEENS1_30default_config_static_selectorELNS0_4arch9wavefront6targetE0EEEvS11_,"axG",@progbits,_ZN7rocprim17ROCPRIM_400000_NS6detail17trampoline_kernelINS0_14default_configENS1_21merge_config_selectorINS0_5tupleIJyyEEENS0_10empty_typeEEEZNS1_10merge_implIS3_NS0_12zip_iteratorINS5_IJN6thrust23THRUST_200600_302600_NS6detail15normal_iteratorINSC_10device_ptrIKyEEEESI_EEEEESK_NSA_INS5_IJNSC_16discard_iteratorINSC_11use_defaultEEESN_EEEEEPS7_SQ_SQ_NSC_11hip_rocprim7__merge17predicate_wrapperIyyNSC_4lessIyEEEEEE10hipError_tPvRmT0_T1_T2_T3_T4_T5_mmT6_P12ihipStream_tbEUlT_E0_NS1_11comp_targetILNS1_3genE5ELNS1_11target_archE942ELNS1_3gpuE9ELNS1_3repE0EEENS1_30default_config_static_selectorELNS0_4arch9wavefront6targetE0EEEvS11_,comdat
	.protected	_ZN7rocprim17ROCPRIM_400000_NS6detail17trampoline_kernelINS0_14default_configENS1_21merge_config_selectorINS0_5tupleIJyyEEENS0_10empty_typeEEEZNS1_10merge_implIS3_NS0_12zip_iteratorINS5_IJN6thrust23THRUST_200600_302600_NS6detail15normal_iteratorINSC_10device_ptrIKyEEEESI_EEEEESK_NSA_INS5_IJNSC_16discard_iteratorINSC_11use_defaultEEESN_EEEEEPS7_SQ_SQ_NSC_11hip_rocprim7__merge17predicate_wrapperIyyNSC_4lessIyEEEEEE10hipError_tPvRmT0_T1_T2_T3_T4_T5_mmT6_P12ihipStream_tbEUlT_E0_NS1_11comp_targetILNS1_3genE5ELNS1_11target_archE942ELNS1_3gpuE9ELNS1_3repE0EEENS1_30default_config_static_selectorELNS0_4arch9wavefront6targetE0EEEvS11_ ; -- Begin function _ZN7rocprim17ROCPRIM_400000_NS6detail17trampoline_kernelINS0_14default_configENS1_21merge_config_selectorINS0_5tupleIJyyEEENS0_10empty_typeEEEZNS1_10merge_implIS3_NS0_12zip_iteratorINS5_IJN6thrust23THRUST_200600_302600_NS6detail15normal_iteratorINSC_10device_ptrIKyEEEESI_EEEEESK_NSA_INS5_IJNSC_16discard_iteratorINSC_11use_defaultEEESN_EEEEEPS7_SQ_SQ_NSC_11hip_rocprim7__merge17predicate_wrapperIyyNSC_4lessIyEEEEEE10hipError_tPvRmT0_T1_T2_T3_T4_T5_mmT6_P12ihipStream_tbEUlT_E0_NS1_11comp_targetILNS1_3genE5ELNS1_11target_archE942ELNS1_3gpuE9ELNS1_3repE0EEENS1_30default_config_static_selectorELNS0_4arch9wavefront6targetE0EEEvS11_
	.globl	_ZN7rocprim17ROCPRIM_400000_NS6detail17trampoline_kernelINS0_14default_configENS1_21merge_config_selectorINS0_5tupleIJyyEEENS0_10empty_typeEEEZNS1_10merge_implIS3_NS0_12zip_iteratorINS5_IJN6thrust23THRUST_200600_302600_NS6detail15normal_iteratorINSC_10device_ptrIKyEEEESI_EEEEESK_NSA_INS5_IJNSC_16discard_iteratorINSC_11use_defaultEEESN_EEEEEPS7_SQ_SQ_NSC_11hip_rocprim7__merge17predicate_wrapperIyyNSC_4lessIyEEEEEE10hipError_tPvRmT0_T1_T2_T3_T4_T5_mmT6_P12ihipStream_tbEUlT_E0_NS1_11comp_targetILNS1_3genE5ELNS1_11target_archE942ELNS1_3gpuE9ELNS1_3repE0EEENS1_30default_config_static_selectorELNS0_4arch9wavefront6targetE0EEEvS11_
	.p2align	8
	.type	_ZN7rocprim17ROCPRIM_400000_NS6detail17trampoline_kernelINS0_14default_configENS1_21merge_config_selectorINS0_5tupleIJyyEEENS0_10empty_typeEEEZNS1_10merge_implIS3_NS0_12zip_iteratorINS5_IJN6thrust23THRUST_200600_302600_NS6detail15normal_iteratorINSC_10device_ptrIKyEEEESI_EEEEESK_NSA_INS5_IJNSC_16discard_iteratorINSC_11use_defaultEEESN_EEEEEPS7_SQ_SQ_NSC_11hip_rocprim7__merge17predicate_wrapperIyyNSC_4lessIyEEEEEE10hipError_tPvRmT0_T1_T2_T3_T4_T5_mmT6_P12ihipStream_tbEUlT_E0_NS1_11comp_targetILNS1_3genE5ELNS1_11target_archE942ELNS1_3gpuE9ELNS1_3repE0EEENS1_30default_config_static_selectorELNS0_4arch9wavefront6targetE0EEEvS11_,@function
_ZN7rocprim17ROCPRIM_400000_NS6detail17trampoline_kernelINS0_14default_configENS1_21merge_config_selectorINS0_5tupleIJyyEEENS0_10empty_typeEEEZNS1_10merge_implIS3_NS0_12zip_iteratorINS5_IJN6thrust23THRUST_200600_302600_NS6detail15normal_iteratorINSC_10device_ptrIKyEEEESI_EEEEESK_NSA_INS5_IJNSC_16discard_iteratorINSC_11use_defaultEEESN_EEEEEPS7_SQ_SQ_NSC_11hip_rocprim7__merge17predicate_wrapperIyyNSC_4lessIyEEEEEE10hipError_tPvRmT0_T1_T2_T3_T4_T5_mmT6_P12ihipStream_tbEUlT_E0_NS1_11comp_targetILNS1_3genE5ELNS1_11target_archE942ELNS1_3gpuE9ELNS1_3repE0EEENS1_30default_config_static_selectorELNS0_4arch9wavefront6targetE0EEEvS11_: ; @_ZN7rocprim17ROCPRIM_400000_NS6detail17trampoline_kernelINS0_14default_configENS1_21merge_config_selectorINS0_5tupleIJyyEEENS0_10empty_typeEEEZNS1_10merge_implIS3_NS0_12zip_iteratorINS5_IJN6thrust23THRUST_200600_302600_NS6detail15normal_iteratorINSC_10device_ptrIKyEEEESI_EEEEESK_NSA_INS5_IJNSC_16discard_iteratorINSC_11use_defaultEEESN_EEEEEPS7_SQ_SQ_NSC_11hip_rocprim7__merge17predicate_wrapperIyyNSC_4lessIyEEEEEE10hipError_tPvRmT0_T1_T2_T3_T4_T5_mmT6_P12ihipStream_tbEUlT_E0_NS1_11comp_targetILNS1_3genE5ELNS1_11target_archE942ELNS1_3gpuE9ELNS1_3repE0EEENS1_30default_config_static_selectorELNS0_4arch9wavefront6targetE0EEEvS11_
; %bb.0:
	.section	.rodata,"a",@progbits
	.p2align	6, 0x0
	.amdhsa_kernel _ZN7rocprim17ROCPRIM_400000_NS6detail17trampoline_kernelINS0_14default_configENS1_21merge_config_selectorINS0_5tupleIJyyEEENS0_10empty_typeEEEZNS1_10merge_implIS3_NS0_12zip_iteratorINS5_IJN6thrust23THRUST_200600_302600_NS6detail15normal_iteratorINSC_10device_ptrIKyEEEESI_EEEEESK_NSA_INS5_IJNSC_16discard_iteratorINSC_11use_defaultEEESN_EEEEEPS7_SQ_SQ_NSC_11hip_rocprim7__merge17predicate_wrapperIyyNSC_4lessIyEEEEEE10hipError_tPvRmT0_T1_T2_T3_T4_T5_mmT6_P12ihipStream_tbEUlT_E0_NS1_11comp_targetILNS1_3genE5ELNS1_11target_archE942ELNS1_3gpuE9ELNS1_3repE0EEENS1_30default_config_static_selectorELNS0_4arch9wavefront6targetE0EEEvS11_
		.amdhsa_group_segment_fixed_size 0
		.amdhsa_private_segment_fixed_size 0
		.amdhsa_kernarg_size 128
		.amdhsa_user_sgpr_count 2
		.amdhsa_user_sgpr_dispatch_ptr 0
		.amdhsa_user_sgpr_queue_ptr 0
		.amdhsa_user_sgpr_kernarg_segment_ptr 1
		.amdhsa_user_sgpr_dispatch_id 0
		.amdhsa_user_sgpr_kernarg_preload_length 0
		.amdhsa_user_sgpr_kernarg_preload_offset 0
		.amdhsa_user_sgpr_private_segment_size 0
		.amdhsa_wavefront_size32 1
		.amdhsa_uses_dynamic_stack 0
		.amdhsa_enable_private_segment 0
		.amdhsa_system_sgpr_workgroup_id_x 1
		.amdhsa_system_sgpr_workgroup_id_y 0
		.amdhsa_system_sgpr_workgroup_id_z 0
		.amdhsa_system_sgpr_workgroup_info 0
		.amdhsa_system_vgpr_workitem_id 0
		.amdhsa_next_free_vgpr 1
		.amdhsa_next_free_sgpr 1
		.amdhsa_named_barrier_count 0
		.amdhsa_reserve_vcc 0
		.amdhsa_float_round_mode_32 0
		.amdhsa_float_round_mode_16_64 0
		.amdhsa_float_denorm_mode_32 3
		.amdhsa_float_denorm_mode_16_64 3
		.amdhsa_fp16_overflow 0
		.amdhsa_memory_ordered 1
		.amdhsa_forward_progress 1
		.amdhsa_inst_pref_size 0
		.amdhsa_round_robin_scheduling 0
		.amdhsa_exception_fp_ieee_invalid_op 0
		.amdhsa_exception_fp_denorm_src 0
		.amdhsa_exception_fp_ieee_div_zero 0
		.amdhsa_exception_fp_ieee_overflow 0
		.amdhsa_exception_fp_ieee_underflow 0
		.amdhsa_exception_fp_ieee_inexact 0
		.amdhsa_exception_int_div_zero 0
	.end_amdhsa_kernel
	.section	.text._ZN7rocprim17ROCPRIM_400000_NS6detail17trampoline_kernelINS0_14default_configENS1_21merge_config_selectorINS0_5tupleIJyyEEENS0_10empty_typeEEEZNS1_10merge_implIS3_NS0_12zip_iteratorINS5_IJN6thrust23THRUST_200600_302600_NS6detail15normal_iteratorINSC_10device_ptrIKyEEEESI_EEEEESK_NSA_INS5_IJNSC_16discard_iteratorINSC_11use_defaultEEESN_EEEEEPS7_SQ_SQ_NSC_11hip_rocprim7__merge17predicate_wrapperIyyNSC_4lessIyEEEEEE10hipError_tPvRmT0_T1_T2_T3_T4_T5_mmT6_P12ihipStream_tbEUlT_E0_NS1_11comp_targetILNS1_3genE5ELNS1_11target_archE942ELNS1_3gpuE9ELNS1_3repE0EEENS1_30default_config_static_selectorELNS0_4arch9wavefront6targetE0EEEvS11_,"axG",@progbits,_ZN7rocprim17ROCPRIM_400000_NS6detail17trampoline_kernelINS0_14default_configENS1_21merge_config_selectorINS0_5tupleIJyyEEENS0_10empty_typeEEEZNS1_10merge_implIS3_NS0_12zip_iteratorINS5_IJN6thrust23THRUST_200600_302600_NS6detail15normal_iteratorINSC_10device_ptrIKyEEEESI_EEEEESK_NSA_INS5_IJNSC_16discard_iteratorINSC_11use_defaultEEESN_EEEEEPS7_SQ_SQ_NSC_11hip_rocprim7__merge17predicate_wrapperIyyNSC_4lessIyEEEEEE10hipError_tPvRmT0_T1_T2_T3_T4_T5_mmT6_P12ihipStream_tbEUlT_E0_NS1_11comp_targetILNS1_3genE5ELNS1_11target_archE942ELNS1_3gpuE9ELNS1_3repE0EEENS1_30default_config_static_selectorELNS0_4arch9wavefront6targetE0EEEvS11_,comdat
.Lfunc_end525:
	.size	_ZN7rocprim17ROCPRIM_400000_NS6detail17trampoline_kernelINS0_14default_configENS1_21merge_config_selectorINS0_5tupleIJyyEEENS0_10empty_typeEEEZNS1_10merge_implIS3_NS0_12zip_iteratorINS5_IJN6thrust23THRUST_200600_302600_NS6detail15normal_iteratorINSC_10device_ptrIKyEEEESI_EEEEESK_NSA_INS5_IJNSC_16discard_iteratorINSC_11use_defaultEEESN_EEEEEPS7_SQ_SQ_NSC_11hip_rocprim7__merge17predicate_wrapperIyyNSC_4lessIyEEEEEE10hipError_tPvRmT0_T1_T2_T3_T4_T5_mmT6_P12ihipStream_tbEUlT_E0_NS1_11comp_targetILNS1_3genE5ELNS1_11target_archE942ELNS1_3gpuE9ELNS1_3repE0EEENS1_30default_config_static_selectorELNS0_4arch9wavefront6targetE0EEEvS11_, .Lfunc_end525-_ZN7rocprim17ROCPRIM_400000_NS6detail17trampoline_kernelINS0_14default_configENS1_21merge_config_selectorINS0_5tupleIJyyEEENS0_10empty_typeEEEZNS1_10merge_implIS3_NS0_12zip_iteratorINS5_IJN6thrust23THRUST_200600_302600_NS6detail15normal_iteratorINSC_10device_ptrIKyEEEESI_EEEEESK_NSA_INS5_IJNSC_16discard_iteratorINSC_11use_defaultEEESN_EEEEEPS7_SQ_SQ_NSC_11hip_rocprim7__merge17predicate_wrapperIyyNSC_4lessIyEEEEEE10hipError_tPvRmT0_T1_T2_T3_T4_T5_mmT6_P12ihipStream_tbEUlT_E0_NS1_11comp_targetILNS1_3genE5ELNS1_11target_archE942ELNS1_3gpuE9ELNS1_3repE0EEENS1_30default_config_static_selectorELNS0_4arch9wavefront6targetE0EEEvS11_
                                        ; -- End function
	.set _ZN7rocprim17ROCPRIM_400000_NS6detail17trampoline_kernelINS0_14default_configENS1_21merge_config_selectorINS0_5tupleIJyyEEENS0_10empty_typeEEEZNS1_10merge_implIS3_NS0_12zip_iteratorINS5_IJN6thrust23THRUST_200600_302600_NS6detail15normal_iteratorINSC_10device_ptrIKyEEEESI_EEEEESK_NSA_INS5_IJNSC_16discard_iteratorINSC_11use_defaultEEESN_EEEEEPS7_SQ_SQ_NSC_11hip_rocprim7__merge17predicate_wrapperIyyNSC_4lessIyEEEEEE10hipError_tPvRmT0_T1_T2_T3_T4_T5_mmT6_P12ihipStream_tbEUlT_E0_NS1_11comp_targetILNS1_3genE5ELNS1_11target_archE942ELNS1_3gpuE9ELNS1_3repE0EEENS1_30default_config_static_selectorELNS0_4arch9wavefront6targetE0EEEvS11_.num_vgpr, 0
	.set _ZN7rocprim17ROCPRIM_400000_NS6detail17trampoline_kernelINS0_14default_configENS1_21merge_config_selectorINS0_5tupleIJyyEEENS0_10empty_typeEEEZNS1_10merge_implIS3_NS0_12zip_iteratorINS5_IJN6thrust23THRUST_200600_302600_NS6detail15normal_iteratorINSC_10device_ptrIKyEEEESI_EEEEESK_NSA_INS5_IJNSC_16discard_iteratorINSC_11use_defaultEEESN_EEEEEPS7_SQ_SQ_NSC_11hip_rocprim7__merge17predicate_wrapperIyyNSC_4lessIyEEEEEE10hipError_tPvRmT0_T1_T2_T3_T4_T5_mmT6_P12ihipStream_tbEUlT_E0_NS1_11comp_targetILNS1_3genE5ELNS1_11target_archE942ELNS1_3gpuE9ELNS1_3repE0EEENS1_30default_config_static_selectorELNS0_4arch9wavefront6targetE0EEEvS11_.num_agpr, 0
	.set _ZN7rocprim17ROCPRIM_400000_NS6detail17trampoline_kernelINS0_14default_configENS1_21merge_config_selectorINS0_5tupleIJyyEEENS0_10empty_typeEEEZNS1_10merge_implIS3_NS0_12zip_iteratorINS5_IJN6thrust23THRUST_200600_302600_NS6detail15normal_iteratorINSC_10device_ptrIKyEEEESI_EEEEESK_NSA_INS5_IJNSC_16discard_iteratorINSC_11use_defaultEEESN_EEEEEPS7_SQ_SQ_NSC_11hip_rocprim7__merge17predicate_wrapperIyyNSC_4lessIyEEEEEE10hipError_tPvRmT0_T1_T2_T3_T4_T5_mmT6_P12ihipStream_tbEUlT_E0_NS1_11comp_targetILNS1_3genE5ELNS1_11target_archE942ELNS1_3gpuE9ELNS1_3repE0EEENS1_30default_config_static_selectorELNS0_4arch9wavefront6targetE0EEEvS11_.numbered_sgpr, 0
	.set _ZN7rocprim17ROCPRIM_400000_NS6detail17trampoline_kernelINS0_14default_configENS1_21merge_config_selectorINS0_5tupleIJyyEEENS0_10empty_typeEEEZNS1_10merge_implIS3_NS0_12zip_iteratorINS5_IJN6thrust23THRUST_200600_302600_NS6detail15normal_iteratorINSC_10device_ptrIKyEEEESI_EEEEESK_NSA_INS5_IJNSC_16discard_iteratorINSC_11use_defaultEEESN_EEEEEPS7_SQ_SQ_NSC_11hip_rocprim7__merge17predicate_wrapperIyyNSC_4lessIyEEEEEE10hipError_tPvRmT0_T1_T2_T3_T4_T5_mmT6_P12ihipStream_tbEUlT_E0_NS1_11comp_targetILNS1_3genE5ELNS1_11target_archE942ELNS1_3gpuE9ELNS1_3repE0EEENS1_30default_config_static_selectorELNS0_4arch9wavefront6targetE0EEEvS11_.num_named_barrier, 0
	.set _ZN7rocprim17ROCPRIM_400000_NS6detail17trampoline_kernelINS0_14default_configENS1_21merge_config_selectorINS0_5tupleIJyyEEENS0_10empty_typeEEEZNS1_10merge_implIS3_NS0_12zip_iteratorINS5_IJN6thrust23THRUST_200600_302600_NS6detail15normal_iteratorINSC_10device_ptrIKyEEEESI_EEEEESK_NSA_INS5_IJNSC_16discard_iteratorINSC_11use_defaultEEESN_EEEEEPS7_SQ_SQ_NSC_11hip_rocprim7__merge17predicate_wrapperIyyNSC_4lessIyEEEEEE10hipError_tPvRmT0_T1_T2_T3_T4_T5_mmT6_P12ihipStream_tbEUlT_E0_NS1_11comp_targetILNS1_3genE5ELNS1_11target_archE942ELNS1_3gpuE9ELNS1_3repE0EEENS1_30default_config_static_selectorELNS0_4arch9wavefront6targetE0EEEvS11_.private_seg_size, 0
	.set _ZN7rocprim17ROCPRIM_400000_NS6detail17trampoline_kernelINS0_14default_configENS1_21merge_config_selectorINS0_5tupleIJyyEEENS0_10empty_typeEEEZNS1_10merge_implIS3_NS0_12zip_iteratorINS5_IJN6thrust23THRUST_200600_302600_NS6detail15normal_iteratorINSC_10device_ptrIKyEEEESI_EEEEESK_NSA_INS5_IJNSC_16discard_iteratorINSC_11use_defaultEEESN_EEEEEPS7_SQ_SQ_NSC_11hip_rocprim7__merge17predicate_wrapperIyyNSC_4lessIyEEEEEE10hipError_tPvRmT0_T1_T2_T3_T4_T5_mmT6_P12ihipStream_tbEUlT_E0_NS1_11comp_targetILNS1_3genE5ELNS1_11target_archE942ELNS1_3gpuE9ELNS1_3repE0EEENS1_30default_config_static_selectorELNS0_4arch9wavefront6targetE0EEEvS11_.uses_vcc, 0
	.set _ZN7rocprim17ROCPRIM_400000_NS6detail17trampoline_kernelINS0_14default_configENS1_21merge_config_selectorINS0_5tupleIJyyEEENS0_10empty_typeEEEZNS1_10merge_implIS3_NS0_12zip_iteratorINS5_IJN6thrust23THRUST_200600_302600_NS6detail15normal_iteratorINSC_10device_ptrIKyEEEESI_EEEEESK_NSA_INS5_IJNSC_16discard_iteratorINSC_11use_defaultEEESN_EEEEEPS7_SQ_SQ_NSC_11hip_rocprim7__merge17predicate_wrapperIyyNSC_4lessIyEEEEEE10hipError_tPvRmT0_T1_T2_T3_T4_T5_mmT6_P12ihipStream_tbEUlT_E0_NS1_11comp_targetILNS1_3genE5ELNS1_11target_archE942ELNS1_3gpuE9ELNS1_3repE0EEENS1_30default_config_static_selectorELNS0_4arch9wavefront6targetE0EEEvS11_.uses_flat_scratch, 0
	.set _ZN7rocprim17ROCPRIM_400000_NS6detail17trampoline_kernelINS0_14default_configENS1_21merge_config_selectorINS0_5tupleIJyyEEENS0_10empty_typeEEEZNS1_10merge_implIS3_NS0_12zip_iteratorINS5_IJN6thrust23THRUST_200600_302600_NS6detail15normal_iteratorINSC_10device_ptrIKyEEEESI_EEEEESK_NSA_INS5_IJNSC_16discard_iteratorINSC_11use_defaultEEESN_EEEEEPS7_SQ_SQ_NSC_11hip_rocprim7__merge17predicate_wrapperIyyNSC_4lessIyEEEEEE10hipError_tPvRmT0_T1_T2_T3_T4_T5_mmT6_P12ihipStream_tbEUlT_E0_NS1_11comp_targetILNS1_3genE5ELNS1_11target_archE942ELNS1_3gpuE9ELNS1_3repE0EEENS1_30default_config_static_selectorELNS0_4arch9wavefront6targetE0EEEvS11_.has_dyn_sized_stack, 0
	.set _ZN7rocprim17ROCPRIM_400000_NS6detail17trampoline_kernelINS0_14default_configENS1_21merge_config_selectorINS0_5tupleIJyyEEENS0_10empty_typeEEEZNS1_10merge_implIS3_NS0_12zip_iteratorINS5_IJN6thrust23THRUST_200600_302600_NS6detail15normal_iteratorINSC_10device_ptrIKyEEEESI_EEEEESK_NSA_INS5_IJNSC_16discard_iteratorINSC_11use_defaultEEESN_EEEEEPS7_SQ_SQ_NSC_11hip_rocprim7__merge17predicate_wrapperIyyNSC_4lessIyEEEEEE10hipError_tPvRmT0_T1_T2_T3_T4_T5_mmT6_P12ihipStream_tbEUlT_E0_NS1_11comp_targetILNS1_3genE5ELNS1_11target_archE942ELNS1_3gpuE9ELNS1_3repE0EEENS1_30default_config_static_selectorELNS0_4arch9wavefront6targetE0EEEvS11_.has_recursion, 0
	.set _ZN7rocprim17ROCPRIM_400000_NS6detail17trampoline_kernelINS0_14default_configENS1_21merge_config_selectorINS0_5tupleIJyyEEENS0_10empty_typeEEEZNS1_10merge_implIS3_NS0_12zip_iteratorINS5_IJN6thrust23THRUST_200600_302600_NS6detail15normal_iteratorINSC_10device_ptrIKyEEEESI_EEEEESK_NSA_INS5_IJNSC_16discard_iteratorINSC_11use_defaultEEESN_EEEEEPS7_SQ_SQ_NSC_11hip_rocprim7__merge17predicate_wrapperIyyNSC_4lessIyEEEEEE10hipError_tPvRmT0_T1_T2_T3_T4_T5_mmT6_P12ihipStream_tbEUlT_E0_NS1_11comp_targetILNS1_3genE5ELNS1_11target_archE942ELNS1_3gpuE9ELNS1_3repE0EEENS1_30default_config_static_selectorELNS0_4arch9wavefront6targetE0EEEvS11_.has_indirect_call, 0
	.section	.AMDGPU.csdata,"",@progbits
; Kernel info:
; codeLenInByte = 0
; TotalNumSgprs: 0
; NumVgprs: 0
; ScratchSize: 0
; MemoryBound: 0
; FloatMode: 240
; IeeeMode: 1
; LDSByteSize: 0 bytes/workgroup (compile time only)
; SGPRBlocks: 0
; VGPRBlocks: 0
; NumSGPRsForWavesPerEU: 1
; NumVGPRsForWavesPerEU: 1
; NamedBarCnt: 0
; Occupancy: 16
; WaveLimiterHint : 0
; COMPUTE_PGM_RSRC2:SCRATCH_EN: 0
; COMPUTE_PGM_RSRC2:USER_SGPR: 2
; COMPUTE_PGM_RSRC2:TRAP_HANDLER: 0
; COMPUTE_PGM_RSRC2:TGID_X_EN: 1
; COMPUTE_PGM_RSRC2:TGID_Y_EN: 0
; COMPUTE_PGM_RSRC2:TGID_Z_EN: 0
; COMPUTE_PGM_RSRC2:TIDIG_COMP_CNT: 0
	.section	.text._ZN7rocprim17ROCPRIM_400000_NS6detail17trampoline_kernelINS0_14default_configENS1_21merge_config_selectorINS0_5tupleIJyyEEENS0_10empty_typeEEEZNS1_10merge_implIS3_NS0_12zip_iteratorINS5_IJN6thrust23THRUST_200600_302600_NS6detail15normal_iteratorINSC_10device_ptrIKyEEEESI_EEEEESK_NSA_INS5_IJNSC_16discard_iteratorINSC_11use_defaultEEESN_EEEEEPS7_SQ_SQ_NSC_11hip_rocprim7__merge17predicate_wrapperIyyNSC_4lessIyEEEEEE10hipError_tPvRmT0_T1_T2_T3_T4_T5_mmT6_P12ihipStream_tbEUlT_E0_NS1_11comp_targetILNS1_3genE4ELNS1_11target_archE910ELNS1_3gpuE8ELNS1_3repE0EEENS1_30default_config_static_selectorELNS0_4arch9wavefront6targetE0EEEvS11_,"axG",@progbits,_ZN7rocprim17ROCPRIM_400000_NS6detail17trampoline_kernelINS0_14default_configENS1_21merge_config_selectorINS0_5tupleIJyyEEENS0_10empty_typeEEEZNS1_10merge_implIS3_NS0_12zip_iteratorINS5_IJN6thrust23THRUST_200600_302600_NS6detail15normal_iteratorINSC_10device_ptrIKyEEEESI_EEEEESK_NSA_INS5_IJNSC_16discard_iteratorINSC_11use_defaultEEESN_EEEEEPS7_SQ_SQ_NSC_11hip_rocprim7__merge17predicate_wrapperIyyNSC_4lessIyEEEEEE10hipError_tPvRmT0_T1_T2_T3_T4_T5_mmT6_P12ihipStream_tbEUlT_E0_NS1_11comp_targetILNS1_3genE4ELNS1_11target_archE910ELNS1_3gpuE8ELNS1_3repE0EEENS1_30default_config_static_selectorELNS0_4arch9wavefront6targetE0EEEvS11_,comdat
	.protected	_ZN7rocprim17ROCPRIM_400000_NS6detail17trampoline_kernelINS0_14default_configENS1_21merge_config_selectorINS0_5tupleIJyyEEENS0_10empty_typeEEEZNS1_10merge_implIS3_NS0_12zip_iteratorINS5_IJN6thrust23THRUST_200600_302600_NS6detail15normal_iteratorINSC_10device_ptrIKyEEEESI_EEEEESK_NSA_INS5_IJNSC_16discard_iteratorINSC_11use_defaultEEESN_EEEEEPS7_SQ_SQ_NSC_11hip_rocprim7__merge17predicate_wrapperIyyNSC_4lessIyEEEEEE10hipError_tPvRmT0_T1_T2_T3_T4_T5_mmT6_P12ihipStream_tbEUlT_E0_NS1_11comp_targetILNS1_3genE4ELNS1_11target_archE910ELNS1_3gpuE8ELNS1_3repE0EEENS1_30default_config_static_selectorELNS0_4arch9wavefront6targetE0EEEvS11_ ; -- Begin function _ZN7rocprim17ROCPRIM_400000_NS6detail17trampoline_kernelINS0_14default_configENS1_21merge_config_selectorINS0_5tupleIJyyEEENS0_10empty_typeEEEZNS1_10merge_implIS3_NS0_12zip_iteratorINS5_IJN6thrust23THRUST_200600_302600_NS6detail15normal_iteratorINSC_10device_ptrIKyEEEESI_EEEEESK_NSA_INS5_IJNSC_16discard_iteratorINSC_11use_defaultEEESN_EEEEEPS7_SQ_SQ_NSC_11hip_rocprim7__merge17predicate_wrapperIyyNSC_4lessIyEEEEEE10hipError_tPvRmT0_T1_T2_T3_T4_T5_mmT6_P12ihipStream_tbEUlT_E0_NS1_11comp_targetILNS1_3genE4ELNS1_11target_archE910ELNS1_3gpuE8ELNS1_3repE0EEENS1_30default_config_static_selectorELNS0_4arch9wavefront6targetE0EEEvS11_
	.globl	_ZN7rocprim17ROCPRIM_400000_NS6detail17trampoline_kernelINS0_14default_configENS1_21merge_config_selectorINS0_5tupleIJyyEEENS0_10empty_typeEEEZNS1_10merge_implIS3_NS0_12zip_iteratorINS5_IJN6thrust23THRUST_200600_302600_NS6detail15normal_iteratorINSC_10device_ptrIKyEEEESI_EEEEESK_NSA_INS5_IJNSC_16discard_iteratorINSC_11use_defaultEEESN_EEEEEPS7_SQ_SQ_NSC_11hip_rocprim7__merge17predicate_wrapperIyyNSC_4lessIyEEEEEE10hipError_tPvRmT0_T1_T2_T3_T4_T5_mmT6_P12ihipStream_tbEUlT_E0_NS1_11comp_targetILNS1_3genE4ELNS1_11target_archE910ELNS1_3gpuE8ELNS1_3repE0EEENS1_30default_config_static_selectorELNS0_4arch9wavefront6targetE0EEEvS11_
	.p2align	8
	.type	_ZN7rocprim17ROCPRIM_400000_NS6detail17trampoline_kernelINS0_14default_configENS1_21merge_config_selectorINS0_5tupleIJyyEEENS0_10empty_typeEEEZNS1_10merge_implIS3_NS0_12zip_iteratorINS5_IJN6thrust23THRUST_200600_302600_NS6detail15normal_iteratorINSC_10device_ptrIKyEEEESI_EEEEESK_NSA_INS5_IJNSC_16discard_iteratorINSC_11use_defaultEEESN_EEEEEPS7_SQ_SQ_NSC_11hip_rocprim7__merge17predicate_wrapperIyyNSC_4lessIyEEEEEE10hipError_tPvRmT0_T1_T2_T3_T4_T5_mmT6_P12ihipStream_tbEUlT_E0_NS1_11comp_targetILNS1_3genE4ELNS1_11target_archE910ELNS1_3gpuE8ELNS1_3repE0EEENS1_30default_config_static_selectorELNS0_4arch9wavefront6targetE0EEEvS11_,@function
_ZN7rocprim17ROCPRIM_400000_NS6detail17trampoline_kernelINS0_14default_configENS1_21merge_config_selectorINS0_5tupleIJyyEEENS0_10empty_typeEEEZNS1_10merge_implIS3_NS0_12zip_iteratorINS5_IJN6thrust23THRUST_200600_302600_NS6detail15normal_iteratorINSC_10device_ptrIKyEEEESI_EEEEESK_NSA_INS5_IJNSC_16discard_iteratorINSC_11use_defaultEEESN_EEEEEPS7_SQ_SQ_NSC_11hip_rocprim7__merge17predicate_wrapperIyyNSC_4lessIyEEEEEE10hipError_tPvRmT0_T1_T2_T3_T4_T5_mmT6_P12ihipStream_tbEUlT_E0_NS1_11comp_targetILNS1_3genE4ELNS1_11target_archE910ELNS1_3gpuE8ELNS1_3repE0EEENS1_30default_config_static_selectorELNS0_4arch9wavefront6targetE0EEEvS11_: ; @_ZN7rocprim17ROCPRIM_400000_NS6detail17trampoline_kernelINS0_14default_configENS1_21merge_config_selectorINS0_5tupleIJyyEEENS0_10empty_typeEEEZNS1_10merge_implIS3_NS0_12zip_iteratorINS5_IJN6thrust23THRUST_200600_302600_NS6detail15normal_iteratorINSC_10device_ptrIKyEEEESI_EEEEESK_NSA_INS5_IJNSC_16discard_iteratorINSC_11use_defaultEEESN_EEEEEPS7_SQ_SQ_NSC_11hip_rocprim7__merge17predicate_wrapperIyyNSC_4lessIyEEEEEE10hipError_tPvRmT0_T1_T2_T3_T4_T5_mmT6_P12ihipStream_tbEUlT_E0_NS1_11comp_targetILNS1_3genE4ELNS1_11target_archE910ELNS1_3gpuE8ELNS1_3repE0EEENS1_30default_config_static_selectorELNS0_4arch9wavefront6targetE0EEEvS11_
; %bb.0:
	.section	.rodata,"a",@progbits
	.p2align	6, 0x0
	.amdhsa_kernel _ZN7rocprim17ROCPRIM_400000_NS6detail17trampoline_kernelINS0_14default_configENS1_21merge_config_selectorINS0_5tupleIJyyEEENS0_10empty_typeEEEZNS1_10merge_implIS3_NS0_12zip_iteratorINS5_IJN6thrust23THRUST_200600_302600_NS6detail15normal_iteratorINSC_10device_ptrIKyEEEESI_EEEEESK_NSA_INS5_IJNSC_16discard_iteratorINSC_11use_defaultEEESN_EEEEEPS7_SQ_SQ_NSC_11hip_rocprim7__merge17predicate_wrapperIyyNSC_4lessIyEEEEEE10hipError_tPvRmT0_T1_T2_T3_T4_T5_mmT6_P12ihipStream_tbEUlT_E0_NS1_11comp_targetILNS1_3genE4ELNS1_11target_archE910ELNS1_3gpuE8ELNS1_3repE0EEENS1_30default_config_static_selectorELNS0_4arch9wavefront6targetE0EEEvS11_
		.amdhsa_group_segment_fixed_size 0
		.amdhsa_private_segment_fixed_size 0
		.amdhsa_kernarg_size 128
		.amdhsa_user_sgpr_count 2
		.amdhsa_user_sgpr_dispatch_ptr 0
		.amdhsa_user_sgpr_queue_ptr 0
		.amdhsa_user_sgpr_kernarg_segment_ptr 1
		.amdhsa_user_sgpr_dispatch_id 0
		.amdhsa_user_sgpr_kernarg_preload_length 0
		.amdhsa_user_sgpr_kernarg_preload_offset 0
		.amdhsa_user_sgpr_private_segment_size 0
		.amdhsa_wavefront_size32 1
		.amdhsa_uses_dynamic_stack 0
		.amdhsa_enable_private_segment 0
		.amdhsa_system_sgpr_workgroup_id_x 1
		.amdhsa_system_sgpr_workgroup_id_y 0
		.amdhsa_system_sgpr_workgroup_id_z 0
		.amdhsa_system_sgpr_workgroup_info 0
		.amdhsa_system_vgpr_workitem_id 0
		.amdhsa_next_free_vgpr 1
		.amdhsa_next_free_sgpr 1
		.amdhsa_named_barrier_count 0
		.amdhsa_reserve_vcc 0
		.amdhsa_float_round_mode_32 0
		.amdhsa_float_round_mode_16_64 0
		.amdhsa_float_denorm_mode_32 3
		.amdhsa_float_denorm_mode_16_64 3
		.amdhsa_fp16_overflow 0
		.amdhsa_memory_ordered 1
		.amdhsa_forward_progress 1
		.amdhsa_inst_pref_size 0
		.amdhsa_round_robin_scheduling 0
		.amdhsa_exception_fp_ieee_invalid_op 0
		.amdhsa_exception_fp_denorm_src 0
		.amdhsa_exception_fp_ieee_div_zero 0
		.amdhsa_exception_fp_ieee_overflow 0
		.amdhsa_exception_fp_ieee_underflow 0
		.amdhsa_exception_fp_ieee_inexact 0
		.amdhsa_exception_int_div_zero 0
	.end_amdhsa_kernel
	.section	.text._ZN7rocprim17ROCPRIM_400000_NS6detail17trampoline_kernelINS0_14default_configENS1_21merge_config_selectorINS0_5tupleIJyyEEENS0_10empty_typeEEEZNS1_10merge_implIS3_NS0_12zip_iteratorINS5_IJN6thrust23THRUST_200600_302600_NS6detail15normal_iteratorINSC_10device_ptrIKyEEEESI_EEEEESK_NSA_INS5_IJNSC_16discard_iteratorINSC_11use_defaultEEESN_EEEEEPS7_SQ_SQ_NSC_11hip_rocprim7__merge17predicate_wrapperIyyNSC_4lessIyEEEEEE10hipError_tPvRmT0_T1_T2_T3_T4_T5_mmT6_P12ihipStream_tbEUlT_E0_NS1_11comp_targetILNS1_3genE4ELNS1_11target_archE910ELNS1_3gpuE8ELNS1_3repE0EEENS1_30default_config_static_selectorELNS0_4arch9wavefront6targetE0EEEvS11_,"axG",@progbits,_ZN7rocprim17ROCPRIM_400000_NS6detail17trampoline_kernelINS0_14default_configENS1_21merge_config_selectorINS0_5tupleIJyyEEENS0_10empty_typeEEEZNS1_10merge_implIS3_NS0_12zip_iteratorINS5_IJN6thrust23THRUST_200600_302600_NS6detail15normal_iteratorINSC_10device_ptrIKyEEEESI_EEEEESK_NSA_INS5_IJNSC_16discard_iteratorINSC_11use_defaultEEESN_EEEEEPS7_SQ_SQ_NSC_11hip_rocprim7__merge17predicate_wrapperIyyNSC_4lessIyEEEEEE10hipError_tPvRmT0_T1_T2_T3_T4_T5_mmT6_P12ihipStream_tbEUlT_E0_NS1_11comp_targetILNS1_3genE4ELNS1_11target_archE910ELNS1_3gpuE8ELNS1_3repE0EEENS1_30default_config_static_selectorELNS0_4arch9wavefront6targetE0EEEvS11_,comdat
.Lfunc_end526:
	.size	_ZN7rocprim17ROCPRIM_400000_NS6detail17trampoline_kernelINS0_14default_configENS1_21merge_config_selectorINS0_5tupleIJyyEEENS0_10empty_typeEEEZNS1_10merge_implIS3_NS0_12zip_iteratorINS5_IJN6thrust23THRUST_200600_302600_NS6detail15normal_iteratorINSC_10device_ptrIKyEEEESI_EEEEESK_NSA_INS5_IJNSC_16discard_iteratorINSC_11use_defaultEEESN_EEEEEPS7_SQ_SQ_NSC_11hip_rocprim7__merge17predicate_wrapperIyyNSC_4lessIyEEEEEE10hipError_tPvRmT0_T1_T2_T3_T4_T5_mmT6_P12ihipStream_tbEUlT_E0_NS1_11comp_targetILNS1_3genE4ELNS1_11target_archE910ELNS1_3gpuE8ELNS1_3repE0EEENS1_30default_config_static_selectorELNS0_4arch9wavefront6targetE0EEEvS11_, .Lfunc_end526-_ZN7rocprim17ROCPRIM_400000_NS6detail17trampoline_kernelINS0_14default_configENS1_21merge_config_selectorINS0_5tupleIJyyEEENS0_10empty_typeEEEZNS1_10merge_implIS3_NS0_12zip_iteratorINS5_IJN6thrust23THRUST_200600_302600_NS6detail15normal_iteratorINSC_10device_ptrIKyEEEESI_EEEEESK_NSA_INS5_IJNSC_16discard_iteratorINSC_11use_defaultEEESN_EEEEEPS7_SQ_SQ_NSC_11hip_rocprim7__merge17predicate_wrapperIyyNSC_4lessIyEEEEEE10hipError_tPvRmT0_T1_T2_T3_T4_T5_mmT6_P12ihipStream_tbEUlT_E0_NS1_11comp_targetILNS1_3genE4ELNS1_11target_archE910ELNS1_3gpuE8ELNS1_3repE0EEENS1_30default_config_static_selectorELNS0_4arch9wavefront6targetE0EEEvS11_
                                        ; -- End function
	.set _ZN7rocprim17ROCPRIM_400000_NS6detail17trampoline_kernelINS0_14default_configENS1_21merge_config_selectorINS0_5tupleIJyyEEENS0_10empty_typeEEEZNS1_10merge_implIS3_NS0_12zip_iteratorINS5_IJN6thrust23THRUST_200600_302600_NS6detail15normal_iteratorINSC_10device_ptrIKyEEEESI_EEEEESK_NSA_INS5_IJNSC_16discard_iteratorINSC_11use_defaultEEESN_EEEEEPS7_SQ_SQ_NSC_11hip_rocprim7__merge17predicate_wrapperIyyNSC_4lessIyEEEEEE10hipError_tPvRmT0_T1_T2_T3_T4_T5_mmT6_P12ihipStream_tbEUlT_E0_NS1_11comp_targetILNS1_3genE4ELNS1_11target_archE910ELNS1_3gpuE8ELNS1_3repE0EEENS1_30default_config_static_selectorELNS0_4arch9wavefront6targetE0EEEvS11_.num_vgpr, 0
	.set _ZN7rocprim17ROCPRIM_400000_NS6detail17trampoline_kernelINS0_14default_configENS1_21merge_config_selectorINS0_5tupleIJyyEEENS0_10empty_typeEEEZNS1_10merge_implIS3_NS0_12zip_iteratorINS5_IJN6thrust23THRUST_200600_302600_NS6detail15normal_iteratorINSC_10device_ptrIKyEEEESI_EEEEESK_NSA_INS5_IJNSC_16discard_iteratorINSC_11use_defaultEEESN_EEEEEPS7_SQ_SQ_NSC_11hip_rocprim7__merge17predicate_wrapperIyyNSC_4lessIyEEEEEE10hipError_tPvRmT0_T1_T2_T3_T4_T5_mmT6_P12ihipStream_tbEUlT_E0_NS1_11comp_targetILNS1_3genE4ELNS1_11target_archE910ELNS1_3gpuE8ELNS1_3repE0EEENS1_30default_config_static_selectorELNS0_4arch9wavefront6targetE0EEEvS11_.num_agpr, 0
	.set _ZN7rocprim17ROCPRIM_400000_NS6detail17trampoline_kernelINS0_14default_configENS1_21merge_config_selectorINS0_5tupleIJyyEEENS0_10empty_typeEEEZNS1_10merge_implIS3_NS0_12zip_iteratorINS5_IJN6thrust23THRUST_200600_302600_NS6detail15normal_iteratorINSC_10device_ptrIKyEEEESI_EEEEESK_NSA_INS5_IJNSC_16discard_iteratorINSC_11use_defaultEEESN_EEEEEPS7_SQ_SQ_NSC_11hip_rocprim7__merge17predicate_wrapperIyyNSC_4lessIyEEEEEE10hipError_tPvRmT0_T1_T2_T3_T4_T5_mmT6_P12ihipStream_tbEUlT_E0_NS1_11comp_targetILNS1_3genE4ELNS1_11target_archE910ELNS1_3gpuE8ELNS1_3repE0EEENS1_30default_config_static_selectorELNS0_4arch9wavefront6targetE0EEEvS11_.numbered_sgpr, 0
	.set _ZN7rocprim17ROCPRIM_400000_NS6detail17trampoline_kernelINS0_14default_configENS1_21merge_config_selectorINS0_5tupleIJyyEEENS0_10empty_typeEEEZNS1_10merge_implIS3_NS0_12zip_iteratorINS5_IJN6thrust23THRUST_200600_302600_NS6detail15normal_iteratorINSC_10device_ptrIKyEEEESI_EEEEESK_NSA_INS5_IJNSC_16discard_iteratorINSC_11use_defaultEEESN_EEEEEPS7_SQ_SQ_NSC_11hip_rocprim7__merge17predicate_wrapperIyyNSC_4lessIyEEEEEE10hipError_tPvRmT0_T1_T2_T3_T4_T5_mmT6_P12ihipStream_tbEUlT_E0_NS1_11comp_targetILNS1_3genE4ELNS1_11target_archE910ELNS1_3gpuE8ELNS1_3repE0EEENS1_30default_config_static_selectorELNS0_4arch9wavefront6targetE0EEEvS11_.num_named_barrier, 0
	.set _ZN7rocprim17ROCPRIM_400000_NS6detail17trampoline_kernelINS0_14default_configENS1_21merge_config_selectorINS0_5tupleIJyyEEENS0_10empty_typeEEEZNS1_10merge_implIS3_NS0_12zip_iteratorINS5_IJN6thrust23THRUST_200600_302600_NS6detail15normal_iteratorINSC_10device_ptrIKyEEEESI_EEEEESK_NSA_INS5_IJNSC_16discard_iteratorINSC_11use_defaultEEESN_EEEEEPS7_SQ_SQ_NSC_11hip_rocprim7__merge17predicate_wrapperIyyNSC_4lessIyEEEEEE10hipError_tPvRmT0_T1_T2_T3_T4_T5_mmT6_P12ihipStream_tbEUlT_E0_NS1_11comp_targetILNS1_3genE4ELNS1_11target_archE910ELNS1_3gpuE8ELNS1_3repE0EEENS1_30default_config_static_selectorELNS0_4arch9wavefront6targetE0EEEvS11_.private_seg_size, 0
	.set _ZN7rocprim17ROCPRIM_400000_NS6detail17trampoline_kernelINS0_14default_configENS1_21merge_config_selectorINS0_5tupleIJyyEEENS0_10empty_typeEEEZNS1_10merge_implIS3_NS0_12zip_iteratorINS5_IJN6thrust23THRUST_200600_302600_NS6detail15normal_iteratorINSC_10device_ptrIKyEEEESI_EEEEESK_NSA_INS5_IJNSC_16discard_iteratorINSC_11use_defaultEEESN_EEEEEPS7_SQ_SQ_NSC_11hip_rocprim7__merge17predicate_wrapperIyyNSC_4lessIyEEEEEE10hipError_tPvRmT0_T1_T2_T3_T4_T5_mmT6_P12ihipStream_tbEUlT_E0_NS1_11comp_targetILNS1_3genE4ELNS1_11target_archE910ELNS1_3gpuE8ELNS1_3repE0EEENS1_30default_config_static_selectorELNS0_4arch9wavefront6targetE0EEEvS11_.uses_vcc, 0
	.set _ZN7rocprim17ROCPRIM_400000_NS6detail17trampoline_kernelINS0_14default_configENS1_21merge_config_selectorINS0_5tupleIJyyEEENS0_10empty_typeEEEZNS1_10merge_implIS3_NS0_12zip_iteratorINS5_IJN6thrust23THRUST_200600_302600_NS6detail15normal_iteratorINSC_10device_ptrIKyEEEESI_EEEEESK_NSA_INS5_IJNSC_16discard_iteratorINSC_11use_defaultEEESN_EEEEEPS7_SQ_SQ_NSC_11hip_rocprim7__merge17predicate_wrapperIyyNSC_4lessIyEEEEEE10hipError_tPvRmT0_T1_T2_T3_T4_T5_mmT6_P12ihipStream_tbEUlT_E0_NS1_11comp_targetILNS1_3genE4ELNS1_11target_archE910ELNS1_3gpuE8ELNS1_3repE0EEENS1_30default_config_static_selectorELNS0_4arch9wavefront6targetE0EEEvS11_.uses_flat_scratch, 0
	.set _ZN7rocprim17ROCPRIM_400000_NS6detail17trampoline_kernelINS0_14default_configENS1_21merge_config_selectorINS0_5tupleIJyyEEENS0_10empty_typeEEEZNS1_10merge_implIS3_NS0_12zip_iteratorINS5_IJN6thrust23THRUST_200600_302600_NS6detail15normal_iteratorINSC_10device_ptrIKyEEEESI_EEEEESK_NSA_INS5_IJNSC_16discard_iteratorINSC_11use_defaultEEESN_EEEEEPS7_SQ_SQ_NSC_11hip_rocprim7__merge17predicate_wrapperIyyNSC_4lessIyEEEEEE10hipError_tPvRmT0_T1_T2_T3_T4_T5_mmT6_P12ihipStream_tbEUlT_E0_NS1_11comp_targetILNS1_3genE4ELNS1_11target_archE910ELNS1_3gpuE8ELNS1_3repE0EEENS1_30default_config_static_selectorELNS0_4arch9wavefront6targetE0EEEvS11_.has_dyn_sized_stack, 0
	.set _ZN7rocprim17ROCPRIM_400000_NS6detail17trampoline_kernelINS0_14default_configENS1_21merge_config_selectorINS0_5tupleIJyyEEENS0_10empty_typeEEEZNS1_10merge_implIS3_NS0_12zip_iteratorINS5_IJN6thrust23THRUST_200600_302600_NS6detail15normal_iteratorINSC_10device_ptrIKyEEEESI_EEEEESK_NSA_INS5_IJNSC_16discard_iteratorINSC_11use_defaultEEESN_EEEEEPS7_SQ_SQ_NSC_11hip_rocprim7__merge17predicate_wrapperIyyNSC_4lessIyEEEEEE10hipError_tPvRmT0_T1_T2_T3_T4_T5_mmT6_P12ihipStream_tbEUlT_E0_NS1_11comp_targetILNS1_3genE4ELNS1_11target_archE910ELNS1_3gpuE8ELNS1_3repE0EEENS1_30default_config_static_selectorELNS0_4arch9wavefront6targetE0EEEvS11_.has_recursion, 0
	.set _ZN7rocprim17ROCPRIM_400000_NS6detail17trampoline_kernelINS0_14default_configENS1_21merge_config_selectorINS0_5tupleIJyyEEENS0_10empty_typeEEEZNS1_10merge_implIS3_NS0_12zip_iteratorINS5_IJN6thrust23THRUST_200600_302600_NS6detail15normal_iteratorINSC_10device_ptrIKyEEEESI_EEEEESK_NSA_INS5_IJNSC_16discard_iteratorINSC_11use_defaultEEESN_EEEEEPS7_SQ_SQ_NSC_11hip_rocprim7__merge17predicate_wrapperIyyNSC_4lessIyEEEEEE10hipError_tPvRmT0_T1_T2_T3_T4_T5_mmT6_P12ihipStream_tbEUlT_E0_NS1_11comp_targetILNS1_3genE4ELNS1_11target_archE910ELNS1_3gpuE8ELNS1_3repE0EEENS1_30default_config_static_selectorELNS0_4arch9wavefront6targetE0EEEvS11_.has_indirect_call, 0
	.section	.AMDGPU.csdata,"",@progbits
; Kernel info:
; codeLenInByte = 0
; TotalNumSgprs: 0
; NumVgprs: 0
; ScratchSize: 0
; MemoryBound: 0
; FloatMode: 240
; IeeeMode: 1
; LDSByteSize: 0 bytes/workgroup (compile time only)
; SGPRBlocks: 0
; VGPRBlocks: 0
; NumSGPRsForWavesPerEU: 1
; NumVGPRsForWavesPerEU: 1
; NamedBarCnt: 0
; Occupancy: 16
; WaveLimiterHint : 0
; COMPUTE_PGM_RSRC2:SCRATCH_EN: 0
; COMPUTE_PGM_RSRC2:USER_SGPR: 2
; COMPUTE_PGM_RSRC2:TRAP_HANDLER: 0
; COMPUTE_PGM_RSRC2:TGID_X_EN: 1
; COMPUTE_PGM_RSRC2:TGID_Y_EN: 0
; COMPUTE_PGM_RSRC2:TGID_Z_EN: 0
; COMPUTE_PGM_RSRC2:TIDIG_COMP_CNT: 0
	.section	.text._ZN7rocprim17ROCPRIM_400000_NS6detail17trampoline_kernelINS0_14default_configENS1_21merge_config_selectorINS0_5tupleIJyyEEENS0_10empty_typeEEEZNS1_10merge_implIS3_NS0_12zip_iteratorINS5_IJN6thrust23THRUST_200600_302600_NS6detail15normal_iteratorINSC_10device_ptrIKyEEEESI_EEEEESK_NSA_INS5_IJNSC_16discard_iteratorINSC_11use_defaultEEESN_EEEEEPS7_SQ_SQ_NSC_11hip_rocprim7__merge17predicate_wrapperIyyNSC_4lessIyEEEEEE10hipError_tPvRmT0_T1_T2_T3_T4_T5_mmT6_P12ihipStream_tbEUlT_E0_NS1_11comp_targetILNS1_3genE3ELNS1_11target_archE908ELNS1_3gpuE7ELNS1_3repE0EEENS1_30default_config_static_selectorELNS0_4arch9wavefront6targetE0EEEvS11_,"axG",@progbits,_ZN7rocprim17ROCPRIM_400000_NS6detail17trampoline_kernelINS0_14default_configENS1_21merge_config_selectorINS0_5tupleIJyyEEENS0_10empty_typeEEEZNS1_10merge_implIS3_NS0_12zip_iteratorINS5_IJN6thrust23THRUST_200600_302600_NS6detail15normal_iteratorINSC_10device_ptrIKyEEEESI_EEEEESK_NSA_INS5_IJNSC_16discard_iteratorINSC_11use_defaultEEESN_EEEEEPS7_SQ_SQ_NSC_11hip_rocprim7__merge17predicate_wrapperIyyNSC_4lessIyEEEEEE10hipError_tPvRmT0_T1_T2_T3_T4_T5_mmT6_P12ihipStream_tbEUlT_E0_NS1_11comp_targetILNS1_3genE3ELNS1_11target_archE908ELNS1_3gpuE7ELNS1_3repE0EEENS1_30default_config_static_selectorELNS0_4arch9wavefront6targetE0EEEvS11_,comdat
	.protected	_ZN7rocprim17ROCPRIM_400000_NS6detail17trampoline_kernelINS0_14default_configENS1_21merge_config_selectorINS0_5tupleIJyyEEENS0_10empty_typeEEEZNS1_10merge_implIS3_NS0_12zip_iteratorINS5_IJN6thrust23THRUST_200600_302600_NS6detail15normal_iteratorINSC_10device_ptrIKyEEEESI_EEEEESK_NSA_INS5_IJNSC_16discard_iteratorINSC_11use_defaultEEESN_EEEEEPS7_SQ_SQ_NSC_11hip_rocprim7__merge17predicate_wrapperIyyNSC_4lessIyEEEEEE10hipError_tPvRmT0_T1_T2_T3_T4_T5_mmT6_P12ihipStream_tbEUlT_E0_NS1_11comp_targetILNS1_3genE3ELNS1_11target_archE908ELNS1_3gpuE7ELNS1_3repE0EEENS1_30default_config_static_selectorELNS0_4arch9wavefront6targetE0EEEvS11_ ; -- Begin function _ZN7rocprim17ROCPRIM_400000_NS6detail17trampoline_kernelINS0_14default_configENS1_21merge_config_selectorINS0_5tupleIJyyEEENS0_10empty_typeEEEZNS1_10merge_implIS3_NS0_12zip_iteratorINS5_IJN6thrust23THRUST_200600_302600_NS6detail15normal_iteratorINSC_10device_ptrIKyEEEESI_EEEEESK_NSA_INS5_IJNSC_16discard_iteratorINSC_11use_defaultEEESN_EEEEEPS7_SQ_SQ_NSC_11hip_rocprim7__merge17predicate_wrapperIyyNSC_4lessIyEEEEEE10hipError_tPvRmT0_T1_T2_T3_T4_T5_mmT6_P12ihipStream_tbEUlT_E0_NS1_11comp_targetILNS1_3genE3ELNS1_11target_archE908ELNS1_3gpuE7ELNS1_3repE0EEENS1_30default_config_static_selectorELNS0_4arch9wavefront6targetE0EEEvS11_
	.globl	_ZN7rocprim17ROCPRIM_400000_NS6detail17trampoline_kernelINS0_14default_configENS1_21merge_config_selectorINS0_5tupleIJyyEEENS0_10empty_typeEEEZNS1_10merge_implIS3_NS0_12zip_iteratorINS5_IJN6thrust23THRUST_200600_302600_NS6detail15normal_iteratorINSC_10device_ptrIKyEEEESI_EEEEESK_NSA_INS5_IJNSC_16discard_iteratorINSC_11use_defaultEEESN_EEEEEPS7_SQ_SQ_NSC_11hip_rocprim7__merge17predicate_wrapperIyyNSC_4lessIyEEEEEE10hipError_tPvRmT0_T1_T2_T3_T4_T5_mmT6_P12ihipStream_tbEUlT_E0_NS1_11comp_targetILNS1_3genE3ELNS1_11target_archE908ELNS1_3gpuE7ELNS1_3repE0EEENS1_30default_config_static_selectorELNS0_4arch9wavefront6targetE0EEEvS11_
	.p2align	8
	.type	_ZN7rocprim17ROCPRIM_400000_NS6detail17trampoline_kernelINS0_14default_configENS1_21merge_config_selectorINS0_5tupleIJyyEEENS0_10empty_typeEEEZNS1_10merge_implIS3_NS0_12zip_iteratorINS5_IJN6thrust23THRUST_200600_302600_NS6detail15normal_iteratorINSC_10device_ptrIKyEEEESI_EEEEESK_NSA_INS5_IJNSC_16discard_iteratorINSC_11use_defaultEEESN_EEEEEPS7_SQ_SQ_NSC_11hip_rocprim7__merge17predicate_wrapperIyyNSC_4lessIyEEEEEE10hipError_tPvRmT0_T1_T2_T3_T4_T5_mmT6_P12ihipStream_tbEUlT_E0_NS1_11comp_targetILNS1_3genE3ELNS1_11target_archE908ELNS1_3gpuE7ELNS1_3repE0EEENS1_30default_config_static_selectorELNS0_4arch9wavefront6targetE0EEEvS11_,@function
_ZN7rocprim17ROCPRIM_400000_NS6detail17trampoline_kernelINS0_14default_configENS1_21merge_config_selectorINS0_5tupleIJyyEEENS0_10empty_typeEEEZNS1_10merge_implIS3_NS0_12zip_iteratorINS5_IJN6thrust23THRUST_200600_302600_NS6detail15normal_iteratorINSC_10device_ptrIKyEEEESI_EEEEESK_NSA_INS5_IJNSC_16discard_iteratorINSC_11use_defaultEEESN_EEEEEPS7_SQ_SQ_NSC_11hip_rocprim7__merge17predicate_wrapperIyyNSC_4lessIyEEEEEE10hipError_tPvRmT0_T1_T2_T3_T4_T5_mmT6_P12ihipStream_tbEUlT_E0_NS1_11comp_targetILNS1_3genE3ELNS1_11target_archE908ELNS1_3gpuE7ELNS1_3repE0EEENS1_30default_config_static_selectorELNS0_4arch9wavefront6targetE0EEEvS11_: ; @_ZN7rocprim17ROCPRIM_400000_NS6detail17trampoline_kernelINS0_14default_configENS1_21merge_config_selectorINS0_5tupleIJyyEEENS0_10empty_typeEEEZNS1_10merge_implIS3_NS0_12zip_iteratorINS5_IJN6thrust23THRUST_200600_302600_NS6detail15normal_iteratorINSC_10device_ptrIKyEEEESI_EEEEESK_NSA_INS5_IJNSC_16discard_iteratorINSC_11use_defaultEEESN_EEEEEPS7_SQ_SQ_NSC_11hip_rocprim7__merge17predicate_wrapperIyyNSC_4lessIyEEEEEE10hipError_tPvRmT0_T1_T2_T3_T4_T5_mmT6_P12ihipStream_tbEUlT_E0_NS1_11comp_targetILNS1_3genE3ELNS1_11target_archE908ELNS1_3gpuE7ELNS1_3repE0EEENS1_30default_config_static_selectorELNS0_4arch9wavefront6targetE0EEEvS11_
; %bb.0:
	.section	.rodata,"a",@progbits
	.p2align	6, 0x0
	.amdhsa_kernel _ZN7rocprim17ROCPRIM_400000_NS6detail17trampoline_kernelINS0_14default_configENS1_21merge_config_selectorINS0_5tupleIJyyEEENS0_10empty_typeEEEZNS1_10merge_implIS3_NS0_12zip_iteratorINS5_IJN6thrust23THRUST_200600_302600_NS6detail15normal_iteratorINSC_10device_ptrIKyEEEESI_EEEEESK_NSA_INS5_IJNSC_16discard_iteratorINSC_11use_defaultEEESN_EEEEEPS7_SQ_SQ_NSC_11hip_rocprim7__merge17predicate_wrapperIyyNSC_4lessIyEEEEEE10hipError_tPvRmT0_T1_T2_T3_T4_T5_mmT6_P12ihipStream_tbEUlT_E0_NS1_11comp_targetILNS1_3genE3ELNS1_11target_archE908ELNS1_3gpuE7ELNS1_3repE0EEENS1_30default_config_static_selectorELNS0_4arch9wavefront6targetE0EEEvS11_
		.amdhsa_group_segment_fixed_size 0
		.amdhsa_private_segment_fixed_size 0
		.amdhsa_kernarg_size 128
		.amdhsa_user_sgpr_count 2
		.amdhsa_user_sgpr_dispatch_ptr 0
		.amdhsa_user_sgpr_queue_ptr 0
		.amdhsa_user_sgpr_kernarg_segment_ptr 1
		.amdhsa_user_sgpr_dispatch_id 0
		.amdhsa_user_sgpr_kernarg_preload_length 0
		.amdhsa_user_sgpr_kernarg_preload_offset 0
		.amdhsa_user_sgpr_private_segment_size 0
		.amdhsa_wavefront_size32 1
		.amdhsa_uses_dynamic_stack 0
		.amdhsa_enable_private_segment 0
		.amdhsa_system_sgpr_workgroup_id_x 1
		.amdhsa_system_sgpr_workgroup_id_y 0
		.amdhsa_system_sgpr_workgroup_id_z 0
		.amdhsa_system_sgpr_workgroup_info 0
		.amdhsa_system_vgpr_workitem_id 0
		.amdhsa_next_free_vgpr 1
		.amdhsa_next_free_sgpr 1
		.amdhsa_named_barrier_count 0
		.amdhsa_reserve_vcc 0
		.amdhsa_float_round_mode_32 0
		.amdhsa_float_round_mode_16_64 0
		.amdhsa_float_denorm_mode_32 3
		.amdhsa_float_denorm_mode_16_64 3
		.amdhsa_fp16_overflow 0
		.amdhsa_memory_ordered 1
		.amdhsa_forward_progress 1
		.amdhsa_inst_pref_size 0
		.amdhsa_round_robin_scheduling 0
		.amdhsa_exception_fp_ieee_invalid_op 0
		.amdhsa_exception_fp_denorm_src 0
		.amdhsa_exception_fp_ieee_div_zero 0
		.amdhsa_exception_fp_ieee_overflow 0
		.amdhsa_exception_fp_ieee_underflow 0
		.amdhsa_exception_fp_ieee_inexact 0
		.amdhsa_exception_int_div_zero 0
	.end_amdhsa_kernel
	.section	.text._ZN7rocprim17ROCPRIM_400000_NS6detail17trampoline_kernelINS0_14default_configENS1_21merge_config_selectorINS0_5tupleIJyyEEENS0_10empty_typeEEEZNS1_10merge_implIS3_NS0_12zip_iteratorINS5_IJN6thrust23THRUST_200600_302600_NS6detail15normal_iteratorINSC_10device_ptrIKyEEEESI_EEEEESK_NSA_INS5_IJNSC_16discard_iteratorINSC_11use_defaultEEESN_EEEEEPS7_SQ_SQ_NSC_11hip_rocprim7__merge17predicate_wrapperIyyNSC_4lessIyEEEEEE10hipError_tPvRmT0_T1_T2_T3_T4_T5_mmT6_P12ihipStream_tbEUlT_E0_NS1_11comp_targetILNS1_3genE3ELNS1_11target_archE908ELNS1_3gpuE7ELNS1_3repE0EEENS1_30default_config_static_selectorELNS0_4arch9wavefront6targetE0EEEvS11_,"axG",@progbits,_ZN7rocprim17ROCPRIM_400000_NS6detail17trampoline_kernelINS0_14default_configENS1_21merge_config_selectorINS0_5tupleIJyyEEENS0_10empty_typeEEEZNS1_10merge_implIS3_NS0_12zip_iteratorINS5_IJN6thrust23THRUST_200600_302600_NS6detail15normal_iteratorINSC_10device_ptrIKyEEEESI_EEEEESK_NSA_INS5_IJNSC_16discard_iteratorINSC_11use_defaultEEESN_EEEEEPS7_SQ_SQ_NSC_11hip_rocprim7__merge17predicate_wrapperIyyNSC_4lessIyEEEEEE10hipError_tPvRmT0_T1_T2_T3_T4_T5_mmT6_P12ihipStream_tbEUlT_E0_NS1_11comp_targetILNS1_3genE3ELNS1_11target_archE908ELNS1_3gpuE7ELNS1_3repE0EEENS1_30default_config_static_selectorELNS0_4arch9wavefront6targetE0EEEvS11_,comdat
.Lfunc_end527:
	.size	_ZN7rocprim17ROCPRIM_400000_NS6detail17trampoline_kernelINS0_14default_configENS1_21merge_config_selectorINS0_5tupleIJyyEEENS0_10empty_typeEEEZNS1_10merge_implIS3_NS0_12zip_iteratorINS5_IJN6thrust23THRUST_200600_302600_NS6detail15normal_iteratorINSC_10device_ptrIKyEEEESI_EEEEESK_NSA_INS5_IJNSC_16discard_iteratorINSC_11use_defaultEEESN_EEEEEPS7_SQ_SQ_NSC_11hip_rocprim7__merge17predicate_wrapperIyyNSC_4lessIyEEEEEE10hipError_tPvRmT0_T1_T2_T3_T4_T5_mmT6_P12ihipStream_tbEUlT_E0_NS1_11comp_targetILNS1_3genE3ELNS1_11target_archE908ELNS1_3gpuE7ELNS1_3repE0EEENS1_30default_config_static_selectorELNS0_4arch9wavefront6targetE0EEEvS11_, .Lfunc_end527-_ZN7rocprim17ROCPRIM_400000_NS6detail17trampoline_kernelINS0_14default_configENS1_21merge_config_selectorINS0_5tupleIJyyEEENS0_10empty_typeEEEZNS1_10merge_implIS3_NS0_12zip_iteratorINS5_IJN6thrust23THRUST_200600_302600_NS6detail15normal_iteratorINSC_10device_ptrIKyEEEESI_EEEEESK_NSA_INS5_IJNSC_16discard_iteratorINSC_11use_defaultEEESN_EEEEEPS7_SQ_SQ_NSC_11hip_rocprim7__merge17predicate_wrapperIyyNSC_4lessIyEEEEEE10hipError_tPvRmT0_T1_T2_T3_T4_T5_mmT6_P12ihipStream_tbEUlT_E0_NS1_11comp_targetILNS1_3genE3ELNS1_11target_archE908ELNS1_3gpuE7ELNS1_3repE0EEENS1_30default_config_static_selectorELNS0_4arch9wavefront6targetE0EEEvS11_
                                        ; -- End function
	.set _ZN7rocprim17ROCPRIM_400000_NS6detail17trampoline_kernelINS0_14default_configENS1_21merge_config_selectorINS0_5tupleIJyyEEENS0_10empty_typeEEEZNS1_10merge_implIS3_NS0_12zip_iteratorINS5_IJN6thrust23THRUST_200600_302600_NS6detail15normal_iteratorINSC_10device_ptrIKyEEEESI_EEEEESK_NSA_INS5_IJNSC_16discard_iteratorINSC_11use_defaultEEESN_EEEEEPS7_SQ_SQ_NSC_11hip_rocprim7__merge17predicate_wrapperIyyNSC_4lessIyEEEEEE10hipError_tPvRmT0_T1_T2_T3_T4_T5_mmT6_P12ihipStream_tbEUlT_E0_NS1_11comp_targetILNS1_3genE3ELNS1_11target_archE908ELNS1_3gpuE7ELNS1_3repE0EEENS1_30default_config_static_selectorELNS0_4arch9wavefront6targetE0EEEvS11_.num_vgpr, 0
	.set _ZN7rocprim17ROCPRIM_400000_NS6detail17trampoline_kernelINS0_14default_configENS1_21merge_config_selectorINS0_5tupleIJyyEEENS0_10empty_typeEEEZNS1_10merge_implIS3_NS0_12zip_iteratorINS5_IJN6thrust23THRUST_200600_302600_NS6detail15normal_iteratorINSC_10device_ptrIKyEEEESI_EEEEESK_NSA_INS5_IJNSC_16discard_iteratorINSC_11use_defaultEEESN_EEEEEPS7_SQ_SQ_NSC_11hip_rocprim7__merge17predicate_wrapperIyyNSC_4lessIyEEEEEE10hipError_tPvRmT0_T1_T2_T3_T4_T5_mmT6_P12ihipStream_tbEUlT_E0_NS1_11comp_targetILNS1_3genE3ELNS1_11target_archE908ELNS1_3gpuE7ELNS1_3repE0EEENS1_30default_config_static_selectorELNS0_4arch9wavefront6targetE0EEEvS11_.num_agpr, 0
	.set _ZN7rocprim17ROCPRIM_400000_NS6detail17trampoline_kernelINS0_14default_configENS1_21merge_config_selectorINS0_5tupleIJyyEEENS0_10empty_typeEEEZNS1_10merge_implIS3_NS0_12zip_iteratorINS5_IJN6thrust23THRUST_200600_302600_NS6detail15normal_iteratorINSC_10device_ptrIKyEEEESI_EEEEESK_NSA_INS5_IJNSC_16discard_iteratorINSC_11use_defaultEEESN_EEEEEPS7_SQ_SQ_NSC_11hip_rocprim7__merge17predicate_wrapperIyyNSC_4lessIyEEEEEE10hipError_tPvRmT0_T1_T2_T3_T4_T5_mmT6_P12ihipStream_tbEUlT_E0_NS1_11comp_targetILNS1_3genE3ELNS1_11target_archE908ELNS1_3gpuE7ELNS1_3repE0EEENS1_30default_config_static_selectorELNS0_4arch9wavefront6targetE0EEEvS11_.numbered_sgpr, 0
	.set _ZN7rocprim17ROCPRIM_400000_NS6detail17trampoline_kernelINS0_14default_configENS1_21merge_config_selectorINS0_5tupleIJyyEEENS0_10empty_typeEEEZNS1_10merge_implIS3_NS0_12zip_iteratorINS5_IJN6thrust23THRUST_200600_302600_NS6detail15normal_iteratorINSC_10device_ptrIKyEEEESI_EEEEESK_NSA_INS5_IJNSC_16discard_iteratorINSC_11use_defaultEEESN_EEEEEPS7_SQ_SQ_NSC_11hip_rocprim7__merge17predicate_wrapperIyyNSC_4lessIyEEEEEE10hipError_tPvRmT0_T1_T2_T3_T4_T5_mmT6_P12ihipStream_tbEUlT_E0_NS1_11comp_targetILNS1_3genE3ELNS1_11target_archE908ELNS1_3gpuE7ELNS1_3repE0EEENS1_30default_config_static_selectorELNS0_4arch9wavefront6targetE0EEEvS11_.num_named_barrier, 0
	.set _ZN7rocprim17ROCPRIM_400000_NS6detail17trampoline_kernelINS0_14default_configENS1_21merge_config_selectorINS0_5tupleIJyyEEENS0_10empty_typeEEEZNS1_10merge_implIS3_NS0_12zip_iteratorINS5_IJN6thrust23THRUST_200600_302600_NS6detail15normal_iteratorINSC_10device_ptrIKyEEEESI_EEEEESK_NSA_INS5_IJNSC_16discard_iteratorINSC_11use_defaultEEESN_EEEEEPS7_SQ_SQ_NSC_11hip_rocprim7__merge17predicate_wrapperIyyNSC_4lessIyEEEEEE10hipError_tPvRmT0_T1_T2_T3_T4_T5_mmT6_P12ihipStream_tbEUlT_E0_NS1_11comp_targetILNS1_3genE3ELNS1_11target_archE908ELNS1_3gpuE7ELNS1_3repE0EEENS1_30default_config_static_selectorELNS0_4arch9wavefront6targetE0EEEvS11_.private_seg_size, 0
	.set _ZN7rocprim17ROCPRIM_400000_NS6detail17trampoline_kernelINS0_14default_configENS1_21merge_config_selectorINS0_5tupleIJyyEEENS0_10empty_typeEEEZNS1_10merge_implIS3_NS0_12zip_iteratorINS5_IJN6thrust23THRUST_200600_302600_NS6detail15normal_iteratorINSC_10device_ptrIKyEEEESI_EEEEESK_NSA_INS5_IJNSC_16discard_iteratorINSC_11use_defaultEEESN_EEEEEPS7_SQ_SQ_NSC_11hip_rocprim7__merge17predicate_wrapperIyyNSC_4lessIyEEEEEE10hipError_tPvRmT0_T1_T2_T3_T4_T5_mmT6_P12ihipStream_tbEUlT_E0_NS1_11comp_targetILNS1_3genE3ELNS1_11target_archE908ELNS1_3gpuE7ELNS1_3repE0EEENS1_30default_config_static_selectorELNS0_4arch9wavefront6targetE0EEEvS11_.uses_vcc, 0
	.set _ZN7rocprim17ROCPRIM_400000_NS6detail17trampoline_kernelINS0_14default_configENS1_21merge_config_selectorINS0_5tupleIJyyEEENS0_10empty_typeEEEZNS1_10merge_implIS3_NS0_12zip_iteratorINS5_IJN6thrust23THRUST_200600_302600_NS6detail15normal_iteratorINSC_10device_ptrIKyEEEESI_EEEEESK_NSA_INS5_IJNSC_16discard_iteratorINSC_11use_defaultEEESN_EEEEEPS7_SQ_SQ_NSC_11hip_rocprim7__merge17predicate_wrapperIyyNSC_4lessIyEEEEEE10hipError_tPvRmT0_T1_T2_T3_T4_T5_mmT6_P12ihipStream_tbEUlT_E0_NS1_11comp_targetILNS1_3genE3ELNS1_11target_archE908ELNS1_3gpuE7ELNS1_3repE0EEENS1_30default_config_static_selectorELNS0_4arch9wavefront6targetE0EEEvS11_.uses_flat_scratch, 0
	.set _ZN7rocprim17ROCPRIM_400000_NS6detail17trampoline_kernelINS0_14default_configENS1_21merge_config_selectorINS0_5tupleIJyyEEENS0_10empty_typeEEEZNS1_10merge_implIS3_NS0_12zip_iteratorINS5_IJN6thrust23THRUST_200600_302600_NS6detail15normal_iteratorINSC_10device_ptrIKyEEEESI_EEEEESK_NSA_INS5_IJNSC_16discard_iteratorINSC_11use_defaultEEESN_EEEEEPS7_SQ_SQ_NSC_11hip_rocprim7__merge17predicate_wrapperIyyNSC_4lessIyEEEEEE10hipError_tPvRmT0_T1_T2_T3_T4_T5_mmT6_P12ihipStream_tbEUlT_E0_NS1_11comp_targetILNS1_3genE3ELNS1_11target_archE908ELNS1_3gpuE7ELNS1_3repE0EEENS1_30default_config_static_selectorELNS0_4arch9wavefront6targetE0EEEvS11_.has_dyn_sized_stack, 0
	.set _ZN7rocprim17ROCPRIM_400000_NS6detail17trampoline_kernelINS0_14default_configENS1_21merge_config_selectorINS0_5tupleIJyyEEENS0_10empty_typeEEEZNS1_10merge_implIS3_NS0_12zip_iteratorINS5_IJN6thrust23THRUST_200600_302600_NS6detail15normal_iteratorINSC_10device_ptrIKyEEEESI_EEEEESK_NSA_INS5_IJNSC_16discard_iteratorINSC_11use_defaultEEESN_EEEEEPS7_SQ_SQ_NSC_11hip_rocprim7__merge17predicate_wrapperIyyNSC_4lessIyEEEEEE10hipError_tPvRmT0_T1_T2_T3_T4_T5_mmT6_P12ihipStream_tbEUlT_E0_NS1_11comp_targetILNS1_3genE3ELNS1_11target_archE908ELNS1_3gpuE7ELNS1_3repE0EEENS1_30default_config_static_selectorELNS0_4arch9wavefront6targetE0EEEvS11_.has_recursion, 0
	.set _ZN7rocprim17ROCPRIM_400000_NS6detail17trampoline_kernelINS0_14default_configENS1_21merge_config_selectorINS0_5tupleIJyyEEENS0_10empty_typeEEEZNS1_10merge_implIS3_NS0_12zip_iteratorINS5_IJN6thrust23THRUST_200600_302600_NS6detail15normal_iteratorINSC_10device_ptrIKyEEEESI_EEEEESK_NSA_INS5_IJNSC_16discard_iteratorINSC_11use_defaultEEESN_EEEEEPS7_SQ_SQ_NSC_11hip_rocprim7__merge17predicate_wrapperIyyNSC_4lessIyEEEEEE10hipError_tPvRmT0_T1_T2_T3_T4_T5_mmT6_P12ihipStream_tbEUlT_E0_NS1_11comp_targetILNS1_3genE3ELNS1_11target_archE908ELNS1_3gpuE7ELNS1_3repE0EEENS1_30default_config_static_selectorELNS0_4arch9wavefront6targetE0EEEvS11_.has_indirect_call, 0
	.section	.AMDGPU.csdata,"",@progbits
; Kernel info:
; codeLenInByte = 0
; TotalNumSgprs: 0
; NumVgprs: 0
; ScratchSize: 0
; MemoryBound: 0
; FloatMode: 240
; IeeeMode: 1
; LDSByteSize: 0 bytes/workgroup (compile time only)
; SGPRBlocks: 0
; VGPRBlocks: 0
; NumSGPRsForWavesPerEU: 1
; NumVGPRsForWavesPerEU: 1
; NamedBarCnt: 0
; Occupancy: 16
; WaveLimiterHint : 0
; COMPUTE_PGM_RSRC2:SCRATCH_EN: 0
; COMPUTE_PGM_RSRC2:USER_SGPR: 2
; COMPUTE_PGM_RSRC2:TRAP_HANDLER: 0
; COMPUTE_PGM_RSRC2:TGID_X_EN: 1
; COMPUTE_PGM_RSRC2:TGID_Y_EN: 0
; COMPUTE_PGM_RSRC2:TGID_Z_EN: 0
; COMPUTE_PGM_RSRC2:TIDIG_COMP_CNT: 0
	.section	.text._ZN7rocprim17ROCPRIM_400000_NS6detail17trampoline_kernelINS0_14default_configENS1_21merge_config_selectorINS0_5tupleIJyyEEENS0_10empty_typeEEEZNS1_10merge_implIS3_NS0_12zip_iteratorINS5_IJN6thrust23THRUST_200600_302600_NS6detail15normal_iteratorINSC_10device_ptrIKyEEEESI_EEEEESK_NSA_INS5_IJNSC_16discard_iteratorINSC_11use_defaultEEESN_EEEEEPS7_SQ_SQ_NSC_11hip_rocprim7__merge17predicate_wrapperIyyNSC_4lessIyEEEEEE10hipError_tPvRmT0_T1_T2_T3_T4_T5_mmT6_P12ihipStream_tbEUlT_E0_NS1_11comp_targetILNS1_3genE2ELNS1_11target_archE906ELNS1_3gpuE6ELNS1_3repE0EEENS1_30default_config_static_selectorELNS0_4arch9wavefront6targetE0EEEvS11_,"axG",@progbits,_ZN7rocprim17ROCPRIM_400000_NS6detail17trampoline_kernelINS0_14default_configENS1_21merge_config_selectorINS0_5tupleIJyyEEENS0_10empty_typeEEEZNS1_10merge_implIS3_NS0_12zip_iteratorINS5_IJN6thrust23THRUST_200600_302600_NS6detail15normal_iteratorINSC_10device_ptrIKyEEEESI_EEEEESK_NSA_INS5_IJNSC_16discard_iteratorINSC_11use_defaultEEESN_EEEEEPS7_SQ_SQ_NSC_11hip_rocprim7__merge17predicate_wrapperIyyNSC_4lessIyEEEEEE10hipError_tPvRmT0_T1_T2_T3_T4_T5_mmT6_P12ihipStream_tbEUlT_E0_NS1_11comp_targetILNS1_3genE2ELNS1_11target_archE906ELNS1_3gpuE6ELNS1_3repE0EEENS1_30default_config_static_selectorELNS0_4arch9wavefront6targetE0EEEvS11_,comdat
	.protected	_ZN7rocprim17ROCPRIM_400000_NS6detail17trampoline_kernelINS0_14default_configENS1_21merge_config_selectorINS0_5tupleIJyyEEENS0_10empty_typeEEEZNS1_10merge_implIS3_NS0_12zip_iteratorINS5_IJN6thrust23THRUST_200600_302600_NS6detail15normal_iteratorINSC_10device_ptrIKyEEEESI_EEEEESK_NSA_INS5_IJNSC_16discard_iteratorINSC_11use_defaultEEESN_EEEEEPS7_SQ_SQ_NSC_11hip_rocprim7__merge17predicate_wrapperIyyNSC_4lessIyEEEEEE10hipError_tPvRmT0_T1_T2_T3_T4_T5_mmT6_P12ihipStream_tbEUlT_E0_NS1_11comp_targetILNS1_3genE2ELNS1_11target_archE906ELNS1_3gpuE6ELNS1_3repE0EEENS1_30default_config_static_selectorELNS0_4arch9wavefront6targetE0EEEvS11_ ; -- Begin function _ZN7rocprim17ROCPRIM_400000_NS6detail17trampoline_kernelINS0_14default_configENS1_21merge_config_selectorINS0_5tupleIJyyEEENS0_10empty_typeEEEZNS1_10merge_implIS3_NS0_12zip_iteratorINS5_IJN6thrust23THRUST_200600_302600_NS6detail15normal_iteratorINSC_10device_ptrIKyEEEESI_EEEEESK_NSA_INS5_IJNSC_16discard_iteratorINSC_11use_defaultEEESN_EEEEEPS7_SQ_SQ_NSC_11hip_rocprim7__merge17predicate_wrapperIyyNSC_4lessIyEEEEEE10hipError_tPvRmT0_T1_T2_T3_T4_T5_mmT6_P12ihipStream_tbEUlT_E0_NS1_11comp_targetILNS1_3genE2ELNS1_11target_archE906ELNS1_3gpuE6ELNS1_3repE0EEENS1_30default_config_static_selectorELNS0_4arch9wavefront6targetE0EEEvS11_
	.globl	_ZN7rocprim17ROCPRIM_400000_NS6detail17trampoline_kernelINS0_14default_configENS1_21merge_config_selectorINS0_5tupleIJyyEEENS0_10empty_typeEEEZNS1_10merge_implIS3_NS0_12zip_iteratorINS5_IJN6thrust23THRUST_200600_302600_NS6detail15normal_iteratorINSC_10device_ptrIKyEEEESI_EEEEESK_NSA_INS5_IJNSC_16discard_iteratorINSC_11use_defaultEEESN_EEEEEPS7_SQ_SQ_NSC_11hip_rocprim7__merge17predicate_wrapperIyyNSC_4lessIyEEEEEE10hipError_tPvRmT0_T1_T2_T3_T4_T5_mmT6_P12ihipStream_tbEUlT_E0_NS1_11comp_targetILNS1_3genE2ELNS1_11target_archE906ELNS1_3gpuE6ELNS1_3repE0EEENS1_30default_config_static_selectorELNS0_4arch9wavefront6targetE0EEEvS11_
	.p2align	8
	.type	_ZN7rocprim17ROCPRIM_400000_NS6detail17trampoline_kernelINS0_14default_configENS1_21merge_config_selectorINS0_5tupleIJyyEEENS0_10empty_typeEEEZNS1_10merge_implIS3_NS0_12zip_iteratorINS5_IJN6thrust23THRUST_200600_302600_NS6detail15normal_iteratorINSC_10device_ptrIKyEEEESI_EEEEESK_NSA_INS5_IJNSC_16discard_iteratorINSC_11use_defaultEEESN_EEEEEPS7_SQ_SQ_NSC_11hip_rocprim7__merge17predicate_wrapperIyyNSC_4lessIyEEEEEE10hipError_tPvRmT0_T1_T2_T3_T4_T5_mmT6_P12ihipStream_tbEUlT_E0_NS1_11comp_targetILNS1_3genE2ELNS1_11target_archE906ELNS1_3gpuE6ELNS1_3repE0EEENS1_30default_config_static_selectorELNS0_4arch9wavefront6targetE0EEEvS11_,@function
_ZN7rocprim17ROCPRIM_400000_NS6detail17trampoline_kernelINS0_14default_configENS1_21merge_config_selectorINS0_5tupleIJyyEEENS0_10empty_typeEEEZNS1_10merge_implIS3_NS0_12zip_iteratorINS5_IJN6thrust23THRUST_200600_302600_NS6detail15normal_iteratorINSC_10device_ptrIKyEEEESI_EEEEESK_NSA_INS5_IJNSC_16discard_iteratorINSC_11use_defaultEEESN_EEEEEPS7_SQ_SQ_NSC_11hip_rocprim7__merge17predicate_wrapperIyyNSC_4lessIyEEEEEE10hipError_tPvRmT0_T1_T2_T3_T4_T5_mmT6_P12ihipStream_tbEUlT_E0_NS1_11comp_targetILNS1_3genE2ELNS1_11target_archE906ELNS1_3gpuE6ELNS1_3repE0EEENS1_30default_config_static_selectorELNS0_4arch9wavefront6targetE0EEEvS11_: ; @_ZN7rocprim17ROCPRIM_400000_NS6detail17trampoline_kernelINS0_14default_configENS1_21merge_config_selectorINS0_5tupleIJyyEEENS0_10empty_typeEEEZNS1_10merge_implIS3_NS0_12zip_iteratorINS5_IJN6thrust23THRUST_200600_302600_NS6detail15normal_iteratorINSC_10device_ptrIKyEEEESI_EEEEESK_NSA_INS5_IJNSC_16discard_iteratorINSC_11use_defaultEEESN_EEEEEPS7_SQ_SQ_NSC_11hip_rocprim7__merge17predicate_wrapperIyyNSC_4lessIyEEEEEE10hipError_tPvRmT0_T1_T2_T3_T4_T5_mmT6_P12ihipStream_tbEUlT_E0_NS1_11comp_targetILNS1_3genE2ELNS1_11target_archE906ELNS1_3gpuE6ELNS1_3repE0EEENS1_30default_config_static_selectorELNS0_4arch9wavefront6targetE0EEEvS11_
; %bb.0:
	.section	.rodata,"a",@progbits
	.p2align	6, 0x0
	.amdhsa_kernel _ZN7rocprim17ROCPRIM_400000_NS6detail17trampoline_kernelINS0_14default_configENS1_21merge_config_selectorINS0_5tupleIJyyEEENS0_10empty_typeEEEZNS1_10merge_implIS3_NS0_12zip_iteratorINS5_IJN6thrust23THRUST_200600_302600_NS6detail15normal_iteratorINSC_10device_ptrIKyEEEESI_EEEEESK_NSA_INS5_IJNSC_16discard_iteratorINSC_11use_defaultEEESN_EEEEEPS7_SQ_SQ_NSC_11hip_rocprim7__merge17predicate_wrapperIyyNSC_4lessIyEEEEEE10hipError_tPvRmT0_T1_T2_T3_T4_T5_mmT6_P12ihipStream_tbEUlT_E0_NS1_11comp_targetILNS1_3genE2ELNS1_11target_archE906ELNS1_3gpuE6ELNS1_3repE0EEENS1_30default_config_static_selectorELNS0_4arch9wavefront6targetE0EEEvS11_
		.amdhsa_group_segment_fixed_size 0
		.amdhsa_private_segment_fixed_size 0
		.amdhsa_kernarg_size 128
		.amdhsa_user_sgpr_count 2
		.amdhsa_user_sgpr_dispatch_ptr 0
		.amdhsa_user_sgpr_queue_ptr 0
		.amdhsa_user_sgpr_kernarg_segment_ptr 1
		.amdhsa_user_sgpr_dispatch_id 0
		.amdhsa_user_sgpr_kernarg_preload_length 0
		.amdhsa_user_sgpr_kernarg_preload_offset 0
		.amdhsa_user_sgpr_private_segment_size 0
		.amdhsa_wavefront_size32 1
		.amdhsa_uses_dynamic_stack 0
		.amdhsa_enable_private_segment 0
		.amdhsa_system_sgpr_workgroup_id_x 1
		.amdhsa_system_sgpr_workgroup_id_y 0
		.amdhsa_system_sgpr_workgroup_id_z 0
		.amdhsa_system_sgpr_workgroup_info 0
		.amdhsa_system_vgpr_workitem_id 0
		.amdhsa_next_free_vgpr 1
		.amdhsa_next_free_sgpr 1
		.amdhsa_named_barrier_count 0
		.amdhsa_reserve_vcc 0
		.amdhsa_float_round_mode_32 0
		.amdhsa_float_round_mode_16_64 0
		.amdhsa_float_denorm_mode_32 3
		.amdhsa_float_denorm_mode_16_64 3
		.amdhsa_fp16_overflow 0
		.amdhsa_memory_ordered 1
		.amdhsa_forward_progress 1
		.amdhsa_inst_pref_size 0
		.amdhsa_round_robin_scheduling 0
		.amdhsa_exception_fp_ieee_invalid_op 0
		.amdhsa_exception_fp_denorm_src 0
		.amdhsa_exception_fp_ieee_div_zero 0
		.amdhsa_exception_fp_ieee_overflow 0
		.amdhsa_exception_fp_ieee_underflow 0
		.amdhsa_exception_fp_ieee_inexact 0
		.amdhsa_exception_int_div_zero 0
	.end_amdhsa_kernel
	.section	.text._ZN7rocprim17ROCPRIM_400000_NS6detail17trampoline_kernelINS0_14default_configENS1_21merge_config_selectorINS0_5tupleIJyyEEENS0_10empty_typeEEEZNS1_10merge_implIS3_NS0_12zip_iteratorINS5_IJN6thrust23THRUST_200600_302600_NS6detail15normal_iteratorINSC_10device_ptrIKyEEEESI_EEEEESK_NSA_INS5_IJNSC_16discard_iteratorINSC_11use_defaultEEESN_EEEEEPS7_SQ_SQ_NSC_11hip_rocprim7__merge17predicate_wrapperIyyNSC_4lessIyEEEEEE10hipError_tPvRmT0_T1_T2_T3_T4_T5_mmT6_P12ihipStream_tbEUlT_E0_NS1_11comp_targetILNS1_3genE2ELNS1_11target_archE906ELNS1_3gpuE6ELNS1_3repE0EEENS1_30default_config_static_selectorELNS0_4arch9wavefront6targetE0EEEvS11_,"axG",@progbits,_ZN7rocprim17ROCPRIM_400000_NS6detail17trampoline_kernelINS0_14default_configENS1_21merge_config_selectorINS0_5tupleIJyyEEENS0_10empty_typeEEEZNS1_10merge_implIS3_NS0_12zip_iteratorINS5_IJN6thrust23THRUST_200600_302600_NS6detail15normal_iteratorINSC_10device_ptrIKyEEEESI_EEEEESK_NSA_INS5_IJNSC_16discard_iteratorINSC_11use_defaultEEESN_EEEEEPS7_SQ_SQ_NSC_11hip_rocprim7__merge17predicate_wrapperIyyNSC_4lessIyEEEEEE10hipError_tPvRmT0_T1_T2_T3_T4_T5_mmT6_P12ihipStream_tbEUlT_E0_NS1_11comp_targetILNS1_3genE2ELNS1_11target_archE906ELNS1_3gpuE6ELNS1_3repE0EEENS1_30default_config_static_selectorELNS0_4arch9wavefront6targetE0EEEvS11_,comdat
.Lfunc_end528:
	.size	_ZN7rocprim17ROCPRIM_400000_NS6detail17trampoline_kernelINS0_14default_configENS1_21merge_config_selectorINS0_5tupleIJyyEEENS0_10empty_typeEEEZNS1_10merge_implIS3_NS0_12zip_iteratorINS5_IJN6thrust23THRUST_200600_302600_NS6detail15normal_iteratorINSC_10device_ptrIKyEEEESI_EEEEESK_NSA_INS5_IJNSC_16discard_iteratorINSC_11use_defaultEEESN_EEEEEPS7_SQ_SQ_NSC_11hip_rocprim7__merge17predicate_wrapperIyyNSC_4lessIyEEEEEE10hipError_tPvRmT0_T1_T2_T3_T4_T5_mmT6_P12ihipStream_tbEUlT_E0_NS1_11comp_targetILNS1_3genE2ELNS1_11target_archE906ELNS1_3gpuE6ELNS1_3repE0EEENS1_30default_config_static_selectorELNS0_4arch9wavefront6targetE0EEEvS11_, .Lfunc_end528-_ZN7rocprim17ROCPRIM_400000_NS6detail17trampoline_kernelINS0_14default_configENS1_21merge_config_selectorINS0_5tupleIJyyEEENS0_10empty_typeEEEZNS1_10merge_implIS3_NS0_12zip_iteratorINS5_IJN6thrust23THRUST_200600_302600_NS6detail15normal_iteratorINSC_10device_ptrIKyEEEESI_EEEEESK_NSA_INS5_IJNSC_16discard_iteratorINSC_11use_defaultEEESN_EEEEEPS7_SQ_SQ_NSC_11hip_rocprim7__merge17predicate_wrapperIyyNSC_4lessIyEEEEEE10hipError_tPvRmT0_T1_T2_T3_T4_T5_mmT6_P12ihipStream_tbEUlT_E0_NS1_11comp_targetILNS1_3genE2ELNS1_11target_archE906ELNS1_3gpuE6ELNS1_3repE0EEENS1_30default_config_static_selectorELNS0_4arch9wavefront6targetE0EEEvS11_
                                        ; -- End function
	.set _ZN7rocprim17ROCPRIM_400000_NS6detail17trampoline_kernelINS0_14default_configENS1_21merge_config_selectorINS0_5tupleIJyyEEENS0_10empty_typeEEEZNS1_10merge_implIS3_NS0_12zip_iteratorINS5_IJN6thrust23THRUST_200600_302600_NS6detail15normal_iteratorINSC_10device_ptrIKyEEEESI_EEEEESK_NSA_INS5_IJNSC_16discard_iteratorINSC_11use_defaultEEESN_EEEEEPS7_SQ_SQ_NSC_11hip_rocprim7__merge17predicate_wrapperIyyNSC_4lessIyEEEEEE10hipError_tPvRmT0_T1_T2_T3_T4_T5_mmT6_P12ihipStream_tbEUlT_E0_NS1_11comp_targetILNS1_3genE2ELNS1_11target_archE906ELNS1_3gpuE6ELNS1_3repE0EEENS1_30default_config_static_selectorELNS0_4arch9wavefront6targetE0EEEvS11_.num_vgpr, 0
	.set _ZN7rocprim17ROCPRIM_400000_NS6detail17trampoline_kernelINS0_14default_configENS1_21merge_config_selectorINS0_5tupleIJyyEEENS0_10empty_typeEEEZNS1_10merge_implIS3_NS0_12zip_iteratorINS5_IJN6thrust23THRUST_200600_302600_NS6detail15normal_iteratorINSC_10device_ptrIKyEEEESI_EEEEESK_NSA_INS5_IJNSC_16discard_iteratorINSC_11use_defaultEEESN_EEEEEPS7_SQ_SQ_NSC_11hip_rocprim7__merge17predicate_wrapperIyyNSC_4lessIyEEEEEE10hipError_tPvRmT0_T1_T2_T3_T4_T5_mmT6_P12ihipStream_tbEUlT_E0_NS1_11comp_targetILNS1_3genE2ELNS1_11target_archE906ELNS1_3gpuE6ELNS1_3repE0EEENS1_30default_config_static_selectorELNS0_4arch9wavefront6targetE0EEEvS11_.num_agpr, 0
	.set _ZN7rocprim17ROCPRIM_400000_NS6detail17trampoline_kernelINS0_14default_configENS1_21merge_config_selectorINS0_5tupleIJyyEEENS0_10empty_typeEEEZNS1_10merge_implIS3_NS0_12zip_iteratorINS5_IJN6thrust23THRUST_200600_302600_NS6detail15normal_iteratorINSC_10device_ptrIKyEEEESI_EEEEESK_NSA_INS5_IJNSC_16discard_iteratorINSC_11use_defaultEEESN_EEEEEPS7_SQ_SQ_NSC_11hip_rocprim7__merge17predicate_wrapperIyyNSC_4lessIyEEEEEE10hipError_tPvRmT0_T1_T2_T3_T4_T5_mmT6_P12ihipStream_tbEUlT_E0_NS1_11comp_targetILNS1_3genE2ELNS1_11target_archE906ELNS1_3gpuE6ELNS1_3repE0EEENS1_30default_config_static_selectorELNS0_4arch9wavefront6targetE0EEEvS11_.numbered_sgpr, 0
	.set _ZN7rocprim17ROCPRIM_400000_NS6detail17trampoline_kernelINS0_14default_configENS1_21merge_config_selectorINS0_5tupleIJyyEEENS0_10empty_typeEEEZNS1_10merge_implIS3_NS0_12zip_iteratorINS5_IJN6thrust23THRUST_200600_302600_NS6detail15normal_iteratorINSC_10device_ptrIKyEEEESI_EEEEESK_NSA_INS5_IJNSC_16discard_iteratorINSC_11use_defaultEEESN_EEEEEPS7_SQ_SQ_NSC_11hip_rocprim7__merge17predicate_wrapperIyyNSC_4lessIyEEEEEE10hipError_tPvRmT0_T1_T2_T3_T4_T5_mmT6_P12ihipStream_tbEUlT_E0_NS1_11comp_targetILNS1_3genE2ELNS1_11target_archE906ELNS1_3gpuE6ELNS1_3repE0EEENS1_30default_config_static_selectorELNS0_4arch9wavefront6targetE0EEEvS11_.num_named_barrier, 0
	.set _ZN7rocprim17ROCPRIM_400000_NS6detail17trampoline_kernelINS0_14default_configENS1_21merge_config_selectorINS0_5tupleIJyyEEENS0_10empty_typeEEEZNS1_10merge_implIS3_NS0_12zip_iteratorINS5_IJN6thrust23THRUST_200600_302600_NS6detail15normal_iteratorINSC_10device_ptrIKyEEEESI_EEEEESK_NSA_INS5_IJNSC_16discard_iteratorINSC_11use_defaultEEESN_EEEEEPS7_SQ_SQ_NSC_11hip_rocprim7__merge17predicate_wrapperIyyNSC_4lessIyEEEEEE10hipError_tPvRmT0_T1_T2_T3_T4_T5_mmT6_P12ihipStream_tbEUlT_E0_NS1_11comp_targetILNS1_3genE2ELNS1_11target_archE906ELNS1_3gpuE6ELNS1_3repE0EEENS1_30default_config_static_selectorELNS0_4arch9wavefront6targetE0EEEvS11_.private_seg_size, 0
	.set _ZN7rocprim17ROCPRIM_400000_NS6detail17trampoline_kernelINS0_14default_configENS1_21merge_config_selectorINS0_5tupleIJyyEEENS0_10empty_typeEEEZNS1_10merge_implIS3_NS0_12zip_iteratorINS5_IJN6thrust23THRUST_200600_302600_NS6detail15normal_iteratorINSC_10device_ptrIKyEEEESI_EEEEESK_NSA_INS5_IJNSC_16discard_iteratorINSC_11use_defaultEEESN_EEEEEPS7_SQ_SQ_NSC_11hip_rocprim7__merge17predicate_wrapperIyyNSC_4lessIyEEEEEE10hipError_tPvRmT0_T1_T2_T3_T4_T5_mmT6_P12ihipStream_tbEUlT_E0_NS1_11comp_targetILNS1_3genE2ELNS1_11target_archE906ELNS1_3gpuE6ELNS1_3repE0EEENS1_30default_config_static_selectorELNS0_4arch9wavefront6targetE0EEEvS11_.uses_vcc, 0
	.set _ZN7rocprim17ROCPRIM_400000_NS6detail17trampoline_kernelINS0_14default_configENS1_21merge_config_selectorINS0_5tupleIJyyEEENS0_10empty_typeEEEZNS1_10merge_implIS3_NS0_12zip_iteratorINS5_IJN6thrust23THRUST_200600_302600_NS6detail15normal_iteratorINSC_10device_ptrIKyEEEESI_EEEEESK_NSA_INS5_IJNSC_16discard_iteratorINSC_11use_defaultEEESN_EEEEEPS7_SQ_SQ_NSC_11hip_rocprim7__merge17predicate_wrapperIyyNSC_4lessIyEEEEEE10hipError_tPvRmT0_T1_T2_T3_T4_T5_mmT6_P12ihipStream_tbEUlT_E0_NS1_11comp_targetILNS1_3genE2ELNS1_11target_archE906ELNS1_3gpuE6ELNS1_3repE0EEENS1_30default_config_static_selectorELNS0_4arch9wavefront6targetE0EEEvS11_.uses_flat_scratch, 0
	.set _ZN7rocprim17ROCPRIM_400000_NS6detail17trampoline_kernelINS0_14default_configENS1_21merge_config_selectorINS0_5tupleIJyyEEENS0_10empty_typeEEEZNS1_10merge_implIS3_NS0_12zip_iteratorINS5_IJN6thrust23THRUST_200600_302600_NS6detail15normal_iteratorINSC_10device_ptrIKyEEEESI_EEEEESK_NSA_INS5_IJNSC_16discard_iteratorINSC_11use_defaultEEESN_EEEEEPS7_SQ_SQ_NSC_11hip_rocprim7__merge17predicate_wrapperIyyNSC_4lessIyEEEEEE10hipError_tPvRmT0_T1_T2_T3_T4_T5_mmT6_P12ihipStream_tbEUlT_E0_NS1_11comp_targetILNS1_3genE2ELNS1_11target_archE906ELNS1_3gpuE6ELNS1_3repE0EEENS1_30default_config_static_selectorELNS0_4arch9wavefront6targetE0EEEvS11_.has_dyn_sized_stack, 0
	.set _ZN7rocprim17ROCPRIM_400000_NS6detail17trampoline_kernelINS0_14default_configENS1_21merge_config_selectorINS0_5tupleIJyyEEENS0_10empty_typeEEEZNS1_10merge_implIS3_NS0_12zip_iteratorINS5_IJN6thrust23THRUST_200600_302600_NS6detail15normal_iteratorINSC_10device_ptrIKyEEEESI_EEEEESK_NSA_INS5_IJNSC_16discard_iteratorINSC_11use_defaultEEESN_EEEEEPS7_SQ_SQ_NSC_11hip_rocprim7__merge17predicate_wrapperIyyNSC_4lessIyEEEEEE10hipError_tPvRmT0_T1_T2_T3_T4_T5_mmT6_P12ihipStream_tbEUlT_E0_NS1_11comp_targetILNS1_3genE2ELNS1_11target_archE906ELNS1_3gpuE6ELNS1_3repE0EEENS1_30default_config_static_selectorELNS0_4arch9wavefront6targetE0EEEvS11_.has_recursion, 0
	.set _ZN7rocprim17ROCPRIM_400000_NS6detail17trampoline_kernelINS0_14default_configENS1_21merge_config_selectorINS0_5tupleIJyyEEENS0_10empty_typeEEEZNS1_10merge_implIS3_NS0_12zip_iteratorINS5_IJN6thrust23THRUST_200600_302600_NS6detail15normal_iteratorINSC_10device_ptrIKyEEEESI_EEEEESK_NSA_INS5_IJNSC_16discard_iteratorINSC_11use_defaultEEESN_EEEEEPS7_SQ_SQ_NSC_11hip_rocprim7__merge17predicate_wrapperIyyNSC_4lessIyEEEEEE10hipError_tPvRmT0_T1_T2_T3_T4_T5_mmT6_P12ihipStream_tbEUlT_E0_NS1_11comp_targetILNS1_3genE2ELNS1_11target_archE906ELNS1_3gpuE6ELNS1_3repE0EEENS1_30default_config_static_selectorELNS0_4arch9wavefront6targetE0EEEvS11_.has_indirect_call, 0
	.section	.AMDGPU.csdata,"",@progbits
; Kernel info:
; codeLenInByte = 0
; TotalNumSgprs: 0
; NumVgprs: 0
; ScratchSize: 0
; MemoryBound: 0
; FloatMode: 240
; IeeeMode: 1
; LDSByteSize: 0 bytes/workgroup (compile time only)
; SGPRBlocks: 0
; VGPRBlocks: 0
; NumSGPRsForWavesPerEU: 1
; NumVGPRsForWavesPerEU: 1
; NamedBarCnt: 0
; Occupancy: 16
; WaveLimiterHint : 0
; COMPUTE_PGM_RSRC2:SCRATCH_EN: 0
; COMPUTE_PGM_RSRC2:USER_SGPR: 2
; COMPUTE_PGM_RSRC2:TRAP_HANDLER: 0
; COMPUTE_PGM_RSRC2:TGID_X_EN: 1
; COMPUTE_PGM_RSRC2:TGID_Y_EN: 0
; COMPUTE_PGM_RSRC2:TGID_Z_EN: 0
; COMPUTE_PGM_RSRC2:TIDIG_COMP_CNT: 0
	.section	.text._ZN7rocprim17ROCPRIM_400000_NS6detail17trampoline_kernelINS0_14default_configENS1_21merge_config_selectorINS0_5tupleIJyyEEENS0_10empty_typeEEEZNS1_10merge_implIS3_NS0_12zip_iteratorINS5_IJN6thrust23THRUST_200600_302600_NS6detail15normal_iteratorINSC_10device_ptrIKyEEEESI_EEEEESK_NSA_INS5_IJNSC_16discard_iteratorINSC_11use_defaultEEESN_EEEEEPS7_SQ_SQ_NSC_11hip_rocprim7__merge17predicate_wrapperIyyNSC_4lessIyEEEEEE10hipError_tPvRmT0_T1_T2_T3_T4_T5_mmT6_P12ihipStream_tbEUlT_E0_NS1_11comp_targetILNS1_3genE10ELNS1_11target_archE1201ELNS1_3gpuE5ELNS1_3repE0EEENS1_30default_config_static_selectorELNS0_4arch9wavefront6targetE0EEEvS11_,"axG",@progbits,_ZN7rocprim17ROCPRIM_400000_NS6detail17trampoline_kernelINS0_14default_configENS1_21merge_config_selectorINS0_5tupleIJyyEEENS0_10empty_typeEEEZNS1_10merge_implIS3_NS0_12zip_iteratorINS5_IJN6thrust23THRUST_200600_302600_NS6detail15normal_iteratorINSC_10device_ptrIKyEEEESI_EEEEESK_NSA_INS5_IJNSC_16discard_iteratorINSC_11use_defaultEEESN_EEEEEPS7_SQ_SQ_NSC_11hip_rocprim7__merge17predicate_wrapperIyyNSC_4lessIyEEEEEE10hipError_tPvRmT0_T1_T2_T3_T4_T5_mmT6_P12ihipStream_tbEUlT_E0_NS1_11comp_targetILNS1_3genE10ELNS1_11target_archE1201ELNS1_3gpuE5ELNS1_3repE0EEENS1_30default_config_static_selectorELNS0_4arch9wavefront6targetE0EEEvS11_,comdat
	.protected	_ZN7rocprim17ROCPRIM_400000_NS6detail17trampoline_kernelINS0_14default_configENS1_21merge_config_selectorINS0_5tupleIJyyEEENS0_10empty_typeEEEZNS1_10merge_implIS3_NS0_12zip_iteratorINS5_IJN6thrust23THRUST_200600_302600_NS6detail15normal_iteratorINSC_10device_ptrIKyEEEESI_EEEEESK_NSA_INS5_IJNSC_16discard_iteratorINSC_11use_defaultEEESN_EEEEEPS7_SQ_SQ_NSC_11hip_rocprim7__merge17predicate_wrapperIyyNSC_4lessIyEEEEEE10hipError_tPvRmT0_T1_T2_T3_T4_T5_mmT6_P12ihipStream_tbEUlT_E0_NS1_11comp_targetILNS1_3genE10ELNS1_11target_archE1201ELNS1_3gpuE5ELNS1_3repE0EEENS1_30default_config_static_selectorELNS0_4arch9wavefront6targetE0EEEvS11_ ; -- Begin function _ZN7rocprim17ROCPRIM_400000_NS6detail17trampoline_kernelINS0_14default_configENS1_21merge_config_selectorINS0_5tupleIJyyEEENS0_10empty_typeEEEZNS1_10merge_implIS3_NS0_12zip_iteratorINS5_IJN6thrust23THRUST_200600_302600_NS6detail15normal_iteratorINSC_10device_ptrIKyEEEESI_EEEEESK_NSA_INS5_IJNSC_16discard_iteratorINSC_11use_defaultEEESN_EEEEEPS7_SQ_SQ_NSC_11hip_rocprim7__merge17predicate_wrapperIyyNSC_4lessIyEEEEEE10hipError_tPvRmT0_T1_T2_T3_T4_T5_mmT6_P12ihipStream_tbEUlT_E0_NS1_11comp_targetILNS1_3genE10ELNS1_11target_archE1201ELNS1_3gpuE5ELNS1_3repE0EEENS1_30default_config_static_selectorELNS0_4arch9wavefront6targetE0EEEvS11_
	.globl	_ZN7rocprim17ROCPRIM_400000_NS6detail17trampoline_kernelINS0_14default_configENS1_21merge_config_selectorINS0_5tupleIJyyEEENS0_10empty_typeEEEZNS1_10merge_implIS3_NS0_12zip_iteratorINS5_IJN6thrust23THRUST_200600_302600_NS6detail15normal_iteratorINSC_10device_ptrIKyEEEESI_EEEEESK_NSA_INS5_IJNSC_16discard_iteratorINSC_11use_defaultEEESN_EEEEEPS7_SQ_SQ_NSC_11hip_rocprim7__merge17predicate_wrapperIyyNSC_4lessIyEEEEEE10hipError_tPvRmT0_T1_T2_T3_T4_T5_mmT6_P12ihipStream_tbEUlT_E0_NS1_11comp_targetILNS1_3genE10ELNS1_11target_archE1201ELNS1_3gpuE5ELNS1_3repE0EEENS1_30default_config_static_selectorELNS0_4arch9wavefront6targetE0EEEvS11_
	.p2align	8
	.type	_ZN7rocprim17ROCPRIM_400000_NS6detail17trampoline_kernelINS0_14default_configENS1_21merge_config_selectorINS0_5tupleIJyyEEENS0_10empty_typeEEEZNS1_10merge_implIS3_NS0_12zip_iteratorINS5_IJN6thrust23THRUST_200600_302600_NS6detail15normal_iteratorINSC_10device_ptrIKyEEEESI_EEEEESK_NSA_INS5_IJNSC_16discard_iteratorINSC_11use_defaultEEESN_EEEEEPS7_SQ_SQ_NSC_11hip_rocprim7__merge17predicate_wrapperIyyNSC_4lessIyEEEEEE10hipError_tPvRmT0_T1_T2_T3_T4_T5_mmT6_P12ihipStream_tbEUlT_E0_NS1_11comp_targetILNS1_3genE10ELNS1_11target_archE1201ELNS1_3gpuE5ELNS1_3repE0EEENS1_30default_config_static_selectorELNS0_4arch9wavefront6targetE0EEEvS11_,@function
_ZN7rocprim17ROCPRIM_400000_NS6detail17trampoline_kernelINS0_14default_configENS1_21merge_config_selectorINS0_5tupleIJyyEEENS0_10empty_typeEEEZNS1_10merge_implIS3_NS0_12zip_iteratorINS5_IJN6thrust23THRUST_200600_302600_NS6detail15normal_iteratorINSC_10device_ptrIKyEEEESI_EEEEESK_NSA_INS5_IJNSC_16discard_iteratorINSC_11use_defaultEEESN_EEEEEPS7_SQ_SQ_NSC_11hip_rocprim7__merge17predicate_wrapperIyyNSC_4lessIyEEEEEE10hipError_tPvRmT0_T1_T2_T3_T4_T5_mmT6_P12ihipStream_tbEUlT_E0_NS1_11comp_targetILNS1_3genE10ELNS1_11target_archE1201ELNS1_3gpuE5ELNS1_3repE0EEENS1_30default_config_static_selectorELNS0_4arch9wavefront6targetE0EEEvS11_: ; @_ZN7rocprim17ROCPRIM_400000_NS6detail17trampoline_kernelINS0_14default_configENS1_21merge_config_selectorINS0_5tupleIJyyEEENS0_10empty_typeEEEZNS1_10merge_implIS3_NS0_12zip_iteratorINS5_IJN6thrust23THRUST_200600_302600_NS6detail15normal_iteratorINSC_10device_ptrIKyEEEESI_EEEEESK_NSA_INS5_IJNSC_16discard_iteratorINSC_11use_defaultEEESN_EEEEEPS7_SQ_SQ_NSC_11hip_rocprim7__merge17predicate_wrapperIyyNSC_4lessIyEEEEEE10hipError_tPvRmT0_T1_T2_T3_T4_T5_mmT6_P12ihipStream_tbEUlT_E0_NS1_11comp_targetILNS1_3genE10ELNS1_11target_archE1201ELNS1_3gpuE5ELNS1_3repE0EEENS1_30default_config_static_selectorELNS0_4arch9wavefront6targetE0EEEvS11_
; %bb.0:
	.section	.rodata,"a",@progbits
	.p2align	6, 0x0
	.amdhsa_kernel _ZN7rocprim17ROCPRIM_400000_NS6detail17trampoline_kernelINS0_14default_configENS1_21merge_config_selectorINS0_5tupleIJyyEEENS0_10empty_typeEEEZNS1_10merge_implIS3_NS0_12zip_iteratorINS5_IJN6thrust23THRUST_200600_302600_NS6detail15normal_iteratorINSC_10device_ptrIKyEEEESI_EEEEESK_NSA_INS5_IJNSC_16discard_iteratorINSC_11use_defaultEEESN_EEEEEPS7_SQ_SQ_NSC_11hip_rocprim7__merge17predicate_wrapperIyyNSC_4lessIyEEEEEE10hipError_tPvRmT0_T1_T2_T3_T4_T5_mmT6_P12ihipStream_tbEUlT_E0_NS1_11comp_targetILNS1_3genE10ELNS1_11target_archE1201ELNS1_3gpuE5ELNS1_3repE0EEENS1_30default_config_static_selectorELNS0_4arch9wavefront6targetE0EEEvS11_
		.amdhsa_group_segment_fixed_size 0
		.amdhsa_private_segment_fixed_size 0
		.amdhsa_kernarg_size 128
		.amdhsa_user_sgpr_count 2
		.amdhsa_user_sgpr_dispatch_ptr 0
		.amdhsa_user_sgpr_queue_ptr 0
		.amdhsa_user_sgpr_kernarg_segment_ptr 1
		.amdhsa_user_sgpr_dispatch_id 0
		.amdhsa_user_sgpr_kernarg_preload_length 0
		.amdhsa_user_sgpr_kernarg_preload_offset 0
		.amdhsa_user_sgpr_private_segment_size 0
		.amdhsa_wavefront_size32 1
		.amdhsa_uses_dynamic_stack 0
		.amdhsa_enable_private_segment 0
		.amdhsa_system_sgpr_workgroup_id_x 1
		.amdhsa_system_sgpr_workgroup_id_y 0
		.amdhsa_system_sgpr_workgroup_id_z 0
		.amdhsa_system_sgpr_workgroup_info 0
		.amdhsa_system_vgpr_workitem_id 0
		.amdhsa_next_free_vgpr 1
		.amdhsa_next_free_sgpr 1
		.amdhsa_named_barrier_count 0
		.amdhsa_reserve_vcc 0
		.amdhsa_float_round_mode_32 0
		.amdhsa_float_round_mode_16_64 0
		.amdhsa_float_denorm_mode_32 3
		.amdhsa_float_denorm_mode_16_64 3
		.amdhsa_fp16_overflow 0
		.amdhsa_memory_ordered 1
		.amdhsa_forward_progress 1
		.amdhsa_inst_pref_size 0
		.amdhsa_round_robin_scheduling 0
		.amdhsa_exception_fp_ieee_invalid_op 0
		.amdhsa_exception_fp_denorm_src 0
		.amdhsa_exception_fp_ieee_div_zero 0
		.amdhsa_exception_fp_ieee_overflow 0
		.amdhsa_exception_fp_ieee_underflow 0
		.amdhsa_exception_fp_ieee_inexact 0
		.amdhsa_exception_int_div_zero 0
	.end_amdhsa_kernel
	.section	.text._ZN7rocprim17ROCPRIM_400000_NS6detail17trampoline_kernelINS0_14default_configENS1_21merge_config_selectorINS0_5tupleIJyyEEENS0_10empty_typeEEEZNS1_10merge_implIS3_NS0_12zip_iteratorINS5_IJN6thrust23THRUST_200600_302600_NS6detail15normal_iteratorINSC_10device_ptrIKyEEEESI_EEEEESK_NSA_INS5_IJNSC_16discard_iteratorINSC_11use_defaultEEESN_EEEEEPS7_SQ_SQ_NSC_11hip_rocprim7__merge17predicate_wrapperIyyNSC_4lessIyEEEEEE10hipError_tPvRmT0_T1_T2_T3_T4_T5_mmT6_P12ihipStream_tbEUlT_E0_NS1_11comp_targetILNS1_3genE10ELNS1_11target_archE1201ELNS1_3gpuE5ELNS1_3repE0EEENS1_30default_config_static_selectorELNS0_4arch9wavefront6targetE0EEEvS11_,"axG",@progbits,_ZN7rocprim17ROCPRIM_400000_NS6detail17trampoline_kernelINS0_14default_configENS1_21merge_config_selectorINS0_5tupleIJyyEEENS0_10empty_typeEEEZNS1_10merge_implIS3_NS0_12zip_iteratorINS5_IJN6thrust23THRUST_200600_302600_NS6detail15normal_iteratorINSC_10device_ptrIKyEEEESI_EEEEESK_NSA_INS5_IJNSC_16discard_iteratorINSC_11use_defaultEEESN_EEEEEPS7_SQ_SQ_NSC_11hip_rocprim7__merge17predicate_wrapperIyyNSC_4lessIyEEEEEE10hipError_tPvRmT0_T1_T2_T3_T4_T5_mmT6_P12ihipStream_tbEUlT_E0_NS1_11comp_targetILNS1_3genE10ELNS1_11target_archE1201ELNS1_3gpuE5ELNS1_3repE0EEENS1_30default_config_static_selectorELNS0_4arch9wavefront6targetE0EEEvS11_,comdat
.Lfunc_end529:
	.size	_ZN7rocprim17ROCPRIM_400000_NS6detail17trampoline_kernelINS0_14default_configENS1_21merge_config_selectorINS0_5tupleIJyyEEENS0_10empty_typeEEEZNS1_10merge_implIS3_NS0_12zip_iteratorINS5_IJN6thrust23THRUST_200600_302600_NS6detail15normal_iteratorINSC_10device_ptrIKyEEEESI_EEEEESK_NSA_INS5_IJNSC_16discard_iteratorINSC_11use_defaultEEESN_EEEEEPS7_SQ_SQ_NSC_11hip_rocprim7__merge17predicate_wrapperIyyNSC_4lessIyEEEEEE10hipError_tPvRmT0_T1_T2_T3_T4_T5_mmT6_P12ihipStream_tbEUlT_E0_NS1_11comp_targetILNS1_3genE10ELNS1_11target_archE1201ELNS1_3gpuE5ELNS1_3repE0EEENS1_30default_config_static_selectorELNS0_4arch9wavefront6targetE0EEEvS11_, .Lfunc_end529-_ZN7rocprim17ROCPRIM_400000_NS6detail17trampoline_kernelINS0_14default_configENS1_21merge_config_selectorINS0_5tupleIJyyEEENS0_10empty_typeEEEZNS1_10merge_implIS3_NS0_12zip_iteratorINS5_IJN6thrust23THRUST_200600_302600_NS6detail15normal_iteratorINSC_10device_ptrIKyEEEESI_EEEEESK_NSA_INS5_IJNSC_16discard_iteratorINSC_11use_defaultEEESN_EEEEEPS7_SQ_SQ_NSC_11hip_rocprim7__merge17predicate_wrapperIyyNSC_4lessIyEEEEEE10hipError_tPvRmT0_T1_T2_T3_T4_T5_mmT6_P12ihipStream_tbEUlT_E0_NS1_11comp_targetILNS1_3genE10ELNS1_11target_archE1201ELNS1_3gpuE5ELNS1_3repE0EEENS1_30default_config_static_selectorELNS0_4arch9wavefront6targetE0EEEvS11_
                                        ; -- End function
	.set _ZN7rocprim17ROCPRIM_400000_NS6detail17trampoline_kernelINS0_14default_configENS1_21merge_config_selectorINS0_5tupleIJyyEEENS0_10empty_typeEEEZNS1_10merge_implIS3_NS0_12zip_iteratorINS5_IJN6thrust23THRUST_200600_302600_NS6detail15normal_iteratorINSC_10device_ptrIKyEEEESI_EEEEESK_NSA_INS5_IJNSC_16discard_iteratorINSC_11use_defaultEEESN_EEEEEPS7_SQ_SQ_NSC_11hip_rocprim7__merge17predicate_wrapperIyyNSC_4lessIyEEEEEE10hipError_tPvRmT0_T1_T2_T3_T4_T5_mmT6_P12ihipStream_tbEUlT_E0_NS1_11comp_targetILNS1_3genE10ELNS1_11target_archE1201ELNS1_3gpuE5ELNS1_3repE0EEENS1_30default_config_static_selectorELNS0_4arch9wavefront6targetE0EEEvS11_.num_vgpr, 0
	.set _ZN7rocprim17ROCPRIM_400000_NS6detail17trampoline_kernelINS0_14default_configENS1_21merge_config_selectorINS0_5tupleIJyyEEENS0_10empty_typeEEEZNS1_10merge_implIS3_NS0_12zip_iteratorINS5_IJN6thrust23THRUST_200600_302600_NS6detail15normal_iteratorINSC_10device_ptrIKyEEEESI_EEEEESK_NSA_INS5_IJNSC_16discard_iteratorINSC_11use_defaultEEESN_EEEEEPS7_SQ_SQ_NSC_11hip_rocprim7__merge17predicate_wrapperIyyNSC_4lessIyEEEEEE10hipError_tPvRmT0_T1_T2_T3_T4_T5_mmT6_P12ihipStream_tbEUlT_E0_NS1_11comp_targetILNS1_3genE10ELNS1_11target_archE1201ELNS1_3gpuE5ELNS1_3repE0EEENS1_30default_config_static_selectorELNS0_4arch9wavefront6targetE0EEEvS11_.num_agpr, 0
	.set _ZN7rocprim17ROCPRIM_400000_NS6detail17trampoline_kernelINS0_14default_configENS1_21merge_config_selectorINS0_5tupleIJyyEEENS0_10empty_typeEEEZNS1_10merge_implIS3_NS0_12zip_iteratorINS5_IJN6thrust23THRUST_200600_302600_NS6detail15normal_iteratorINSC_10device_ptrIKyEEEESI_EEEEESK_NSA_INS5_IJNSC_16discard_iteratorINSC_11use_defaultEEESN_EEEEEPS7_SQ_SQ_NSC_11hip_rocprim7__merge17predicate_wrapperIyyNSC_4lessIyEEEEEE10hipError_tPvRmT0_T1_T2_T3_T4_T5_mmT6_P12ihipStream_tbEUlT_E0_NS1_11comp_targetILNS1_3genE10ELNS1_11target_archE1201ELNS1_3gpuE5ELNS1_3repE0EEENS1_30default_config_static_selectorELNS0_4arch9wavefront6targetE0EEEvS11_.numbered_sgpr, 0
	.set _ZN7rocprim17ROCPRIM_400000_NS6detail17trampoline_kernelINS0_14default_configENS1_21merge_config_selectorINS0_5tupleIJyyEEENS0_10empty_typeEEEZNS1_10merge_implIS3_NS0_12zip_iteratorINS5_IJN6thrust23THRUST_200600_302600_NS6detail15normal_iteratorINSC_10device_ptrIKyEEEESI_EEEEESK_NSA_INS5_IJNSC_16discard_iteratorINSC_11use_defaultEEESN_EEEEEPS7_SQ_SQ_NSC_11hip_rocprim7__merge17predicate_wrapperIyyNSC_4lessIyEEEEEE10hipError_tPvRmT0_T1_T2_T3_T4_T5_mmT6_P12ihipStream_tbEUlT_E0_NS1_11comp_targetILNS1_3genE10ELNS1_11target_archE1201ELNS1_3gpuE5ELNS1_3repE0EEENS1_30default_config_static_selectorELNS0_4arch9wavefront6targetE0EEEvS11_.num_named_barrier, 0
	.set _ZN7rocprim17ROCPRIM_400000_NS6detail17trampoline_kernelINS0_14default_configENS1_21merge_config_selectorINS0_5tupleIJyyEEENS0_10empty_typeEEEZNS1_10merge_implIS3_NS0_12zip_iteratorINS5_IJN6thrust23THRUST_200600_302600_NS6detail15normal_iteratorINSC_10device_ptrIKyEEEESI_EEEEESK_NSA_INS5_IJNSC_16discard_iteratorINSC_11use_defaultEEESN_EEEEEPS7_SQ_SQ_NSC_11hip_rocprim7__merge17predicate_wrapperIyyNSC_4lessIyEEEEEE10hipError_tPvRmT0_T1_T2_T3_T4_T5_mmT6_P12ihipStream_tbEUlT_E0_NS1_11comp_targetILNS1_3genE10ELNS1_11target_archE1201ELNS1_3gpuE5ELNS1_3repE0EEENS1_30default_config_static_selectorELNS0_4arch9wavefront6targetE0EEEvS11_.private_seg_size, 0
	.set _ZN7rocprim17ROCPRIM_400000_NS6detail17trampoline_kernelINS0_14default_configENS1_21merge_config_selectorINS0_5tupleIJyyEEENS0_10empty_typeEEEZNS1_10merge_implIS3_NS0_12zip_iteratorINS5_IJN6thrust23THRUST_200600_302600_NS6detail15normal_iteratorINSC_10device_ptrIKyEEEESI_EEEEESK_NSA_INS5_IJNSC_16discard_iteratorINSC_11use_defaultEEESN_EEEEEPS7_SQ_SQ_NSC_11hip_rocprim7__merge17predicate_wrapperIyyNSC_4lessIyEEEEEE10hipError_tPvRmT0_T1_T2_T3_T4_T5_mmT6_P12ihipStream_tbEUlT_E0_NS1_11comp_targetILNS1_3genE10ELNS1_11target_archE1201ELNS1_3gpuE5ELNS1_3repE0EEENS1_30default_config_static_selectorELNS0_4arch9wavefront6targetE0EEEvS11_.uses_vcc, 0
	.set _ZN7rocprim17ROCPRIM_400000_NS6detail17trampoline_kernelINS0_14default_configENS1_21merge_config_selectorINS0_5tupleIJyyEEENS0_10empty_typeEEEZNS1_10merge_implIS3_NS0_12zip_iteratorINS5_IJN6thrust23THRUST_200600_302600_NS6detail15normal_iteratorINSC_10device_ptrIKyEEEESI_EEEEESK_NSA_INS5_IJNSC_16discard_iteratorINSC_11use_defaultEEESN_EEEEEPS7_SQ_SQ_NSC_11hip_rocprim7__merge17predicate_wrapperIyyNSC_4lessIyEEEEEE10hipError_tPvRmT0_T1_T2_T3_T4_T5_mmT6_P12ihipStream_tbEUlT_E0_NS1_11comp_targetILNS1_3genE10ELNS1_11target_archE1201ELNS1_3gpuE5ELNS1_3repE0EEENS1_30default_config_static_selectorELNS0_4arch9wavefront6targetE0EEEvS11_.uses_flat_scratch, 0
	.set _ZN7rocprim17ROCPRIM_400000_NS6detail17trampoline_kernelINS0_14default_configENS1_21merge_config_selectorINS0_5tupleIJyyEEENS0_10empty_typeEEEZNS1_10merge_implIS3_NS0_12zip_iteratorINS5_IJN6thrust23THRUST_200600_302600_NS6detail15normal_iteratorINSC_10device_ptrIKyEEEESI_EEEEESK_NSA_INS5_IJNSC_16discard_iteratorINSC_11use_defaultEEESN_EEEEEPS7_SQ_SQ_NSC_11hip_rocprim7__merge17predicate_wrapperIyyNSC_4lessIyEEEEEE10hipError_tPvRmT0_T1_T2_T3_T4_T5_mmT6_P12ihipStream_tbEUlT_E0_NS1_11comp_targetILNS1_3genE10ELNS1_11target_archE1201ELNS1_3gpuE5ELNS1_3repE0EEENS1_30default_config_static_selectorELNS0_4arch9wavefront6targetE0EEEvS11_.has_dyn_sized_stack, 0
	.set _ZN7rocprim17ROCPRIM_400000_NS6detail17trampoline_kernelINS0_14default_configENS1_21merge_config_selectorINS0_5tupleIJyyEEENS0_10empty_typeEEEZNS1_10merge_implIS3_NS0_12zip_iteratorINS5_IJN6thrust23THRUST_200600_302600_NS6detail15normal_iteratorINSC_10device_ptrIKyEEEESI_EEEEESK_NSA_INS5_IJNSC_16discard_iteratorINSC_11use_defaultEEESN_EEEEEPS7_SQ_SQ_NSC_11hip_rocprim7__merge17predicate_wrapperIyyNSC_4lessIyEEEEEE10hipError_tPvRmT0_T1_T2_T3_T4_T5_mmT6_P12ihipStream_tbEUlT_E0_NS1_11comp_targetILNS1_3genE10ELNS1_11target_archE1201ELNS1_3gpuE5ELNS1_3repE0EEENS1_30default_config_static_selectorELNS0_4arch9wavefront6targetE0EEEvS11_.has_recursion, 0
	.set _ZN7rocprim17ROCPRIM_400000_NS6detail17trampoline_kernelINS0_14default_configENS1_21merge_config_selectorINS0_5tupleIJyyEEENS0_10empty_typeEEEZNS1_10merge_implIS3_NS0_12zip_iteratorINS5_IJN6thrust23THRUST_200600_302600_NS6detail15normal_iteratorINSC_10device_ptrIKyEEEESI_EEEEESK_NSA_INS5_IJNSC_16discard_iteratorINSC_11use_defaultEEESN_EEEEEPS7_SQ_SQ_NSC_11hip_rocprim7__merge17predicate_wrapperIyyNSC_4lessIyEEEEEE10hipError_tPvRmT0_T1_T2_T3_T4_T5_mmT6_P12ihipStream_tbEUlT_E0_NS1_11comp_targetILNS1_3genE10ELNS1_11target_archE1201ELNS1_3gpuE5ELNS1_3repE0EEENS1_30default_config_static_selectorELNS0_4arch9wavefront6targetE0EEEvS11_.has_indirect_call, 0
	.section	.AMDGPU.csdata,"",@progbits
; Kernel info:
; codeLenInByte = 0
; TotalNumSgprs: 0
; NumVgprs: 0
; ScratchSize: 0
; MemoryBound: 0
; FloatMode: 240
; IeeeMode: 1
; LDSByteSize: 0 bytes/workgroup (compile time only)
; SGPRBlocks: 0
; VGPRBlocks: 0
; NumSGPRsForWavesPerEU: 1
; NumVGPRsForWavesPerEU: 1
; NamedBarCnt: 0
; Occupancy: 16
; WaveLimiterHint : 0
; COMPUTE_PGM_RSRC2:SCRATCH_EN: 0
; COMPUTE_PGM_RSRC2:USER_SGPR: 2
; COMPUTE_PGM_RSRC2:TRAP_HANDLER: 0
; COMPUTE_PGM_RSRC2:TGID_X_EN: 1
; COMPUTE_PGM_RSRC2:TGID_Y_EN: 0
; COMPUTE_PGM_RSRC2:TGID_Z_EN: 0
; COMPUTE_PGM_RSRC2:TIDIG_COMP_CNT: 0
	.section	.text._ZN7rocprim17ROCPRIM_400000_NS6detail17trampoline_kernelINS0_14default_configENS1_21merge_config_selectorINS0_5tupleIJyyEEENS0_10empty_typeEEEZNS1_10merge_implIS3_NS0_12zip_iteratorINS5_IJN6thrust23THRUST_200600_302600_NS6detail15normal_iteratorINSC_10device_ptrIKyEEEESI_EEEEESK_NSA_INS5_IJNSC_16discard_iteratorINSC_11use_defaultEEESN_EEEEEPS7_SQ_SQ_NSC_11hip_rocprim7__merge17predicate_wrapperIyyNSC_4lessIyEEEEEE10hipError_tPvRmT0_T1_T2_T3_T4_T5_mmT6_P12ihipStream_tbEUlT_E0_NS1_11comp_targetILNS1_3genE10ELNS1_11target_archE1200ELNS1_3gpuE4ELNS1_3repE0EEENS1_30default_config_static_selectorELNS0_4arch9wavefront6targetE0EEEvS11_,"axG",@progbits,_ZN7rocprim17ROCPRIM_400000_NS6detail17trampoline_kernelINS0_14default_configENS1_21merge_config_selectorINS0_5tupleIJyyEEENS0_10empty_typeEEEZNS1_10merge_implIS3_NS0_12zip_iteratorINS5_IJN6thrust23THRUST_200600_302600_NS6detail15normal_iteratorINSC_10device_ptrIKyEEEESI_EEEEESK_NSA_INS5_IJNSC_16discard_iteratorINSC_11use_defaultEEESN_EEEEEPS7_SQ_SQ_NSC_11hip_rocprim7__merge17predicate_wrapperIyyNSC_4lessIyEEEEEE10hipError_tPvRmT0_T1_T2_T3_T4_T5_mmT6_P12ihipStream_tbEUlT_E0_NS1_11comp_targetILNS1_3genE10ELNS1_11target_archE1200ELNS1_3gpuE4ELNS1_3repE0EEENS1_30default_config_static_selectorELNS0_4arch9wavefront6targetE0EEEvS11_,comdat
	.protected	_ZN7rocprim17ROCPRIM_400000_NS6detail17trampoline_kernelINS0_14default_configENS1_21merge_config_selectorINS0_5tupleIJyyEEENS0_10empty_typeEEEZNS1_10merge_implIS3_NS0_12zip_iteratorINS5_IJN6thrust23THRUST_200600_302600_NS6detail15normal_iteratorINSC_10device_ptrIKyEEEESI_EEEEESK_NSA_INS5_IJNSC_16discard_iteratorINSC_11use_defaultEEESN_EEEEEPS7_SQ_SQ_NSC_11hip_rocprim7__merge17predicate_wrapperIyyNSC_4lessIyEEEEEE10hipError_tPvRmT0_T1_T2_T3_T4_T5_mmT6_P12ihipStream_tbEUlT_E0_NS1_11comp_targetILNS1_3genE10ELNS1_11target_archE1200ELNS1_3gpuE4ELNS1_3repE0EEENS1_30default_config_static_selectorELNS0_4arch9wavefront6targetE0EEEvS11_ ; -- Begin function _ZN7rocprim17ROCPRIM_400000_NS6detail17trampoline_kernelINS0_14default_configENS1_21merge_config_selectorINS0_5tupleIJyyEEENS0_10empty_typeEEEZNS1_10merge_implIS3_NS0_12zip_iteratorINS5_IJN6thrust23THRUST_200600_302600_NS6detail15normal_iteratorINSC_10device_ptrIKyEEEESI_EEEEESK_NSA_INS5_IJNSC_16discard_iteratorINSC_11use_defaultEEESN_EEEEEPS7_SQ_SQ_NSC_11hip_rocprim7__merge17predicate_wrapperIyyNSC_4lessIyEEEEEE10hipError_tPvRmT0_T1_T2_T3_T4_T5_mmT6_P12ihipStream_tbEUlT_E0_NS1_11comp_targetILNS1_3genE10ELNS1_11target_archE1200ELNS1_3gpuE4ELNS1_3repE0EEENS1_30default_config_static_selectorELNS0_4arch9wavefront6targetE0EEEvS11_
	.globl	_ZN7rocprim17ROCPRIM_400000_NS6detail17trampoline_kernelINS0_14default_configENS1_21merge_config_selectorINS0_5tupleIJyyEEENS0_10empty_typeEEEZNS1_10merge_implIS3_NS0_12zip_iteratorINS5_IJN6thrust23THRUST_200600_302600_NS6detail15normal_iteratorINSC_10device_ptrIKyEEEESI_EEEEESK_NSA_INS5_IJNSC_16discard_iteratorINSC_11use_defaultEEESN_EEEEEPS7_SQ_SQ_NSC_11hip_rocprim7__merge17predicate_wrapperIyyNSC_4lessIyEEEEEE10hipError_tPvRmT0_T1_T2_T3_T4_T5_mmT6_P12ihipStream_tbEUlT_E0_NS1_11comp_targetILNS1_3genE10ELNS1_11target_archE1200ELNS1_3gpuE4ELNS1_3repE0EEENS1_30default_config_static_selectorELNS0_4arch9wavefront6targetE0EEEvS11_
	.p2align	8
	.type	_ZN7rocprim17ROCPRIM_400000_NS6detail17trampoline_kernelINS0_14default_configENS1_21merge_config_selectorINS0_5tupleIJyyEEENS0_10empty_typeEEEZNS1_10merge_implIS3_NS0_12zip_iteratorINS5_IJN6thrust23THRUST_200600_302600_NS6detail15normal_iteratorINSC_10device_ptrIKyEEEESI_EEEEESK_NSA_INS5_IJNSC_16discard_iteratorINSC_11use_defaultEEESN_EEEEEPS7_SQ_SQ_NSC_11hip_rocprim7__merge17predicate_wrapperIyyNSC_4lessIyEEEEEE10hipError_tPvRmT0_T1_T2_T3_T4_T5_mmT6_P12ihipStream_tbEUlT_E0_NS1_11comp_targetILNS1_3genE10ELNS1_11target_archE1200ELNS1_3gpuE4ELNS1_3repE0EEENS1_30default_config_static_selectorELNS0_4arch9wavefront6targetE0EEEvS11_,@function
_ZN7rocprim17ROCPRIM_400000_NS6detail17trampoline_kernelINS0_14default_configENS1_21merge_config_selectorINS0_5tupleIJyyEEENS0_10empty_typeEEEZNS1_10merge_implIS3_NS0_12zip_iteratorINS5_IJN6thrust23THRUST_200600_302600_NS6detail15normal_iteratorINSC_10device_ptrIKyEEEESI_EEEEESK_NSA_INS5_IJNSC_16discard_iteratorINSC_11use_defaultEEESN_EEEEEPS7_SQ_SQ_NSC_11hip_rocprim7__merge17predicate_wrapperIyyNSC_4lessIyEEEEEE10hipError_tPvRmT0_T1_T2_T3_T4_T5_mmT6_P12ihipStream_tbEUlT_E0_NS1_11comp_targetILNS1_3genE10ELNS1_11target_archE1200ELNS1_3gpuE4ELNS1_3repE0EEENS1_30default_config_static_selectorELNS0_4arch9wavefront6targetE0EEEvS11_: ; @_ZN7rocprim17ROCPRIM_400000_NS6detail17trampoline_kernelINS0_14default_configENS1_21merge_config_selectorINS0_5tupleIJyyEEENS0_10empty_typeEEEZNS1_10merge_implIS3_NS0_12zip_iteratorINS5_IJN6thrust23THRUST_200600_302600_NS6detail15normal_iteratorINSC_10device_ptrIKyEEEESI_EEEEESK_NSA_INS5_IJNSC_16discard_iteratorINSC_11use_defaultEEESN_EEEEEPS7_SQ_SQ_NSC_11hip_rocprim7__merge17predicate_wrapperIyyNSC_4lessIyEEEEEE10hipError_tPvRmT0_T1_T2_T3_T4_T5_mmT6_P12ihipStream_tbEUlT_E0_NS1_11comp_targetILNS1_3genE10ELNS1_11target_archE1200ELNS1_3gpuE4ELNS1_3repE0EEENS1_30default_config_static_selectorELNS0_4arch9wavefront6targetE0EEEvS11_
; %bb.0:
	.section	.rodata,"a",@progbits
	.p2align	6, 0x0
	.amdhsa_kernel _ZN7rocprim17ROCPRIM_400000_NS6detail17trampoline_kernelINS0_14default_configENS1_21merge_config_selectorINS0_5tupleIJyyEEENS0_10empty_typeEEEZNS1_10merge_implIS3_NS0_12zip_iteratorINS5_IJN6thrust23THRUST_200600_302600_NS6detail15normal_iteratorINSC_10device_ptrIKyEEEESI_EEEEESK_NSA_INS5_IJNSC_16discard_iteratorINSC_11use_defaultEEESN_EEEEEPS7_SQ_SQ_NSC_11hip_rocprim7__merge17predicate_wrapperIyyNSC_4lessIyEEEEEE10hipError_tPvRmT0_T1_T2_T3_T4_T5_mmT6_P12ihipStream_tbEUlT_E0_NS1_11comp_targetILNS1_3genE10ELNS1_11target_archE1200ELNS1_3gpuE4ELNS1_3repE0EEENS1_30default_config_static_selectorELNS0_4arch9wavefront6targetE0EEEvS11_
		.amdhsa_group_segment_fixed_size 0
		.amdhsa_private_segment_fixed_size 0
		.amdhsa_kernarg_size 128
		.amdhsa_user_sgpr_count 2
		.amdhsa_user_sgpr_dispatch_ptr 0
		.amdhsa_user_sgpr_queue_ptr 0
		.amdhsa_user_sgpr_kernarg_segment_ptr 1
		.amdhsa_user_sgpr_dispatch_id 0
		.amdhsa_user_sgpr_kernarg_preload_length 0
		.amdhsa_user_sgpr_kernarg_preload_offset 0
		.amdhsa_user_sgpr_private_segment_size 0
		.amdhsa_wavefront_size32 1
		.amdhsa_uses_dynamic_stack 0
		.amdhsa_enable_private_segment 0
		.amdhsa_system_sgpr_workgroup_id_x 1
		.amdhsa_system_sgpr_workgroup_id_y 0
		.amdhsa_system_sgpr_workgroup_id_z 0
		.amdhsa_system_sgpr_workgroup_info 0
		.amdhsa_system_vgpr_workitem_id 0
		.amdhsa_next_free_vgpr 1
		.amdhsa_next_free_sgpr 1
		.amdhsa_named_barrier_count 0
		.amdhsa_reserve_vcc 0
		.amdhsa_float_round_mode_32 0
		.amdhsa_float_round_mode_16_64 0
		.amdhsa_float_denorm_mode_32 3
		.amdhsa_float_denorm_mode_16_64 3
		.amdhsa_fp16_overflow 0
		.amdhsa_memory_ordered 1
		.amdhsa_forward_progress 1
		.amdhsa_inst_pref_size 0
		.amdhsa_round_robin_scheduling 0
		.amdhsa_exception_fp_ieee_invalid_op 0
		.amdhsa_exception_fp_denorm_src 0
		.amdhsa_exception_fp_ieee_div_zero 0
		.amdhsa_exception_fp_ieee_overflow 0
		.amdhsa_exception_fp_ieee_underflow 0
		.amdhsa_exception_fp_ieee_inexact 0
		.amdhsa_exception_int_div_zero 0
	.end_amdhsa_kernel
	.section	.text._ZN7rocprim17ROCPRIM_400000_NS6detail17trampoline_kernelINS0_14default_configENS1_21merge_config_selectorINS0_5tupleIJyyEEENS0_10empty_typeEEEZNS1_10merge_implIS3_NS0_12zip_iteratorINS5_IJN6thrust23THRUST_200600_302600_NS6detail15normal_iteratorINSC_10device_ptrIKyEEEESI_EEEEESK_NSA_INS5_IJNSC_16discard_iteratorINSC_11use_defaultEEESN_EEEEEPS7_SQ_SQ_NSC_11hip_rocprim7__merge17predicate_wrapperIyyNSC_4lessIyEEEEEE10hipError_tPvRmT0_T1_T2_T3_T4_T5_mmT6_P12ihipStream_tbEUlT_E0_NS1_11comp_targetILNS1_3genE10ELNS1_11target_archE1200ELNS1_3gpuE4ELNS1_3repE0EEENS1_30default_config_static_selectorELNS0_4arch9wavefront6targetE0EEEvS11_,"axG",@progbits,_ZN7rocprim17ROCPRIM_400000_NS6detail17trampoline_kernelINS0_14default_configENS1_21merge_config_selectorINS0_5tupleIJyyEEENS0_10empty_typeEEEZNS1_10merge_implIS3_NS0_12zip_iteratorINS5_IJN6thrust23THRUST_200600_302600_NS6detail15normal_iteratorINSC_10device_ptrIKyEEEESI_EEEEESK_NSA_INS5_IJNSC_16discard_iteratorINSC_11use_defaultEEESN_EEEEEPS7_SQ_SQ_NSC_11hip_rocprim7__merge17predicate_wrapperIyyNSC_4lessIyEEEEEE10hipError_tPvRmT0_T1_T2_T3_T4_T5_mmT6_P12ihipStream_tbEUlT_E0_NS1_11comp_targetILNS1_3genE10ELNS1_11target_archE1200ELNS1_3gpuE4ELNS1_3repE0EEENS1_30default_config_static_selectorELNS0_4arch9wavefront6targetE0EEEvS11_,comdat
.Lfunc_end530:
	.size	_ZN7rocprim17ROCPRIM_400000_NS6detail17trampoline_kernelINS0_14default_configENS1_21merge_config_selectorINS0_5tupleIJyyEEENS0_10empty_typeEEEZNS1_10merge_implIS3_NS0_12zip_iteratorINS5_IJN6thrust23THRUST_200600_302600_NS6detail15normal_iteratorINSC_10device_ptrIKyEEEESI_EEEEESK_NSA_INS5_IJNSC_16discard_iteratorINSC_11use_defaultEEESN_EEEEEPS7_SQ_SQ_NSC_11hip_rocprim7__merge17predicate_wrapperIyyNSC_4lessIyEEEEEE10hipError_tPvRmT0_T1_T2_T3_T4_T5_mmT6_P12ihipStream_tbEUlT_E0_NS1_11comp_targetILNS1_3genE10ELNS1_11target_archE1200ELNS1_3gpuE4ELNS1_3repE0EEENS1_30default_config_static_selectorELNS0_4arch9wavefront6targetE0EEEvS11_, .Lfunc_end530-_ZN7rocprim17ROCPRIM_400000_NS6detail17trampoline_kernelINS0_14default_configENS1_21merge_config_selectorINS0_5tupleIJyyEEENS0_10empty_typeEEEZNS1_10merge_implIS3_NS0_12zip_iteratorINS5_IJN6thrust23THRUST_200600_302600_NS6detail15normal_iteratorINSC_10device_ptrIKyEEEESI_EEEEESK_NSA_INS5_IJNSC_16discard_iteratorINSC_11use_defaultEEESN_EEEEEPS7_SQ_SQ_NSC_11hip_rocprim7__merge17predicate_wrapperIyyNSC_4lessIyEEEEEE10hipError_tPvRmT0_T1_T2_T3_T4_T5_mmT6_P12ihipStream_tbEUlT_E0_NS1_11comp_targetILNS1_3genE10ELNS1_11target_archE1200ELNS1_3gpuE4ELNS1_3repE0EEENS1_30default_config_static_selectorELNS0_4arch9wavefront6targetE0EEEvS11_
                                        ; -- End function
	.set _ZN7rocprim17ROCPRIM_400000_NS6detail17trampoline_kernelINS0_14default_configENS1_21merge_config_selectorINS0_5tupleIJyyEEENS0_10empty_typeEEEZNS1_10merge_implIS3_NS0_12zip_iteratorINS5_IJN6thrust23THRUST_200600_302600_NS6detail15normal_iteratorINSC_10device_ptrIKyEEEESI_EEEEESK_NSA_INS5_IJNSC_16discard_iteratorINSC_11use_defaultEEESN_EEEEEPS7_SQ_SQ_NSC_11hip_rocprim7__merge17predicate_wrapperIyyNSC_4lessIyEEEEEE10hipError_tPvRmT0_T1_T2_T3_T4_T5_mmT6_P12ihipStream_tbEUlT_E0_NS1_11comp_targetILNS1_3genE10ELNS1_11target_archE1200ELNS1_3gpuE4ELNS1_3repE0EEENS1_30default_config_static_selectorELNS0_4arch9wavefront6targetE0EEEvS11_.num_vgpr, 0
	.set _ZN7rocprim17ROCPRIM_400000_NS6detail17trampoline_kernelINS0_14default_configENS1_21merge_config_selectorINS0_5tupleIJyyEEENS0_10empty_typeEEEZNS1_10merge_implIS3_NS0_12zip_iteratorINS5_IJN6thrust23THRUST_200600_302600_NS6detail15normal_iteratorINSC_10device_ptrIKyEEEESI_EEEEESK_NSA_INS5_IJNSC_16discard_iteratorINSC_11use_defaultEEESN_EEEEEPS7_SQ_SQ_NSC_11hip_rocprim7__merge17predicate_wrapperIyyNSC_4lessIyEEEEEE10hipError_tPvRmT0_T1_T2_T3_T4_T5_mmT6_P12ihipStream_tbEUlT_E0_NS1_11comp_targetILNS1_3genE10ELNS1_11target_archE1200ELNS1_3gpuE4ELNS1_3repE0EEENS1_30default_config_static_selectorELNS0_4arch9wavefront6targetE0EEEvS11_.num_agpr, 0
	.set _ZN7rocprim17ROCPRIM_400000_NS6detail17trampoline_kernelINS0_14default_configENS1_21merge_config_selectorINS0_5tupleIJyyEEENS0_10empty_typeEEEZNS1_10merge_implIS3_NS0_12zip_iteratorINS5_IJN6thrust23THRUST_200600_302600_NS6detail15normal_iteratorINSC_10device_ptrIKyEEEESI_EEEEESK_NSA_INS5_IJNSC_16discard_iteratorINSC_11use_defaultEEESN_EEEEEPS7_SQ_SQ_NSC_11hip_rocprim7__merge17predicate_wrapperIyyNSC_4lessIyEEEEEE10hipError_tPvRmT0_T1_T2_T3_T4_T5_mmT6_P12ihipStream_tbEUlT_E0_NS1_11comp_targetILNS1_3genE10ELNS1_11target_archE1200ELNS1_3gpuE4ELNS1_3repE0EEENS1_30default_config_static_selectorELNS0_4arch9wavefront6targetE0EEEvS11_.numbered_sgpr, 0
	.set _ZN7rocprim17ROCPRIM_400000_NS6detail17trampoline_kernelINS0_14default_configENS1_21merge_config_selectorINS0_5tupleIJyyEEENS0_10empty_typeEEEZNS1_10merge_implIS3_NS0_12zip_iteratorINS5_IJN6thrust23THRUST_200600_302600_NS6detail15normal_iteratorINSC_10device_ptrIKyEEEESI_EEEEESK_NSA_INS5_IJNSC_16discard_iteratorINSC_11use_defaultEEESN_EEEEEPS7_SQ_SQ_NSC_11hip_rocprim7__merge17predicate_wrapperIyyNSC_4lessIyEEEEEE10hipError_tPvRmT0_T1_T2_T3_T4_T5_mmT6_P12ihipStream_tbEUlT_E0_NS1_11comp_targetILNS1_3genE10ELNS1_11target_archE1200ELNS1_3gpuE4ELNS1_3repE0EEENS1_30default_config_static_selectorELNS0_4arch9wavefront6targetE0EEEvS11_.num_named_barrier, 0
	.set _ZN7rocprim17ROCPRIM_400000_NS6detail17trampoline_kernelINS0_14default_configENS1_21merge_config_selectorINS0_5tupleIJyyEEENS0_10empty_typeEEEZNS1_10merge_implIS3_NS0_12zip_iteratorINS5_IJN6thrust23THRUST_200600_302600_NS6detail15normal_iteratorINSC_10device_ptrIKyEEEESI_EEEEESK_NSA_INS5_IJNSC_16discard_iteratorINSC_11use_defaultEEESN_EEEEEPS7_SQ_SQ_NSC_11hip_rocprim7__merge17predicate_wrapperIyyNSC_4lessIyEEEEEE10hipError_tPvRmT0_T1_T2_T3_T4_T5_mmT6_P12ihipStream_tbEUlT_E0_NS1_11comp_targetILNS1_3genE10ELNS1_11target_archE1200ELNS1_3gpuE4ELNS1_3repE0EEENS1_30default_config_static_selectorELNS0_4arch9wavefront6targetE0EEEvS11_.private_seg_size, 0
	.set _ZN7rocprim17ROCPRIM_400000_NS6detail17trampoline_kernelINS0_14default_configENS1_21merge_config_selectorINS0_5tupleIJyyEEENS0_10empty_typeEEEZNS1_10merge_implIS3_NS0_12zip_iteratorINS5_IJN6thrust23THRUST_200600_302600_NS6detail15normal_iteratorINSC_10device_ptrIKyEEEESI_EEEEESK_NSA_INS5_IJNSC_16discard_iteratorINSC_11use_defaultEEESN_EEEEEPS7_SQ_SQ_NSC_11hip_rocprim7__merge17predicate_wrapperIyyNSC_4lessIyEEEEEE10hipError_tPvRmT0_T1_T2_T3_T4_T5_mmT6_P12ihipStream_tbEUlT_E0_NS1_11comp_targetILNS1_3genE10ELNS1_11target_archE1200ELNS1_3gpuE4ELNS1_3repE0EEENS1_30default_config_static_selectorELNS0_4arch9wavefront6targetE0EEEvS11_.uses_vcc, 0
	.set _ZN7rocprim17ROCPRIM_400000_NS6detail17trampoline_kernelINS0_14default_configENS1_21merge_config_selectorINS0_5tupleIJyyEEENS0_10empty_typeEEEZNS1_10merge_implIS3_NS0_12zip_iteratorINS5_IJN6thrust23THRUST_200600_302600_NS6detail15normal_iteratorINSC_10device_ptrIKyEEEESI_EEEEESK_NSA_INS5_IJNSC_16discard_iteratorINSC_11use_defaultEEESN_EEEEEPS7_SQ_SQ_NSC_11hip_rocprim7__merge17predicate_wrapperIyyNSC_4lessIyEEEEEE10hipError_tPvRmT0_T1_T2_T3_T4_T5_mmT6_P12ihipStream_tbEUlT_E0_NS1_11comp_targetILNS1_3genE10ELNS1_11target_archE1200ELNS1_3gpuE4ELNS1_3repE0EEENS1_30default_config_static_selectorELNS0_4arch9wavefront6targetE0EEEvS11_.uses_flat_scratch, 0
	.set _ZN7rocprim17ROCPRIM_400000_NS6detail17trampoline_kernelINS0_14default_configENS1_21merge_config_selectorINS0_5tupleIJyyEEENS0_10empty_typeEEEZNS1_10merge_implIS3_NS0_12zip_iteratorINS5_IJN6thrust23THRUST_200600_302600_NS6detail15normal_iteratorINSC_10device_ptrIKyEEEESI_EEEEESK_NSA_INS5_IJNSC_16discard_iteratorINSC_11use_defaultEEESN_EEEEEPS7_SQ_SQ_NSC_11hip_rocprim7__merge17predicate_wrapperIyyNSC_4lessIyEEEEEE10hipError_tPvRmT0_T1_T2_T3_T4_T5_mmT6_P12ihipStream_tbEUlT_E0_NS1_11comp_targetILNS1_3genE10ELNS1_11target_archE1200ELNS1_3gpuE4ELNS1_3repE0EEENS1_30default_config_static_selectorELNS0_4arch9wavefront6targetE0EEEvS11_.has_dyn_sized_stack, 0
	.set _ZN7rocprim17ROCPRIM_400000_NS6detail17trampoline_kernelINS0_14default_configENS1_21merge_config_selectorINS0_5tupleIJyyEEENS0_10empty_typeEEEZNS1_10merge_implIS3_NS0_12zip_iteratorINS5_IJN6thrust23THRUST_200600_302600_NS6detail15normal_iteratorINSC_10device_ptrIKyEEEESI_EEEEESK_NSA_INS5_IJNSC_16discard_iteratorINSC_11use_defaultEEESN_EEEEEPS7_SQ_SQ_NSC_11hip_rocprim7__merge17predicate_wrapperIyyNSC_4lessIyEEEEEE10hipError_tPvRmT0_T1_T2_T3_T4_T5_mmT6_P12ihipStream_tbEUlT_E0_NS1_11comp_targetILNS1_3genE10ELNS1_11target_archE1200ELNS1_3gpuE4ELNS1_3repE0EEENS1_30default_config_static_selectorELNS0_4arch9wavefront6targetE0EEEvS11_.has_recursion, 0
	.set _ZN7rocprim17ROCPRIM_400000_NS6detail17trampoline_kernelINS0_14default_configENS1_21merge_config_selectorINS0_5tupleIJyyEEENS0_10empty_typeEEEZNS1_10merge_implIS3_NS0_12zip_iteratorINS5_IJN6thrust23THRUST_200600_302600_NS6detail15normal_iteratorINSC_10device_ptrIKyEEEESI_EEEEESK_NSA_INS5_IJNSC_16discard_iteratorINSC_11use_defaultEEESN_EEEEEPS7_SQ_SQ_NSC_11hip_rocprim7__merge17predicate_wrapperIyyNSC_4lessIyEEEEEE10hipError_tPvRmT0_T1_T2_T3_T4_T5_mmT6_P12ihipStream_tbEUlT_E0_NS1_11comp_targetILNS1_3genE10ELNS1_11target_archE1200ELNS1_3gpuE4ELNS1_3repE0EEENS1_30default_config_static_selectorELNS0_4arch9wavefront6targetE0EEEvS11_.has_indirect_call, 0
	.section	.AMDGPU.csdata,"",@progbits
; Kernel info:
; codeLenInByte = 0
; TotalNumSgprs: 0
; NumVgprs: 0
; ScratchSize: 0
; MemoryBound: 0
; FloatMode: 240
; IeeeMode: 1
; LDSByteSize: 0 bytes/workgroup (compile time only)
; SGPRBlocks: 0
; VGPRBlocks: 0
; NumSGPRsForWavesPerEU: 1
; NumVGPRsForWavesPerEU: 1
; NamedBarCnt: 0
; Occupancy: 16
; WaveLimiterHint : 0
; COMPUTE_PGM_RSRC2:SCRATCH_EN: 0
; COMPUTE_PGM_RSRC2:USER_SGPR: 2
; COMPUTE_PGM_RSRC2:TRAP_HANDLER: 0
; COMPUTE_PGM_RSRC2:TGID_X_EN: 1
; COMPUTE_PGM_RSRC2:TGID_Y_EN: 0
; COMPUTE_PGM_RSRC2:TGID_Z_EN: 0
; COMPUTE_PGM_RSRC2:TIDIG_COMP_CNT: 0
	.section	.text._ZN7rocprim17ROCPRIM_400000_NS6detail17trampoline_kernelINS0_14default_configENS1_21merge_config_selectorINS0_5tupleIJyyEEENS0_10empty_typeEEEZNS1_10merge_implIS3_NS0_12zip_iteratorINS5_IJN6thrust23THRUST_200600_302600_NS6detail15normal_iteratorINSC_10device_ptrIKyEEEESI_EEEEESK_NSA_INS5_IJNSC_16discard_iteratorINSC_11use_defaultEEESN_EEEEEPS7_SQ_SQ_NSC_11hip_rocprim7__merge17predicate_wrapperIyyNSC_4lessIyEEEEEE10hipError_tPvRmT0_T1_T2_T3_T4_T5_mmT6_P12ihipStream_tbEUlT_E0_NS1_11comp_targetILNS1_3genE9ELNS1_11target_archE1100ELNS1_3gpuE3ELNS1_3repE0EEENS1_30default_config_static_selectorELNS0_4arch9wavefront6targetE0EEEvS11_,"axG",@progbits,_ZN7rocprim17ROCPRIM_400000_NS6detail17trampoline_kernelINS0_14default_configENS1_21merge_config_selectorINS0_5tupleIJyyEEENS0_10empty_typeEEEZNS1_10merge_implIS3_NS0_12zip_iteratorINS5_IJN6thrust23THRUST_200600_302600_NS6detail15normal_iteratorINSC_10device_ptrIKyEEEESI_EEEEESK_NSA_INS5_IJNSC_16discard_iteratorINSC_11use_defaultEEESN_EEEEEPS7_SQ_SQ_NSC_11hip_rocprim7__merge17predicate_wrapperIyyNSC_4lessIyEEEEEE10hipError_tPvRmT0_T1_T2_T3_T4_T5_mmT6_P12ihipStream_tbEUlT_E0_NS1_11comp_targetILNS1_3genE9ELNS1_11target_archE1100ELNS1_3gpuE3ELNS1_3repE0EEENS1_30default_config_static_selectorELNS0_4arch9wavefront6targetE0EEEvS11_,comdat
	.protected	_ZN7rocprim17ROCPRIM_400000_NS6detail17trampoline_kernelINS0_14default_configENS1_21merge_config_selectorINS0_5tupleIJyyEEENS0_10empty_typeEEEZNS1_10merge_implIS3_NS0_12zip_iteratorINS5_IJN6thrust23THRUST_200600_302600_NS6detail15normal_iteratorINSC_10device_ptrIKyEEEESI_EEEEESK_NSA_INS5_IJNSC_16discard_iteratorINSC_11use_defaultEEESN_EEEEEPS7_SQ_SQ_NSC_11hip_rocprim7__merge17predicate_wrapperIyyNSC_4lessIyEEEEEE10hipError_tPvRmT0_T1_T2_T3_T4_T5_mmT6_P12ihipStream_tbEUlT_E0_NS1_11comp_targetILNS1_3genE9ELNS1_11target_archE1100ELNS1_3gpuE3ELNS1_3repE0EEENS1_30default_config_static_selectorELNS0_4arch9wavefront6targetE0EEEvS11_ ; -- Begin function _ZN7rocprim17ROCPRIM_400000_NS6detail17trampoline_kernelINS0_14default_configENS1_21merge_config_selectorINS0_5tupleIJyyEEENS0_10empty_typeEEEZNS1_10merge_implIS3_NS0_12zip_iteratorINS5_IJN6thrust23THRUST_200600_302600_NS6detail15normal_iteratorINSC_10device_ptrIKyEEEESI_EEEEESK_NSA_INS5_IJNSC_16discard_iteratorINSC_11use_defaultEEESN_EEEEEPS7_SQ_SQ_NSC_11hip_rocprim7__merge17predicate_wrapperIyyNSC_4lessIyEEEEEE10hipError_tPvRmT0_T1_T2_T3_T4_T5_mmT6_P12ihipStream_tbEUlT_E0_NS1_11comp_targetILNS1_3genE9ELNS1_11target_archE1100ELNS1_3gpuE3ELNS1_3repE0EEENS1_30default_config_static_selectorELNS0_4arch9wavefront6targetE0EEEvS11_
	.globl	_ZN7rocprim17ROCPRIM_400000_NS6detail17trampoline_kernelINS0_14default_configENS1_21merge_config_selectorINS0_5tupleIJyyEEENS0_10empty_typeEEEZNS1_10merge_implIS3_NS0_12zip_iteratorINS5_IJN6thrust23THRUST_200600_302600_NS6detail15normal_iteratorINSC_10device_ptrIKyEEEESI_EEEEESK_NSA_INS5_IJNSC_16discard_iteratorINSC_11use_defaultEEESN_EEEEEPS7_SQ_SQ_NSC_11hip_rocprim7__merge17predicate_wrapperIyyNSC_4lessIyEEEEEE10hipError_tPvRmT0_T1_T2_T3_T4_T5_mmT6_P12ihipStream_tbEUlT_E0_NS1_11comp_targetILNS1_3genE9ELNS1_11target_archE1100ELNS1_3gpuE3ELNS1_3repE0EEENS1_30default_config_static_selectorELNS0_4arch9wavefront6targetE0EEEvS11_
	.p2align	8
	.type	_ZN7rocprim17ROCPRIM_400000_NS6detail17trampoline_kernelINS0_14default_configENS1_21merge_config_selectorINS0_5tupleIJyyEEENS0_10empty_typeEEEZNS1_10merge_implIS3_NS0_12zip_iteratorINS5_IJN6thrust23THRUST_200600_302600_NS6detail15normal_iteratorINSC_10device_ptrIKyEEEESI_EEEEESK_NSA_INS5_IJNSC_16discard_iteratorINSC_11use_defaultEEESN_EEEEEPS7_SQ_SQ_NSC_11hip_rocprim7__merge17predicate_wrapperIyyNSC_4lessIyEEEEEE10hipError_tPvRmT0_T1_T2_T3_T4_T5_mmT6_P12ihipStream_tbEUlT_E0_NS1_11comp_targetILNS1_3genE9ELNS1_11target_archE1100ELNS1_3gpuE3ELNS1_3repE0EEENS1_30default_config_static_selectorELNS0_4arch9wavefront6targetE0EEEvS11_,@function
_ZN7rocprim17ROCPRIM_400000_NS6detail17trampoline_kernelINS0_14default_configENS1_21merge_config_selectorINS0_5tupleIJyyEEENS0_10empty_typeEEEZNS1_10merge_implIS3_NS0_12zip_iteratorINS5_IJN6thrust23THRUST_200600_302600_NS6detail15normal_iteratorINSC_10device_ptrIKyEEEESI_EEEEESK_NSA_INS5_IJNSC_16discard_iteratorINSC_11use_defaultEEESN_EEEEEPS7_SQ_SQ_NSC_11hip_rocprim7__merge17predicate_wrapperIyyNSC_4lessIyEEEEEE10hipError_tPvRmT0_T1_T2_T3_T4_T5_mmT6_P12ihipStream_tbEUlT_E0_NS1_11comp_targetILNS1_3genE9ELNS1_11target_archE1100ELNS1_3gpuE3ELNS1_3repE0EEENS1_30default_config_static_selectorELNS0_4arch9wavefront6targetE0EEEvS11_: ; @_ZN7rocprim17ROCPRIM_400000_NS6detail17trampoline_kernelINS0_14default_configENS1_21merge_config_selectorINS0_5tupleIJyyEEENS0_10empty_typeEEEZNS1_10merge_implIS3_NS0_12zip_iteratorINS5_IJN6thrust23THRUST_200600_302600_NS6detail15normal_iteratorINSC_10device_ptrIKyEEEESI_EEEEESK_NSA_INS5_IJNSC_16discard_iteratorINSC_11use_defaultEEESN_EEEEEPS7_SQ_SQ_NSC_11hip_rocprim7__merge17predicate_wrapperIyyNSC_4lessIyEEEEEE10hipError_tPvRmT0_T1_T2_T3_T4_T5_mmT6_P12ihipStream_tbEUlT_E0_NS1_11comp_targetILNS1_3genE9ELNS1_11target_archE1100ELNS1_3gpuE3ELNS1_3repE0EEENS1_30default_config_static_selectorELNS0_4arch9wavefront6targetE0EEEvS11_
; %bb.0:
	.section	.rodata,"a",@progbits
	.p2align	6, 0x0
	.amdhsa_kernel _ZN7rocprim17ROCPRIM_400000_NS6detail17trampoline_kernelINS0_14default_configENS1_21merge_config_selectorINS0_5tupleIJyyEEENS0_10empty_typeEEEZNS1_10merge_implIS3_NS0_12zip_iteratorINS5_IJN6thrust23THRUST_200600_302600_NS6detail15normal_iteratorINSC_10device_ptrIKyEEEESI_EEEEESK_NSA_INS5_IJNSC_16discard_iteratorINSC_11use_defaultEEESN_EEEEEPS7_SQ_SQ_NSC_11hip_rocprim7__merge17predicate_wrapperIyyNSC_4lessIyEEEEEE10hipError_tPvRmT0_T1_T2_T3_T4_T5_mmT6_P12ihipStream_tbEUlT_E0_NS1_11comp_targetILNS1_3genE9ELNS1_11target_archE1100ELNS1_3gpuE3ELNS1_3repE0EEENS1_30default_config_static_selectorELNS0_4arch9wavefront6targetE0EEEvS11_
		.amdhsa_group_segment_fixed_size 0
		.amdhsa_private_segment_fixed_size 0
		.amdhsa_kernarg_size 128
		.amdhsa_user_sgpr_count 2
		.amdhsa_user_sgpr_dispatch_ptr 0
		.amdhsa_user_sgpr_queue_ptr 0
		.amdhsa_user_sgpr_kernarg_segment_ptr 1
		.amdhsa_user_sgpr_dispatch_id 0
		.amdhsa_user_sgpr_kernarg_preload_length 0
		.amdhsa_user_sgpr_kernarg_preload_offset 0
		.amdhsa_user_sgpr_private_segment_size 0
		.amdhsa_wavefront_size32 1
		.amdhsa_uses_dynamic_stack 0
		.amdhsa_enable_private_segment 0
		.amdhsa_system_sgpr_workgroup_id_x 1
		.amdhsa_system_sgpr_workgroup_id_y 0
		.amdhsa_system_sgpr_workgroup_id_z 0
		.amdhsa_system_sgpr_workgroup_info 0
		.amdhsa_system_vgpr_workitem_id 0
		.amdhsa_next_free_vgpr 1
		.amdhsa_next_free_sgpr 1
		.amdhsa_named_barrier_count 0
		.amdhsa_reserve_vcc 0
		.amdhsa_float_round_mode_32 0
		.amdhsa_float_round_mode_16_64 0
		.amdhsa_float_denorm_mode_32 3
		.amdhsa_float_denorm_mode_16_64 3
		.amdhsa_fp16_overflow 0
		.amdhsa_memory_ordered 1
		.amdhsa_forward_progress 1
		.amdhsa_inst_pref_size 0
		.amdhsa_round_robin_scheduling 0
		.amdhsa_exception_fp_ieee_invalid_op 0
		.amdhsa_exception_fp_denorm_src 0
		.amdhsa_exception_fp_ieee_div_zero 0
		.amdhsa_exception_fp_ieee_overflow 0
		.amdhsa_exception_fp_ieee_underflow 0
		.amdhsa_exception_fp_ieee_inexact 0
		.amdhsa_exception_int_div_zero 0
	.end_amdhsa_kernel
	.section	.text._ZN7rocprim17ROCPRIM_400000_NS6detail17trampoline_kernelINS0_14default_configENS1_21merge_config_selectorINS0_5tupleIJyyEEENS0_10empty_typeEEEZNS1_10merge_implIS3_NS0_12zip_iteratorINS5_IJN6thrust23THRUST_200600_302600_NS6detail15normal_iteratorINSC_10device_ptrIKyEEEESI_EEEEESK_NSA_INS5_IJNSC_16discard_iteratorINSC_11use_defaultEEESN_EEEEEPS7_SQ_SQ_NSC_11hip_rocprim7__merge17predicate_wrapperIyyNSC_4lessIyEEEEEE10hipError_tPvRmT0_T1_T2_T3_T4_T5_mmT6_P12ihipStream_tbEUlT_E0_NS1_11comp_targetILNS1_3genE9ELNS1_11target_archE1100ELNS1_3gpuE3ELNS1_3repE0EEENS1_30default_config_static_selectorELNS0_4arch9wavefront6targetE0EEEvS11_,"axG",@progbits,_ZN7rocprim17ROCPRIM_400000_NS6detail17trampoline_kernelINS0_14default_configENS1_21merge_config_selectorINS0_5tupleIJyyEEENS0_10empty_typeEEEZNS1_10merge_implIS3_NS0_12zip_iteratorINS5_IJN6thrust23THRUST_200600_302600_NS6detail15normal_iteratorINSC_10device_ptrIKyEEEESI_EEEEESK_NSA_INS5_IJNSC_16discard_iteratorINSC_11use_defaultEEESN_EEEEEPS7_SQ_SQ_NSC_11hip_rocprim7__merge17predicate_wrapperIyyNSC_4lessIyEEEEEE10hipError_tPvRmT0_T1_T2_T3_T4_T5_mmT6_P12ihipStream_tbEUlT_E0_NS1_11comp_targetILNS1_3genE9ELNS1_11target_archE1100ELNS1_3gpuE3ELNS1_3repE0EEENS1_30default_config_static_selectorELNS0_4arch9wavefront6targetE0EEEvS11_,comdat
.Lfunc_end531:
	.size	_ZN7rocprim17ROCPRIM_400000_NS6detail17trampoline_kernelINS0_14default_configENS1_21merge_config_selectorINS0_5tupleIJyyEEENS0_10empty_typeEEEZNS1_10merge_implIS3_NS0_12zip_iteratorINS5_IJN6thrust23THRUST_200600_302600_NS6detail15normal_iteratorINSC_10device_ptrIKyEEEESI_EEEEESK_NSA_INS5_IJNSC_16discard_iteratorINSC_11use_defaultEEESN_EEEEEPS7_SQ_SQ_NSC_11hip_rocprim7__merge17predicate_wrapperIyyNSC_4lessIyEEEEEE10hipError_tPvRmT0_T1_T2_T3_T4_T5_mmT6_P12ihipStream_tbEUlT_E0_NS1_11comp_targetILNS1_3genE9ELNS1_11target_archE1100ELNS1_3gpuE3ELNS1_3repE0EEENS1_30default_config_static_selectorELNS0_4arch9wavefront6targetE0EEEvS11_, .Lfunc_end531-_ZN7rocprim17ROCPRIM_400000_NS6detail17trampoline_kernelINS0_14default_configENS1_21merge_config_selectorINS0_5tupleIJyyEEENS0_10empty_typeEEEZNS1_10merge_implIS3_NS0_12zip_iteratorINS5_IJN6thrust23THRUST_200600_302600_NS6detail15normal_iteratorINSC_10device_ptrIKyEEEESI_EEEEESK_NSA_INS5_IJNSC_16discard_iteratorINSC_11use_defaultEEESN_EEEEEPS7_SQ_SQ_NSC_11hip_rocprim7__merge17predicate_wrapperIyyNSC_4lessIyEEEEEE10hipError_tPvRmT0_T1_T2_T3_T4_T5_mmT6_P12ihipStream_tbEUlT_E0_NS1_11comp_targetILNS1_3genE9ELNS1_11target_archE1100ELNS1_3gpuE3ELNS1_3repE0EEENS1_30default_config_static_selectorELNS0_4arch9wavefront6targetE0EEEvS11_
                                        ; -- End function
	.set _ZN7rocprim17ROCPRIM_400000_NS6detail17trampoline_kernelINS0_14default_configENS1_21merge_config_selectorINS0_5tupleIJyyEEENS0_10empty_typeEEEZNS1_10merge_implIS3_NS0_12zip_iteratorINS5_IJN6thrust23THRUST_200600_302600_NS6detail15normal_iteratorINSC_10device_ptrIKyEEEESI_EEEEESK_NSA_INS5_IJNSC_16discard_iteratorINSC_11use_defaultEEESN_EEEEEPS7_SQ_SQ_NSC_11hip_rocprim7__merge17predicate_wrapperIyyNSC_4lessIyEEEEEE10hipError_tPvRmT0_T1_T2_T3_T4_T5_mmT6_P12ihipStream_tbEUlT_E0_NS1_11comp_targetILNS1_3genE9ELNS1_11target_archE1100ELNS1_3gpuE3ELNS1_3repE0EEENS1_30default_config_static_selectorELNS0_4arch9wavefront6targetE0EEEvS11_.num_vgpr, 0
	.set _ZN7rocprim17ROCPRIM_400000_NS6detail17trampoline_kernelINS0_14default_configENS1_21merge_config_selectorINS0_5tupleIJyyEEENS0_10empty_typeEEEZNS1_10merge_implIS3_NS0_12zip_iteratorINS5_IJN6thrust23THRUST_200600_302600_NS6detail15normal_iteratorINSC_10device_ptrIKyEEEESI_EEEEESK_NSA_INS5_IJNSC_16discard_iteratorINSC_11use_defaultEEESN_EEEEEPS7_SQ_SQ_NSC_11hip_rocprim7__merge17predicate_wrapperIyyNSC_4lessIyEEEEEE10hipError_tPvRmT0_T1_T2_T3_T4_T5_mmT6_P12ihipStream_tbEUlT_E0_NS1_11comp_targetILNS1_3genE9ELNS1_11target_archE1100ELNS1_3gpuE3ELNS1_3repE0EEENS1_30default_config_static_selectorELNS0_4arch9wavefront6targetE0EEEvS11_.num_agpr, 0
	.set _ZN7rocprim17ROCPRIM_400000_NS6detail17trampoline_kernelINS0_14default_configENS1_21merge_config_selectorINS0_5tupleIJyyEEENS0_10empty_typeEEEZNS1_10merge_implIS3_NS0_12zip_iteratorINS5_IJN6thrust23THRUST_200600_302600_NS6detail15normal_iteratorINSC_10device_ptrIKyEEEESI_EEEEESK_NSA_INS5_IJNSC_16discard_iteratorINSC_11use_defaultEEESN_EEEEEPS7_SQ_SQ_NSC_11hip_rocprim7__merge17predicate_wrapperIyyNSC_4lessIyEEEEEE10hipError_tPvRmT0_T1_T2_T3_T4_T5_mmT6_P12ihipStream_tbEUlT_E0_NS1_11comp_targetILNS1_3genE9ELNS1_11target_archE1100ELNS1_3gpuE3ELNS1_3repE0EEENS1_30default_config_static_selectorELNS0_4arch9wavefront6targetE0EEEvS11_.numbered_sgpr, 0
	.set _ZN7rocprim17ROCPRIM_400000_NS6detail17trampoline_kernelINS0_14default_configENS1_21merge_config_selectorINS0_5tupleIJyyEEENS0_10empty_typeEEEZNS1_10merge_implIS3_NS0_12zip_iteratorINS5_IJN6thrust23THRUST_200600_302600_NS6detail15normal_iteratorINSC_10device_ptrIKyEEEESI_EEEEESK_NSA_INS5_IJNSC_16discard_iteratorINSC_11use_defaultEEESN_EEEEEPS7_SQ_SQ_NSC_11hip_rocprim7__merge17predicate_wrapperIyyNSC_4lessIyEEEEEE10hipError_tPvRmT0_T1_T2_T3_T4_T5_mmT6_P12ihipStream_tbEUlT_E0_NS1_11comp_targetILNS1_3genE9ELNS1_11target_archE1100ELNS1_3gpuE3ELNS1_3repE0EEENS1_30default_config_static_selectorELNS0_4arch9wavefront6targetE0EEEvS11_.num_named_barrier, 0
	.set _ZN7rocprim17ROCPRIM_400000_NS6detail17trampoline_kernelINS0_14default_configENS1_21merge_config_selectorINS0_5tupleIJyyEEENS0_10empty_typeEEEZNS1_10merge_implIS3_NS0_12zip_iteratorINS5_IJN6thrust23THRUST_200600_302600_NS6detail15normal_iteratorINSC_10device_ptrIKyEEEESI_EEEEESK_NSA_INS5_IJNSC_16discard_iteratorINSC_11use_defaultEEESN_EEEEEPS7_SQ_SQ_NSC_11hip_rocprim7__merge17predicate_wrapperIyyNSC_4lessIyEEEEEE10hipError_tPvRmT0_T1_T2_T3_T4_T5_mmT6_P12ihipStream_tbEUlT_E0_NS1_11comp_targetILNS1_3genE9ELNS1_11target_archE1100ELNS1_3gpuE3ELNS1_3repE0EEENS1_30default_config_static_selectorELNS0_4arch9wavefront6targetE0EEEvS11_.private_seg_size, 0
	.set _ZN7rocprim17ROCPRIM_400000_NS6detail17trampoline_kernelINS0_14default_configENS1_21merge_config_selectorINS0_5tupleIJyyEEENS0_10empty_typeEEEZNS1_10merge_implIS3_NS0_12zip_iteratorINS5_IJN6thrust23THRUST_200600_302600_NS6detail15normal_iteratorINSC_10device_ptrIKyEEEESI_EEEEESK_NSA_INS5_IJNSC_16discard_iteratorINSC_11use_defaultEEESN_EEEEEPS7_SQ_SQ_NSC_11hip_rocprim7__merge17predicate_wrapperIyyNSC_4lessIyEEEEEE10hipError_tPvRmT0_T1_T2_T3_T4_T5_mmT6_P12ihipStream_tbEUlT_E0_NS1_11comp_targetILNS1_3genE9ELNS1_11target_archE1100ELNS1_3gpuE3ELNS1_3repE0EEENS1_30default_config_static_selectorELNS0_4arch9wavefront6targetE0EEEvS11_.uses_vcc, 0
	.set _ZN7rocprim17ROCPRIM_400000_NS6detail17trampoline_kernelINS0_14default_configENS1_21merge_config_selectorINS0_5tupleIJyyEEENS0_10empty_typeEEEZNS1_10merge_implIS3_NS0_12zip_iteratorINS5_IJN6thrust23THRUST_200600_302600_NS6detail15normal_iteratorINSC_10device_ptrIKyEEEESI_EEEEESK_NSA_INS5_IJNSC_16discard_iteratorINSC_11use_defaultEEESN_EEEEEPS7_SQ_SQ_NSC_11hip_rocprim7__merge17predicate_wrapperIyyNSC_4lessIyEEEEEE10hipError_tPvRmT0_T1_T2_T3_T4_T5_mmT6_P12ihipStream_tbEUlT_E0_NS1_11comp_targetILNS1_3genE9ELNS1_11target_archE1100ELNS1_3gpuE3ELNS1_3repE0EEENS1_30default_config_static_selectorELNS0_4arch9wavefront6targetE0EEEvS11_.uses_flat_scratch, 0
	.set _ZN7rocprim17ROCPRIM_400000_NS6detail17trampoline_kernelINS0_14default_configENS1_21merge_config_selectorINS0_5tupleIJyyEEENS0_10empty_typeEEEZNS1_10merge_implIS3_NS0_12zip_iteratorINS5_IJN6thrust23THRUST_200600_302600_NS6detail15normal_iteratorINSC_10device_ptrIKyEEEESI_EEEEESK_NSA_INS5_IJNSC_16discard_iteratorINSC_11use_defaultEEESN_EEEEEPS7_SQ_SQ_NSC_11hip_rocprim7__merge17predicate_wrapperIyyNSC_4lessIyEEEEEE10hipError_tPvRmT0_T1_T2_T3_T4_T5_mmT6_P12ihipStream_tbEUlT_E0_NS1_11comp_targetILNS1_3genE9ELNS1_11target_archE1100ELNS1_3gpuE3ELNS1_3repE0EEENS1_30default_config_static_selectorELNS0_4arch9wavefront6targetE0EEEvS11_.has_dyn_sized_stack, 0
	.set _ZN7rocprim17ROCPRIM_400000_NS6detail17trampoline_kernelINS0_14default_configENS1_21merge_config_selectorINS0_5tupleIJyyEEENS0_10empty_typeEEEZNS1_10merge_implIS3_NS0_12zip_iteratorINS5_IJN6thrust23THRUST_200600_302600_NS6detail15normal_iteratorINSC_10device_ptrIKyEEEESI_EEEEESK_NSA_INS5_IJNSC_16discard_iteratorINSC_11use_defaultEEESN_EEEEEPS7_SQ_SQ_NSC_11hip_rocprim7__merge17predicate_wrapperIyyNSC_4lessIyEEEEEE10hipError_tPvRmT0_T1_T2_T3_T4_T5_mmT6_P12ihipStream_tbEUlT_E0_NS1_11comp_targetILNS1_3genE9ELNS1_11target_archE1100ELNS1_3gpuE3ELNS1_3repE0EEENS1_30default_config_static_selectorELNS0_4arch9wavefront6targetE0EEEvS11_.has_recursion, 0
	.set _ZN7rocprim17ROCPRIM_400000_NS6detail17trampoline_kernelINS0_14default_configENS1_21merge_config_selectorINS0_5tupleIJyyEEENS0_10empty_typeEEEZNS1_10merge_implIS3_NS0_12zip_iteratorINS5_IJN6thrust23THRUST_200600_302600_NS6detail15normal_iteratorINSC_10device_ptrIKyEEEESI_EEEEESK_NSA_INS5_IJNSC_16discard_iteratorINSC_11use_defaultEEESN_EEEEEPS7_SQ_SQ_NSC_11hip_rocprim7__merge17predicate_wrapperIyyNSC_4lessIyEEEEEE10hipError_tPvRmT0_T1_T2_T3_T4_T5_mmT6_P12ihipStream_tbEUlT_E0_NS1_11comp_targetILNS1_3genE9ELNS1_11target_archE1100ELNS1_3gpuE3ELNS1_3repE0EEENS1_30default_config_static_selectorELNS0_4arch9wavefront6targetE0EEEvS11_.has_indirect_call, 0
	.section	.AMDGPU.csdata,"",@progbits
; Kernel info:
; codeLenInByte = 0
; TotalNumSgprs: 0
; NumVgprs: 0
; ScratchSize: 0
; MemoryBound: 0
; FloatMode: 240
; IeeeMode: 1
; LDSByteSize: 0 bytes/workgroup (compile time only)
; SGPRBlocks: 0
; VGPRBlocks: 0
; NumSGPRsForWavesPerEU: 1
; NumVGPRsForWavesPerEU: 1
; NamedBarCnt: 0
; Occupancy: 16
; WaveLimiterHint : 0
; COMPUTE_PGM_RSRC2:SCRATCH_EN: 0
; COMPUTE_PGM_RSRC2:USER_SGPR: 2
; COMPUTE_PGM_RSRC2:TRAP_HANDLER: 0
; COMPUTE_PGM_RSRC2:TGID_X_EN: 1
; COMPUTE_PGM_RSRC2:TGID_Y_EN: 0
; COMPUTE_PGM_RSRC2:TGID_Z_EN: 0
; COMPUTE_PGM_RSRC2:TIDIG_COMP_CNT: 0
	.section	.text._ZN7rocprim17ROCPRIM_400000_NS6detail17trampoline_kernelINS0_14default_configENS1_21merge_config_selectorINS0_5tupleIJyyEEENS0_10empty_typeEEEZNS1_10merge_implIS3_NS0_12zip_iteratorINS5_IJN6thrust23THRUST_200600_302600_NS6detail15normal_iteratorINSC_10device_ptrIKyEEEESI_EEEEESK_NSA_INS5_IJNSC_16discard_iteratorINSC_11use_defaultEEESN_EEEEEPS7_SQ_SQ_NSC_11hip_rocprim7__merge17predicate_wrapperIyyNSC_4lessIyEEEEEE10hipError_tPvRmT0_T1_T2_T3_T4_T5_mmT6_P12ihipStream_tbEUlT_E0_NS1_11comp_targetILNS1_3genE8ELNS1_11target_archE1030ELNS1_3gpuE2ELNS1_3repE0EEENS1_30default_config_static_selectorELNS0_4arch9wavefront6targetE0EEEvS11_,"axG",@progbits,_ZN7rocprim17ROCPRIM_400000_NS6detail17trampoline_kernelINS0_14default_configENS1_21merge_config_selectorINS0_5tupleIJyyEEENS0_10empty_typeEEEZNS1_10merge_implIS3_NS0_12zip_iteratorINS5_IJN6thrust23THRUST_200600_302600_NS6detail15normal_iteratorINSC_10device_ptrIKyEEEESI_EEEEESK_NSA_INS5_IJNSC_16discard_iteratorINSC_11use_defaultEEESN_EEEEEPS7_SQ_SQ_NSC_11hip_rocprim7__merge17predicate_wrapperIyyNSC_4lessIyEEEEEE10hipError_tPvRmT0_T1_T2_T3_T4_T5_mmT6_P12ihipStream_tbEUlT_E0_NS1_11comp_targetILNS1_3genE8ELNS1_11target_archE1030ELNS1_3gpuE2ELNS1_3repE0EEENS1_30default_config_static_selectorELNS0_4arch9wavefront6targetE0EEEvS11_,comdat
	.protected	_ZN7rocprim17ROCPRIM_400000_NS6detail17trampoline_kernelINS0_14default_configENS1_21merge_config_selectorINS0_5tupleIJyyEEENS0_10empty_typeEEEZNS1_10merge_implIS3_NS0_12zip_iteratorINS5_IJN6thrust23THRUST_200600_302600_NS6detail15normal_iteratorINSC_10device_ptrIKyEEEESI_EEEEESK_NSA_INS5_IJNSC_16discard_iteratorINSC_11use_defaultEEESN_EEEEEPS7_SQ_SQ_NSC_11hip_rocprim7__merge17predicate_wrapperIyyNSC_4lessIyEEEEEE10hipError_tPvRmT0_T1_T2_T3_T4_T5_mmT6_P12ihipStream_tbEUlT_E0_NS1_11comp_targetILNS1_3genE8ELNS1_11target_archE1030ELNS1_3gpuE2ELNS1_3repE0EEENS1_30default_config_static_selectorELNS0_4arch9wavefront6targetE0EEEvS11_ ; -- Begin function _ZN7rocprim17ROCPRIM_400000_NS6detail17trampoline_kernelINS0_14default_configENS1_21merge_config_selectorINS0_5tupleIJyyEEENS0_10empty_typeEEEZNS1_10merge_implIS3_NS0_12zip_iteratorINS5_IJN6thrust23THRUST_200600_302600_NS6detail15normal_iteratorINSC_10device_ptrIKyEEEESI_EEEEESK_NSA_INS5_IJNSC_16discard_iteratorINSC_11use_defaultEEESN_EEEEEPS7_SQ_SQ_NSC_11hip_rocprim7__merge17predicate_wrapperIyyNSC_4lessIyEEEEEE10hipError_tPvRmT0_T1_T2_T3_T4_T5_mmT6_P12ihipStream_tbEUlT_E0_NS1_11comp_targetILNS1_3genE8ELNS1_11target_archE1030ELNS1_3gpuE2ELNS1_3repE0EEENS1_30default_config_static_selectorELNS0_4arch9wavefront6targetE0EEEvS11_
	.globl	_ZN7rocprim17ROCPRIM_400000_NS6detail17trampoline_kernelINS0_14default_configENS1_21merge_config_selectorINS0_5tupleIJyyEEENS0_10empty_typeEEEZNS1_10merge_implIS3_NS0_12zip_iteratorINS5_IJN6thrust23THRUST_200600_302600_NS6detail15normal_iteratorINSC_10device_ptrIKyEEEESI_EEEEESK_NSA_INS5_IJNSC_16discard_iteratorINSC_11use_defaultEEESN_EEEEEPS7_SQ_SQ_NSC_11hip_rocprim7__merge17predicate_wrapperIyyNSC_4lessIyEEEEEE10hipError_tPvRmT0_T1_T2_T3_T4_T5_mmT6_P12ihipStream_tbEUlT_E0_NS1_11comp_targetILNS1_3genE8ELNS1_11target_archE1030ELNS1_3gpuE2ELNS1_3repE0EEENS1_30default_config_static_selectorELNS0_4arch9wavefront6targetE0EEEvS11_
	.p2align	8
	.type	_ZN7rocprim17ROCPRIM_400000_NS6detail17trampoline_kernelINS0_14default_configENS1_21merge_config_selectorINS0_5tupleIJyyEEENS0_10empty_typeEEEZNS1_10merge_implIS3_NS0_12zip_iteratorINS5_IJN6thrust23THRUST_200600_302600_NS6detail15normal_iteratorINSC_10device_ptrIKyEEEESI_EEEEESK_NSA_INS5_IJNSC_16discard_iteratorINSC_11use_defaultEEESN_EEEEEPS7_SQ_SQ_NSC_11hip_rocprim7__merge17predicate_wrapperIyyNSC_4lessIyEEEEEE10hipError_tPvRmT0_T1_T2_T3_T4_T5_mmT6_P12ihipStream_tbEUlT_E0_NS1_11comp_targetILNS1_3genE8ELNS1_11target_archE1030ELNS1_3gpuE2ELNS1_3repE0EEENS1_30default_config_static_selectorELNS0_4arch9wavefront6targetE0EEEvS11_,@function
_ZN7rocprim17ROCPRIM_400000_NS6detail17trampoline_kernelINS0_14default_configENS1_21merge_config_selectorINS0_5tupleIJyyEEENS0_10empty_typeEEEZNS1_10merge_implIS3_NS0_12zip_iteratorINS5_IJN6thrust23THRUST_200600_302600_NS6detail15normal_iteratorINSC_10device_ptrIKyEEEESI_EEEEESK_NSA_INS5_IJNSC_16discard_iteratorINSC_11use_defaultEEESN_EEEEEPS7_SQ_SQ_NSC_11hip_rocprim7__merge17predicate_wrapperIyyNSC_4lessIyEEEEEE10hipError_tPvRmT0_T1_T2_T3_T4_T5_mmT6_P12ihipStream_tbEUlT_E0_NS1_11comp_targetILNS1_3genE8ELNS1_11target_archE1030ELNS1_3gpuE2ELNS1_3repE0EEENS1_30default_config_static_selectorELNS0_4arch9wavefront6targetE0EEEvS11_: ; @_ZN7rocprim17ROCPRIM_400000_NS6detail17trampoline_kernelINS0_14default_configENS1_21merge_config_selectorINS0_5tupleIJyyEEENS0_10empty_typeEEEZNS1_10merge_implIS3_NS0_12zip_iteratorINS5_IJN6thrust23THRUST_200600_302600_NS6detail15normal_iteratorINSC_10device_ptrIKyEEEESI_EEEEESK_NSA_INS5_IJNSC_16discard_iteratorINSC_11use_defaultEEESN_EEEEEPS7_SQ_SQ_NSC_11hip_rocprim7__merge17predicate_wrapperIyyNSC_4lessIyEEEEEE10hipError_tPvRmT0_T1_T2_T3_T4_T5_mmT6_P12ihipStream_tbEUlT_E0_NS1_11comp_targetILNS1_3genE8ELNS1_11target_archE1030ELNS1_3gpuE2ELNS1_3repE0EEENS1_30default_config_static_selectorELNS0_4arch9wavefront6targetE0EEEvS11_
; %bb.0:
	.section	.rodata,"a",@progbits
	.p2align	6, 0x0
	.amdhsa_kernel _ZN7rocprim17ROCPRIM_400000_NS6detail17trampoline_kernelINS0_14default_configENS1_21merge_config_selectorINS0_5tupleIJyyEEENS0_10empty_typeEEEZNS1_10merge_implIS3_NS0_12zip_iteratorINS5_IJN6thrust23THRUST_200600_302600_NS6detail15normal_iteratorINSC_10device_ptrIKyEEEESI_EEEEESK_NSA_INS5_IJNSC_16discard_iteratorINSC_11use_defaultEEESN_EEEEEPS7_SQ_SQ_NSC_11hip_rocprim7__merge17predicate_wrapperIyyNSC_4lessIyEEEEEE10hipError_tPvRmT0_T1_T2_T3_T4_T5_mmT6_P12ihipStream_tbEUlT_E0_NS1_11comp_targetILNS1_3genE8ELNS1_11target_archE1030ELNS1_3gpuE2ELNS1_3repE0EEENS1_30default_config_static_selectorELNS0_4arch9wavefront6targetE0EEEvS11_
		.amdhsa_group_segment_fixed_size 0
		.amdhsa_private_segment_fixed_size 0
		.amdhsa_kernarg_size 128
		.amdhsa_user_sgpr_count 2
		.amdhsa_user_sgpr_dispatch_ptr 0
		.amdhsa_user_sgpr_queue_ptr 0
		.amdhsa_user_sgpr_kernarg_segment_ptr 1
		.amdhsa_user_sgpr_dispatch_id 0
		.amdhsa_user_sgpr_kernarg_preload_length 0
		.amdhsa_user_sgpr_kernarg_preload_offset 0
		.amdhsa_user_sgpr_private_segment_size 0
		.amdhsa_wavefront_size32 1
		.amdhsa_uses_dynamic_stack 0
		.amdhsa_enable_private_segment 0
		.amdhsa_system_sgpr_workgroup_id_x 1
		.amdhsa_system_sgpr_workgroup_id_y 0
		.amdhsa_system_sgpr_workgroup_id_z 0
		.amdhsa_system_sgpr_workgroup_info 0
		.amdhsa_system_vgpr_workitem_id 0
		.amdhsa_next_free_vgpr 1
		.amdhsa_next_free_sgpr 1
		.amdhsa_named_barrier_count 0
		.amdhsa_reserve_vcc 0
		.amdhsa_float_round_mode_32 0
		.amdhsa_float_round_mode_16_64 0
		.amdhsa_float_denorm_mode_32 3
		.amdhsa_float_denorm_mode_16_64 3
		.amdhsa_fp16_overflow 0
		.amdhsa_memory_ordered 1
		.amdhsa_forward_progress 1
		.amdhsa_inst_pref_size 0
		.amdhsa_round_robin_scheduling 0
		.amdhsa_exception_fp_ieee_invalid_op 0
		.amdhsa_exception_fp_denorm_src 0
		.amdhsa_exception_fp_ieee_div_zero 0
		.amdhsa_exception_fp_ieee_overflow 0
		.amdhsa_exception_fp_ieee_underflow 0
		.amdhsa_exception_fp_ieee_inexact 0
		.amdhsa_exception_int_div_zero 0
	.end_amdhsa_kernel
	.section	.text._ZN7rocprim17ROCPRIM_400000_NS6detail17trampoline_kernelINS0_14default_configENS1_21merge_config_selectorINS0_5tupleIJyyEEENS0_10empty_typeEEEZNS1_10merge_implIS3_NS0_12zip_iteratorINS5_IJN6thrust23THRUST_200600_302600_NS6detail15normal_iteratorINSC_10device_ptrIKyEEEESI_EEEEESK_NSA_INS5_IJNSC_16discard_iteratorINSC_11use_defaultEEESN_EEEEEPS7_SQ_SQ_NSC_11hip_rocprim7__merge17predicate_wrapperIyyNSC_4lessIyEEEEEE10hipError_tPvRmT0_T1_T2_T3_T4_T5_mmT6_P12ihipStream_tbEUlT_E0_NS1_11comp_targetILNS1_3genE8ELNS1_11target_archE1030ELNS1_3gpuE2ELNS1_3repE0EEENS1_30default_config_static_selectorELNS0_4arch9wavefront6targetE0EEEvS11_,"axG",@progbits,_ZN7rocprim17ROCPRIM_400000_NS6detail17trampoline_kernelINS0_14default_configENS1_21merge_config_selectorINS0_5tupleIJyyEEENS0_10empty_typeEEEZNS1_10merge_implIS3_NS0_12zip_iteratorINS5_IJN6thrust23THRUST_200600_302600_NS6detail15normal_iteratorINSC_10device_ptrIKyEEEESI_EEEEESK_NSA_INS5_IJNSC_16discard_iteratorINSC_11use_defaultEEESN_EEEEEPS7_SQ_SQ_NSC_11hip_rocprim7__merge17predicate_wrapperIyyNSC_4lessIyEEEEEE10hipError_tPvRmT0_T1_T2_T3_T4_T5_mmT6_P12ihipStream_tbEUlT_E0_NS1_11comp_targetILNS1_3genE8ELNS1_11target_archE1030ELNS1_3gpuE2ELNS1_3repE0EEENS1_30default_config_static_selectorELNS0_4arch9wavefront6targetE0EEEvS11_,comdat
.Lfunc_end532:
	.size	_ZN7rocprim17ROCPRIM_400000_NS6detail17trampoline_kernelINS0_14default_configENS1_21merge_config_selectorINS0_5tupleIJyyEEENS0_10empty_typeEEEZNS1_10merge_implIS3_NS0_12zip_iteratorINS5_IJN6thrust23THRUST_200600_302600_NS6detail15normal_iteratorINSC_10device_ptrIKyEEEESI_EEEEESK_NSA_INS5_IJNSC_16discard_iteratorINSC_11use_defaultEEESN_EEEEEPS7_SQ_SQ_NSC_11hip_rocprim7__merge17predicate_wrapperIyyNSC_4lessIyEEEEEE10hipError_tPvRmT0_T1_T2_T3_T4_T5_mmT6_P12ihipStream_tbEUlT_E0_NS1_11comp_targetILNS1_3genE8ELNS1_11target_archE1030ELNS1_3gpuE2ELNS1_3repE0EEENS1_30default_config_static_selectorELNS0_4arch9wavefront6targetE0EEEvS11_, .Lfunc_end532-_ZN7rocprim17ROCPRIM_400000_NS6detail17trampoline_kernelINS0_14default_configENS1_21merge_config_selectorINS0_5tupleIJyyEEENS0_10empty_typeEEEZNS1_10merge_implIS3_NS0_12zip_iteratorINS5_IJN6thrust23THRUST_200600_302600_NS6detail15normal_iteratorINSC_10device_ptrIKyEEEESI_EEEEESK_NSA_INS5_IJNSC_16discard_iteratorINSC_11use_defaultEEESN_EEEEEPS7_SQ_SQ_NSC_11hip_rocprim7__merge17predicate_wrapperIyyNSC_4lessIyEEEEEE10hipError_tPvRmT0_T1_T2_T3_T4_T5_mmT6_P12ihipStream_tbEUlT_E0_NS1_11comp_targetILNS1_3genE8ELNS1_11target_archE1030ELNS1_3gpuE2ELNS1_3repE0EEENS1_30default_config_static_selectorELNS0_4arch9wavefront6targetE0EEEvS11_
                                        ; -- End function
	.set _ZN7rocprim17ROCPRIM_400000_NS6detail17trampoline_kernelINS0_14default_configENS1_21merge_config_selectorINS0_5tupleIJyyEEENS0_10empty_typeEEEZNS1_10merge_implIS3_NS0_12zip_iteratorINS5_IJN6thrust23THRUST_200600_302600_NS6detail15normal_iteratorINSC_10device_ptrIKyEEEESI_EEEEESK_NSA_INS5_IJNSC_16discard_iteratorINSC_11use_defaultEEESN_EEEEEPS7_SQ_SQ_NSC_11hip_rocprim7__merge17predicate_wrapperIyyNSC_4lessIyEEEEEE10hipError_tPvRmT0_T1_T2_T3_T4_T5_mmT6_P12ihipStream_tbEUlT_E0_NS1_11comp_targetILNS1_3genE8ELNS1_11target_archE1030ELNS1_3gpuE2ELNS1_3repE0EEENS1_30default_config_static_selectorELNS0_4arch9wavefront6targetE0EEEvS11_.num_vgpr, 0
	.set _ZN7rocprim17ROCPRIM_400000_NS6detail17trampoline_kernelINS0_14default_configENS1_21merge_config_selectorINS0_5tupleIJyyEEENS0_10empty_typeEEEZNS1_10merge_implIS3_NS0_12zip_iteratorINS5_IJN6thrust23THRUST_200600_302600_NS6detail15normal_iteratorINSC_10device_ptrIKyEEEESI_EEEEESK_NSA_INS5_IJNSC_16discard_iteratorINSC_11use_defaultEEESN_EEEEEPS7_SQ_SQ_NSC_11hip_rocprim7__merge17predicate_wrapperIyyNSC_4lessIyEEEEEE10hipError_tPvRmT0_T1_T2_T3_T4_T5_mmT6_P12ihipStream_tbEUlT_E0_NS1_11comp_targetILNS1_3genE8ELNS1_11target_archE1030ELNS1_3gpuE2ELNS1_3repE0EEENS1_30default_config_static_selectorELNS0_4arch9wavefront6targetE0EEEvS11_.num_agpr, 0
	.set _ZN7rocprim17ROCPRIM_400000_NS6detail17trampoline_kernelINS0_14default_configENS1_21merge_config_selectorINS0_5tupleIJyyEEENS0_10empty_typeEEEZNS1_10merge_implIS3_NS0_12zip_iteratorINS5_IJN6thrust23THRUST_200600_302600_NS6detail15normal_iteratorINSC_10device_ptrIKyEEEESI_EEEEESK_NSA_INS5_IJNSC_16discard_iteratorINSC_11use_defaultEEESN_EEEEEPS7_SQ_SQ_NSC_11hip_rocprim7__merge17predicate_wrapperIyyNSC_4lessIyEEEEEE10hipError_tPvRmT0_T1_T2_T3_T4_T5_mmT6_P12ihipStream_tbEUlT_E0_NS1_11comp_targetILNS1_3genE8ELNS1_11target_archE1030ELNS1_3gpuE2ELNS1_3repE0EEENS1_30default_config_static_selectorELNS0_4arch9wavefront6targetE0EEEvS11_.numbered_sgpr, 0
	.set _ZN7rocprim17ROCPRIM_400000_NS6detail17trampoline_kernelINS0_14default_configENS1_21merge_config_selectorINS0_5tupleIJyyEEENS0_10empty_typeEEEZNS1_10merge_implIS3_NS0_12zip_iteratorINS5_IJN6thrust23THRUST_200600_302600_NS6detail15normal_iteratorINSC_10device_ptrIKyEEEESI_EEEEESK_NSA_INS5_IJNSC_16discard_iteratorINSC_11use_defaultEEESN_EEEEEPS7_SQ_SQ_NSC_11hip_rocprim7__merge17predicate_wrapperIyyNSC_4lessIyEEEEEE10hipError_tPvRmT0_T1_T2_T3_T4_T5_mmT6_P12ihipStream_tbEUlT_E0_NS1_11comp_targetILNS1_3genE8ELNS1_11target_archE1030ELNS1_3gpuE2ELNS1_3repE0EEENS1_30default_config_static_selectorELNS0_4arch9wavefront6targetE0EEEvS11_.num_named_barrier, 0
	.set _ZN7rocprim17ROCPRIM_400000_NS6detail17trampoline_kernelINS0_14default_configENS1_21merge_config_selectorINS0_5tupleIJyyEEENS0_10empty_typeEEEZNS1_10merge_implIS3_NS0_12zip_iteratorINS5_IJN6thrust23THRUST_200600_302600_NS6detail15normal_iteratorINSC_10device_ptrIKyEEEESI_EEEEESK_NSA_INS5_IJNSC_16discard_iteratorINSC_11use_defaultEEESN_EEEEEPS7_SQ_SQ_NSC_11hip_rocprim7__merge17predicate_wrapperIyyNSC_4lessIyEEEEEE10hipError_tPvRmT0_T1_T2_T3_T4_T5_mmT6_P12ihipStream_tbEUlT_E0_NS1_11comp_targetILNS1_3genE8ELNS1_11target_archE1030ELNS1_3gpuE2ELNS1_3repE0EEENS1_30default_config_static_selectorELNS0_4arch9wavefront6targetE0EEEvS11_.private_seg_size, 0
	.set _ZN7rocprim17ROCPRIM_400000_NS6detail17trampoline_kernelINS0_14default_configENS1_21merge_config_selectorINS0_5tupleIJyyEEENS0_10empty_typeEEEZNS1_10merge_implIS3_NS0_12zip_iteratorINS5_IJN6thrust23THRUST_200600_302600_NS6detail15normal_iteratorINSC_10device_ptrIKyEEEESI_EEEEESK_NSA_INS5_IJNSC_16discard_iteratorINSC_11use_defaultEEESN_EEEEEPS7_SQ_SQ_NSC_11hip_rocprim7__merge17predicate_wrapperIyyNSC_4lessIyEEEEEE10hipError_tPvRmT0_T1_T2_T3_T4_T5_mmT6_P12ihipStream_tbEUlT_E0_NS1_11comp_targetILNS1_3genE8ELNS1_11target_archE1030ELNS1_3gpuE2ELNS1_3repE0EEENS1_30default_config_static_selectorELNS0_4arch9wavefront6targetE0EEEvS11_.uses_vcc, 0
	.set _ZN7rocprim17ROCPRIM_400000_NS6detail17trampoline_kernelINS0_14default_configENS1_21merge_config_selectorINS0_5tupleIJyyEEENS0_10empty_typeEEEZNS1_10merge_implIS3_NS0_12zip_iteratorINS5_IJN6thrust23THRUST_200600_302600_NS6detail15normal_iteratorINSC_10device_ptrIKyEEEESI_EEEEESK_NSA_INS5_IJNSC_16discard_iteratorINSC_11use_defaultEEESN_EEEEEPS7_SQ_SQ_NSC_11hip_rocprim7__merge17predicate_wrapperIyyNSC_4lessIyEEEEEE10hipError_tPvRmT0_T1_T2_T3_T4_T5_mmT6_P12ihipStream_tbEUlT_E0_NS1_11comp_targetILNS1_3genE8ELNS1_11target_archE1030ELNS1_3gpuE2ELNS1_3repE0EEENS1_30default_config_static_selectorELNS0_4arch9wavefront6targetE0EEEvS11_.uses_flat_scratch, 0
	.set _ZN7rocprim17ROCPRIM_400000_NS6detail17trampoline_kernelINS0_14default_configENS1_21merge_config_selectorINS0_5tupleIJyyEEENS0_10empty_typeEEEZNS1_10merge_implIS3_NS0_12zip_iteratorINS5_IJN6thrust23THRUST_200600_302600_NS6detail15normal_iteratorINSC_10device_ptrIKyEEEESI_EEEEESK_NSA_INS5_IJNSC_16discard_iteratorINSC_11use_defaultEEESN_EEEEEPS7_SQ_SQ_NSC_11hip_rocprim7__merge17predicate_wrapperIyyNSC_4lessIyEEEEEE10hipError_tPvRmT0_T1_T2_T3_T4_T5_mmT6_P12ihipStream_tbEUlT_E0_NS1_11comp_targetILNS1_3genE8ELNS1_11target_archE1030ELNS1_3gpuE2ELNS1_3repE0EEENS1_30default_config_static_selectorELNS0_4arch9wavefront6targetE0EEEvS11_.has_dyn_sized_stack, 0
	.set _ZN7rocprim17ROCPRIM_400000_NS6detail17trampoline_kernelINS0_14default_configENS1_21merge_config_selectorINS0_5tupleIJyyEEENS0_10empty_typeEEEZNS1_10merge_implIS3_NS0_12zip_iteratorINS5_IJN6thrust23THRUST_200600_302600_NS6detail15normal_iteratorINSC_10device_ptrIKyEEEESI_EEEEESK_NSA_INS5_IJNSC_16discard_iteratorINSC_11use_defaultEEESN_EEEEEPS7_SQ_SQ_NSC_11hip_rocprim7__merge17predicate_wrapperIyyNSC_4lessIyEEEEEE10hipError_tPvRmT0_T1_T2_T3_T4_T5_mmT6_P12ihipStream_tbEUlT_E0_NS1_11comp_targetILNS1_3genE8ELNS1_11target_archE1030ELNS1_3gpuE2ELNS1_3repE0EEENS1_30default_config_static_selectorELNS0_4arch9wavefront6targetE0EEEvS11_.has_recursion, 0
	.set _ZN7rocprim17ROCPRIM_400000_NS6detail17trampoline_kernelINS0_14default_configENS1_21merge_config_selectorINS0_5tupleIJyyEEENS0_10empty_typeEEEZNS1_10merge_implIS3_NS0_12zip_iteratorINS5_IJN6thrust23THRUST_200600_302600_NS6detail15normal_iteratorINSC_10device_ptrIKyEEEESI_EEEEESK_NSA_INS5_IJNSC_16discard_iteratorINSC_11use_defaultEEESN_EEEEEPS7_SQ_SQ_NSC_11hip_rocprim7__merge17predicate_wrapperIyyNSC_4lessIyEEEEEE10hipError_tPvRmT0_T1_T2_T3_T4_T5_mmT6_P12ihipStream_tbEUlT_E0_NS1_11comp_targetILNS1_3genE8ELNS1_11target_archE1030ELNS1_3gpuE2ELNS1_3repE0EEENS1_30default_config_static_selectorELNS0_4arch9wavefront6targetE0EEEvS11_.has_indirect_call, 0
	.section	.AMDGPU.csdata,"",@progbits
; Kernel info:
; codeLenInByte = 0
; TotalNumSgprs: 0
; NumVgprs: 0
; ScratchSize: 0
; MemoryBound: 0
; FloatMode: 240
; IeeeMode: 1
; LDSByteSize: 0 bytes/workgroup (compile time only)
; SGPRBlocks: 0
; VGPRBlocks: 0
; NumSGPRsForWavesPerEU: 1
; NumVGPRsForWavesPerEU: 1
; NamedBarCnt: 0
; Occupancy: 16
; WaveLimiterHint : 0
; COMPUTE_PGM_RSRC2:SCRATCH_EN: 0
; COMPUTE_PGM_RSRC2:USER_SGPR: 2
; COMPUTE_PGM_RSRC2:TRAP_HANDLER: 0
; COMPUTE_PGM_RSRC2:TGID_X_EN: 1
; COMPUTE_PGM_RSRC2:TGID_Y_EN: 0
; COMPUTE_PGM_RSRC2:TGID_Z_EN: 0
; COMPUTE_PGM_RSRC2:TIDIG_COMP_CNT: 0
	.section	.text._ZN7rocprim17ROCPRIM_400000_NS6detail17trampoline_kernelINS0_14default_configENS1_21merge_config_selectorINS0_5tupleIJjjEEENS0_10empty_typeEEEZNS1_10merge_implIS3_NS0_12zip_iteratorINS5_IJN6thrust23THRUST_200600_302600_NS6detail15normal_iteratorINSC_10device_ptrIKjEEEESI_EEEEESK_NSA_INS5_IJNSC_16discard_iteratorINSC_11use_defaultEEESN_EEEEEPS7_SQ_SQ_NSC_11hip_rocprim7__merge17predicate_wrapperIjjNSC_4lessIjEEEEEE10hipError_tPvRmT0_T1_T2_T3_T4_T5_mmT6_P12ihipStream_tbEUlT_E_NS1_11comp_targetILNS1_3genE0ELNS1_11target_archE4294967295ELNS1_3gpuE0ELNS1_3repE0EEENS1_30default_config_static_selectorELNS0_4arch9wavefront6targetE0EEEvS11_,"axG",@progbits,_ZN7rocprim17ROCPRIM_400000_NS6detail17trampoline_kernelINS0_14default_configENS1_21merge_config_selectorINS0_5tupleIJjjEEENS0_10empty_typeEEEZNS1_10merge_implIS3_NS0_12zip_iteratorINS5_IJN6thrust23THRUST_200600_302600_NS6detail15normal_iteratorINSC_10device_ptrIKjEEEESI_EEEEESK_NSA_INS5_IJNSC_16discard_iteratorINSC_11use_defaultEEESN_EEEEEPS7_SQ_SQ_NSC_11hip_rocprim7__merge17predicate_wrapperIjjNSC_4lessIjEEEEEE10hipError_tPvRmT0_T1_T2_T3_T4_T5_mmT6_P12ihipStream_tbEUlT_E_NS1_11comp_targetILNS1_3genE0ELNS1_11target_archE4294967295ELNS1_3gpuE0ELNS1_3repE0EEENS1_30default_config_static_selectorELNS0_4arch9wavefront6targetE0EEEvS11_,comdat
	.protected	_ZN7rocprim17ROCPRIM_400000_NS6detail17trampoline_kernelINS0_14default_configENS1_21merge_config_selectorINS0_5tupleIJjjEEENS0_10empty_typeEEEZNS1_10merge_implIS3_NS0_12zip_iteratorINS5_IJN6thrust23THRUST_200600_302600_NS6detail15normal_iteratorINSC_10device_ptrIKjEEEESI_EEEEESK_NSA_INS5_IJNSC_16discard_iteratorINSC_11use_defaultEEESN_EEEEEPS7_SQ_SQ_NSC_11hip_rocprim7__merge17predicate_wrapperIjjNSC_4lessIjEEEEEE10hipError_tPvRmT0_T1_T2_T3_T4_T5_mmT6_P12ihipStream_tbEUlT_E_NS1_11comp_targetILNS1_3genE0ELNS1_11target_archE4294967295ELNS1_3gpuE0ELNS1_3repE0EEENS1_30default_config_static_selectorELNS0_4arch9wavefront6targetE0EEEvS11_ ; -- Begin function _ZN7rocprim17ROCPRIM_400000_NS6detail17trampoline_kernelINS0_14default_configENS1_21merge_config_selectorINS0_5tupleIJjjEEENS0_10empty_typeEEEZNS1_10merge_implIS3_NS0_12zip_iteratorINS5_IJN6thrust23THRUST_200600_302600_NS6detail15normal_iteratorINSC_10device_ptrIKjEEEESI_EEEEESK_NSA_INS5_IJNSC_16discard_iteratorINSC_11use_defaultEEESN_EEEEEPS7_SQ_SQ_NSC_11hip_rocprim7__merge17predicate_wrapperIjjNSC_4lessIjEEEEEE10hipError_tPvRmT0_T1_T2_T3_T4_T5_mmT6_P12ihipStream_tbEUlT_E_NS1_11comp_targetILNS1_3genE0ELNS1_11target_archE4294967295ELNS1_3gpuE0ELNS1_3repE0EEENS1_30default_config_static_selectorELNS0_4arch9wavefront6targetE0EEEvS11_
	.globl	_ZN7rocprim17ROCPRIM_400000_NS6detail17trampoline_kernelINS0_14default_configENS1_21merge_config_selectorINS0_5tupleIJjjEEENS0_10empty_typeEEEZNS1_10merge_implIS3_NS0_12zip_iteratorINS5_IJN6thrust23THRUST_200600_302600_NS6detail15normal_iteratorINSC_10device_ptrIKjEEEESI_EEEEESK_NSA_INS5_IJNSC_16discard_iteratorINSC_11use_defaultEEESN_EEEEEPS7_SQ_SQ_NSC_11hip_rocprim7__merge17predicate_wrapperIjjNSC_4lessIjEEEEEE10hipError_tPvRmT0_T1_T2_T3_T4_T5_mmT6_P12ihipStream_tbEUlT_E_NS1_11comp_targetILNS1_3genE0ELNS1_11target_archE4294967295ELNS1_3gpuE0ELNS1_3repE0EEENS1_30default_config_static_selectorELNS0_4arch9wavefront6targetE0EEEvS11_
	.p2align	8
	.type	_ZN7rocprim17ROCPRIM_400000_NS6detail17trampoline_kernelINS0_14default_configENS1_21merge_config_selectorINS0_5tupleIJjjEEENS0_10empty_typeEEEZNS1_10merge_implIS3_NS0_12zip_iteratorINS5_IJN6thrust23THRUST_200600_302600_NS6detail15normal_iteratorINSC_10device_ptrIKjEEEESI_EEEEESK_NSA_INS5_IJNSC_16discard_iteratorINSC_11use_defaultEEESN_EEEEEPS7_SQ_SQ_NSC_11hip_rocprim7__merge17predicate_wrapperIjjNSC_4lessIjEEEEEE10hipError_tPvRmT0_T1_T2_T3_T4_T5_mmT6_P12ihipStream_tbEUlT_E_NS1_11comp_targetILNS1_3genE0ELNS1_11target_archE4294967295ELNS1_3gpuE0ELNS1_3repE0EEENS1_30default_config_static_selectorELNS0_4arch9wavefront6targetE0EEEvS11_,@function
_ZN7rocprim17ROCPRIM_400000_NS6detail17trampoline_kernelINS0_14default_configENS1_21merge_config_selectorINS0_5tupleIJjjEEENS0_10empty_typeEEEZNS1_10merge_implIS3_NS0_12zip_iteratorINS5_IJN6thrust23THRUST_200600_302600_NS6detail15normal_iteratorINSC_10device_ptrIKjEEEESI_EEEEESK_NSA_INS5_IJNSC_16discard_iteratorINSC_11use_defaultEEESN_EEEEEPS7_SQ_SQ_NSC_11hip_rocprim7__merge17predicate_wrapperIjjNSC_4lessIjEEEEEE10hipError_tPvRmT0_T1_T2_T3_T4_T5_mmT6_P12ihipStream_tbEUlT_E_NS1_11comp_targetILNS1_3genE0ELNS1_11target_archE4294967295ELNS1_3gpuE0ELNS1_3repE0EEENS1_30default_config_static_selectorELNS0_4arch9wavefront6targetE0EEEvS11_: ; @_ZN7rocprim17ROCPRIM_400000_NS6detail17trampoline_kernelINS0_14default_configENS1_21merge_config_selectorINS0_5tupleIJjjEEENS0_10empty_typeEEEZNS1_10merge_implIS3_NS0_12zip_iteratorINS5_IJN6thrust23THRUST_200600_302600_NS6detail15normal_iteratorINSC_10device_ptrIKjEEEESI_EEEEESK_NSA_INS5_IJNSC_16discard_iteratorINSC_11use_defaultEEESN_EEEEEPS7_SQ_SQ_NSC_11hip_rocprim7__merge17predicate_wrapperIjjNSC_4lessIjEEEEEE10hipError_tPvRmT0_T1_T2_T3_T4_T5_mmT6_P12ihipStream_tbEUlT_E_NS1_11comp_targetILNS1_3genE0ELNS1_11target_archE4294967295ELNS1_3gpuE0ELNS1_3repE0EEENS1_30default_config_static_selectorELNS0_4arch9wavefront6targetE0EEEvS11_
; %bb.0:
	s_clause 0x2
	s_load_b32 s4, s[0:1], 0x38
	s_load_b32 s2, s[0:1], 0x4c
	s_load_b128 s[8:11], s[0:1], 0x28
	s_getreg_b32 s7, hwreg(HW_REG_IB_STS2, 6, 4)
	s_wait_kmcnt 0x0
	s_cvt_f32_u32 s3, s4
	s_and_b32 s6, s2, 0xffff
	s_and_b32 s2, ttmp6, 15
	s_delay_alu instid0(SALU_CYCLE_1) | instskip(SKIP_1) | instid1(SALU_CYCLE_1)
	v_rcp_iflag_f32_e32 v1, s3
	s_bfe_u32 s3, ttmp6, 0x4000c
	s_add_co_i32 s3, s3, 1
	s_delay_alu instid0(SALU_CYCLE_1) | instskip(NEXT) | instid1(SALU_CYCLE_1)
	s_mul_i32 s3, ttmp9, s3
	s_add_co_i32 s2, s2, s3
	v_nop
	s_delay_alu instid0(TRANS32_DEP_1)
	v_readfirstlane_b32 s5, v1
	s_cmp_eq_u32 s7, 0
	s_cselect_b32 s7, ttmp9, s2
	s_sub_co_i32 s12, 0, s4
	s_mul_f32 s5, s5, 0x4f7ffffe
	s_add_nc_u64 s[2:3], s[10:11], s[8:9]
	v_mad_u32 v6, s7, s6, v0
	s_add_co_i32 s13, s4, s2
	s_cvt_u32_f32 s5, s5
	s_add_co_i32 s13, s13, -1
	s_delay_alu instid0(SALU_CYCLE_2) | instskip(NEXT) | instid1(SALU_CYCLE_1)
	s_mul_i32 s12, s12, s5
	s_mul_hi_u32 s12, s5, s12
	s_delay_alu instid0(SALU_CYCLE_1) | instskip(NEXT) | instid1(SALU_CYCLE_1)
	s_add_co_i32 s5, s5, s12
	s_mul_hi_u32 s5, s13, s5
	s_delay_alu instid0(SALU_CYCLE_1) | instskip(SKIP_2) | instid1(SALU_CYCLE_1)
	s_mul_i32 s12, s5, s4
	s_add_co_i32 s7, s5, 1
	s_sub_co_i32 s6, s13, s12
	s_sub_co_i32 s12, s6, s4
	s_cmp_ge_u32 s6, s4
	s_cselect_b32 s5, s7, s5
	s_cselect_b32 s6, s12, s6
	s_add_co_i32 s7, s5, 1
	s_cmp_ge_u32 s6, s4
	s_cselect_b32 s5, s7, s5
	s_delay_alu instid0(SALU_CYCLE_1)
	v_cmp_ge_u32_e32 vcc_lo, s5, v6
	s_and_saveexec_b32 s5, vcc_lo
	s_cbranch_execz .LBB533_6
; %bb.1:
	v_mul_lo_u32 v0, v6, s4
	v_mov_b32_e32 v1, 0
	s_load_b128 s[4:7], s[0:1], 0x0
	s_delay_alu instid0(VALU_DEP_1) | instskip(SKIP_1) | instid1(VALU_DEP_1)
	v_min_u64 v[4:5], v[0:1], s[2:3]
	s_mov_b32 s2, exec_lo
	v_max_u64 v[0:1], v[4:5], s[10:11]
	v_min_u64 v[2:3], v[4:5], s[8:9]
	s_delay_alu instid0(VALU_DEP_2) | instskip(NEXT) | instid1(VALU_DEP_1)
	v_sub_nc_u64_e64 v[0:1], v[0:1], s[10:11]
	v_cmpx_lt_u64_e64 v[0:1], v[2:3]
	s_cbranch_execz .LBB533_5
; %bb.2:
	s_wait_xcnt 0x0
	s_load_b64 s[0:1], s[0:1], 0x18
	s_wait_kmcnt 0x0
	v_lshl_add_u64 v[4:5], v[4:5], 2, s[0:1]
	s_mov_b32 s0, 0
.LBB533_3:                              ; =>This Inner Loop Header: Depth=1
	v_add_nc_u64_e32 v[8:9], v[2:3], v[0:1]
	s_delay_alu instid0(VALU_DEP_1) | instskip(NEXT) | instid1(VALU_DEP_1)
	v_lshrrev_b64 v[8:9], 1, v[8:9]
	v_lshlrev_b64_e32 v[10:11], 2, v[8:9]
	s_delay_alu instid0(VALU_DEP_1) | instskip(NEXT) | instid1(VALU_DEP_2)
	v_xor_b32_e32 v13, -1, v11
	v_xor_b32_e32 v12, -4, v10
	v_add_nc_u64_e32 v[10:11], s[6:7], v[10:11]
	s_delay_alu instid0(VALU_DEP_2)
	v_add_nc_u64_e32 v[12:13], v[4:5], v[12:13]
	global_load_b32 v7, v[10:11], off
	global_load_b32 v14, v[12:13], off
	s_wait_xcnt 0x1
	v_add_nc_u64_e32 v[10:11], 1, v[8:9]
	s_wait_loadcnt 0x0
	v_cmp_lt_u32_e32 vcc_lo, v14, v7
	v_dual_cndmask_b32 v3, v3, v9 :: v_dual_cndmask_b32 v2, v2, v8
	s_delay_alu instid0(VALU_DEP_3) | instskip(NEXT) | instid1(VALU_DEP_1)
	v_dual_cndmask_b32 v1, v11, v1 :: v_dual_cndmask_b32 v0, v10, v0
	v_cmp_ge_u64_e32 vcc_lo, v[0:1], v[2:3]
	s_or_b32 s0, vcc_lo, s0
	s_delay_alu instid0(SALU_CYCLE_1)
	s_and_not1_b32 exec_lo, exec_lo, s0
	s_cbranch_execnz .LBB533_3
; %bb.4:
	s_or_b32 exec_lo, exec_lo, s0
.LBB533_5:
	s_delay_alu instid0(SALU_CYCLE_1)
	s_or_b32 exec_lo, exec_lo, s2
	s_wait_kmcnt 0x0
	global_store_b32 v6, v0, s[4:5] scale_offset
.LBB533_6:
	s_endpgm
	.section	.rodata,"a",@progbits
	.p2align	6, 0x0
	.amdhsa_kernel _ZN7rocprim17ROCPRIM_400000_NS6detail17trampoline_kernelINS0_14default_configENS1_21merge_config_selectorINS0_5tupleIJjjEEENS0_10empty_typeEEEZNS1_10merge_implIS3_NS0_12zip_iteratorINS5_IJN6thrust23THRUST_200600_302600_NS6detail15normal_iteratorINSC_10device_ptrIKjEEEESI_EEEEESK_NSA_INS5_IJNSC_16discard_iteratorINSC_11use_defaultEEESN_EEEEEPS7_SQ_SQ_NSC_11hip_rocprim7__merge17predicate_wrapperIjjNSC_4lessIjEEEEEE10hipError_tPvRmT0_T1_T2_T3_T4_T5_mmT6_P12ihipStream_tbEUlT_E_NS1_11comp_targetILNS1_3genE0ELNS1_11target_archE4294967295ELNS1_3gpuE0ELNS1_3repE0EEENS1_30default_config_static_selectorELNS0_4arch9wavefront6targetE0EEEvS11_
		.amdhsa_group_segment_fixed_size 0
		.amdhsa_private_segment_fixed_size 0
		.amdhsa_kernarg_size 320
		.amdhsa_user_sgpr_count 2
		.amdhsa_user_sgpr_dispatch_ptr 0
		.amdhsa_user_sgpr_queue_ptr 0
		.amdhsa_user_sgpr_kernarg_segment_ptr 1
		.amdhsa_user_sgpr_dispatch_id 0
		.amdhsa_user_sgpr_kernarg_preload_length 0
		.amdhsa_user_sgpr_kernarg_preload_offset 0
		.amdhsa_user_sgpr_private_segment_size 0
		.amdhsa_wavefront_size32 1
		.amdhsa_uses_dynamic_stack 0
		.amdhsa_enable_private_segment 0
		.amdhsa_system_sgpr_workgroup_id_x 1
		.amdhsa_system_sgpr_workgroup_id_y 0
		.amdhsa_system_sgpr_workgroup_id_z 0
		.amdhsa_system_sgpr_workgroup_info 0
		.amdhsa_system_vgpr_workitem_id 0
		.amdhsa_next_free_vgpr 15
		.amdhsa_next_free_sgpr 14
		.amdhsa_named_barrier_count 0
		.amdhsa_reserve_vcc 1
		.amdhsa_float_round_mode_32 0
		.amdhsa_float_round_mode_16_64 0
		.amdhsa_float_denorm_mode_32 3
		.amdhsa_float_denorm_mode_16_64 3
		.amdhsa_fp16_overflow 0
		.amdhsa_memory_ordered 1
		.amdhsa_forward_progress 1
		.amdhsa_inst_pref_size 4
		.amdhsa_round_robin_scheduling 0
		.amdhsa_exception_fp_ieee_invalid_op 0
		.amdhsa_exception_fp_denorm_src 0
		.amdhsa_exception_fp_ieee_div_zero 0
		.amdhsa_exception_fp_ieee_overflow 0
		.amdhsa_exception_fp_ieee_underflow 0
		.amdhsa_exception_fp_ieee_inexact 0
		.amdhsa_exception_int_div_zero 0
	.end_amdhsa_kernel
	.section	.text._ZN7rocprim17ROCPRIM_400000_NS6detail17trampoline_kernelINS0_14default_configENS1_21merge_config_selectorINS0_5tupleIJjjEEENS0_10empty_typeEEEZNS1_10merge_implIS3_NS0_12zip_iteratorINS5_IJN6thrust23THRUST_200600_302600_NS6detail15normal_iteratorINSC_10device_ptrIKjEEEESI_EEEEESK_NSA_INS5_IJNSC_16discard_iteratorINSC_11use_defaultEEESN_EEEEEPS7_SQ_SQ_NSC_11hip_rocprim7__merge17predicate_wrapperIjjNSC_4lessIjEEEEEE10hipError_tPvRmT0_T1_T2_T3_T4_T5_mmT6_P12ihipStream_tbEUlT_E_NS1_11comp_targetILNS1_3genE0ELNS1_11target_archE4294967295ELNS1_3gpuE0ELNS1_3repE0EEENS1_30default_config_static_selectorELNS0_4arch9wavefront6targetE0EEEvS11_,"axG",@progbits,_ZN7rocprim17ROCPRIM_400000_NS6detail17trampoline_kernelINS0_14default_configENS1_21merge_config_selectorINS0_5tupleIJjjEEENS0_10empty_typeEEEZNS1_10merge_implIS3_NS0_12zip_iteratorINS5_IJN6thrust23THRUST_200600_302600_NS6detail15normal_iteratorINSC_10device_ptrIKjEEEESI_EEEEESK_NSA_INS5_IJNSC_16discard_iteratorINSC_11use_defaultEEESN_EEEEEPS7_SQ_SQ_NSC_11hip_rocprim7__merge17predicate_wrapperIjjNSC_4lessIjEEEEEE10hipError_tPvRmT0_T1_T2_T3_T4_T5_mmT6_P12ihipStream_tbEUlT_E_NS1_11comp_targetILNS1_3genE0ELNS1_11target_archE4294967295ELNS1_3gpuE0ELNS1_3repE0EEENS1_30default_config_static_selectorELNS0_4arch9wavefront6targetE0EEEvS11_,comdat
.Lfunc_end533:
	.size	_ZN7rocprim17ROCPRIM_400000_NS6detail17trampoline_kernelINS0_14default_configENS1_21merge_config_selectorINS0_5tupleIJjjEEENS0_10empty_typeEEEZNS1_10merge_implIS3_NS0_12zip_iteratorINS5_IJN6thrust23THRUST_200600_302600_NS6detail15normal_iteratorINSC_10device_ptrIKjEEEESI_EEEEESK_NSA_INS5_IJNSC_16discard_iteratorINSC_11use_defaultEEESN_EEEEEPS7_SQ_SQ_NSC_11hip_rocprim7__merge17predicate_wrapperIjjNSC_4lessIjEEEEEE10hipError_tPvRmT0_T1_T2_T3_T4_T5_mmT6_P12ihipStream_tbEUlT_E_NS1_11comp_targetILNS1_3genE0ELNS1_11target_archE4294967295ELNS1_3gpuE0ELNS1_3repE0EEENS1_30default_config_static_selectorELNS0_4arch9wavefront6targetE0EEEvS11_, .Lfunc_end533-_ZN7rocprim17ROCPRIM_400000_NS6detail17trampoline_kernelINS0_14default_configENS1_21merge_config_selectorINS0_5tupleIJjjEEENS0_10empty_typeEEEZNS1_10merge_implIS3_NS0_12zip_iteratorINS5_IJN6thrust23THRUST_200600_302600_NS6detail15normal_iteratorINSC_10device_ptrIKjEEEESI_EEEEESK_NSA_INS5_IJNSC_16discard_iteratorINSC_11use_defaultEEESN_EEEEEPS7_SQ_SQ_NSC_11hip_rocprim7__merge17predicate_wrapperIjjNSC_4lessIjEEEEEE10hipError_tPvRmT0_T1_T2_T3_T4_T5_mmT6_P12ihipStream_tbEUlT_E_NS1_11comp_targetILNS1_3genE0ELNS1_11target_archE4294967295ELNS1_3gpuE0ELNS1_3repE0EEENS1_30default_config_static_selectorELNS0_4arch9wavefront6targetE0EEEvS11_
                                        ; -- End function
	.set _ZN7rocprim17ROCPRIM_400000_NS6detail17trampoline_kernelINS0_14default_configENS1_21merge_config_selectorINS0_5tupleIJjjEEENS0_10empty_typeEEEZNS1_10merge_implIS3_NS0_12zip_iteratorINS5_IJN6thrust23THRUST_200600_302600_NS6detail15normal_iteratorINSC_10device_ptrIKjEEEESI_EEEEESK_NSA_INS5_IJNSC_16discard_iteratorINSC_11use_defaultEEESN_EEEEEPS7_SQ_SQ_NSC_11hip_rocprim7__merge17predicate_wrapperIjjNSC_4lessIjEEEEEE10hipError_tPvRmT0_T1_T2_T3_T4_T5_mmT6_P12ihipStream_tbEUlT_E_NS1_11comp_targetILNS1_3genE0ELNS1_11target_archE4294967295ELNS1_3gpuE0ELNS1_3repE0EEENS1_30default_config_static_selectorELNS0_4arch9wavefront6targetE0EEEvS11_.num_vgpr, 15
	.set _ZN7rocprim17ROCPRIM_400000_NS6detail17trampoline_kernelINS0_14default_configENS1_21merge_config_selectorINS0_5tupleIJjjEEENS0_10empty_typeEEEZNS1_10merge_implIS3_NS0_12zip_iteratorINS5_IJN6thrust23THRUST_200600_302600_NS6detail15normal_iteratorINSC_10device_ptrIKjEEEESI_EEEEESK_NSA_INS5_IJNSC_16discard_iteratorINSC_11use_defaultEEESN_EEEEEPS7_SQ_SQ_NSC_11hip_rocprim7__merge17predicate_wrapperIjjNSC_4lessIjEEEEEE10hipError_tPvRmT0_T1_T2_T3_T4_T5_mmT6_P12ihipStream_tbEUlT_E_NS1_11comp_targetILNS1_3genE0ELNS1_11target_archE4294967295ELNS1_3gpuE0ELNS1_3repE0EEENS1_30default_config_static_selectorELNS0_4arch9wavefront6targetE0EEEvS11_.num_agpr, 0
	.set _ZN7rocprim17ROCPRIM_400000_NS6detail17trampoline_kernelINS0_14default_configENS1_21merge_config_selectorINS0_5tupleIJjjEEENS0_10empty_typeEEEZNS1_10merge_implIS3_NS0_12zip_iteratorINS5_IJN6thrust23THRUST_200600_302600_NS6detail15normal_iteratorINSC_10device_ptrIKjEEEESI_EEEEESK_NSA_INS5_IJNSC_16discard_iteratorINSC_11use_defaultEEESN_EEEEEPS7_SQ_SQ_NSC_11hip_rocprim7__merge17predicate_wrapperIjjNSC_4lessIjEEEEEE10hipError_tPvRmT0_T1_T2_T3_T4_T5_mmT6_P12ihipStream_tbEUlT_E_NS1_11comp_targetILNS1_3genE0ELNS1_11target_archE4294967295ELNS1_3gpuE0ELNS1_3repE0EEENS1_30default_config_static_selectorELNS0_4arch9wavefront6targetE0EEEvS11_.numbered_sgpr, 14
	.set _ZN7rocprim17ROCPRIM_400000_NS6detail17trampoline_kernelINS0_14default_configENS1_21merge_config_selectorINS0_5tupleIJjjEEENS0_10empty_typeEEEZNS1_10merge_implIS3_NS0_12zip_iteratorINS5_IJN6thrust23THRUST_200600_302600_NS6detail15normal_iteratorINSC_10device_ptrIKjEEEESI_EEEEESK_NSA_INS5_IJNSC_16discard_iteratorINSC_11use_defaultEEESN_EEEEEPS7_SQ_SQ_NSC_11hip_rocprim7__merge17predicate_wrapperIjjNSC_4lessIjEEEEEE10hipError_tPvRmT0_T1_T2_T3_T4_T5_mmT6_P12ihipStream_tbEUlT_E_NS1_11comp_targetILNS1_3genE0ELNS1_11target_archE4294967295ELNS1_3gpuE0ELNS1_3repE0EEENS1_30default_config_static_selectorELNS0_4arch9wavefront6targetE0EEEvS11_.num_named_barrier, 0
	.set _ZN7rocprim17ROCPRIM_400000_NS6detail17trampoline_kernelINS0_14default_configENS1_21merge_config_selectorINS0_5tupleIJjjEEENS0_10empty_typeEEEZNS1_10merge_implIS3_NS0_12zip_iteratorINS5_IJN6thrust23THRUST_200600_302600_NS6detail15normal_iteratorINSC_10device_ptrIKjEEEESI_EEEEESK_NSA_INS5_IJNSC_16discard_iteratorINSC_11use_defaultEEESN_EEEEEPS7_SQ_SQ_NSC_11hip_rocprim7__merge17predicate_wrapperIjjNSC_4lessIjEEEEEE10hipError_tPvRmT0_T1_T2_T3_T4_T5_mmT6_P12ihipStream_tbEUlT_E_NS1_11comp_targetILNS1_3genE0ELNS1_11target_archE4294967295ELNS1_3gpuE0ELNS1_3repE0EEENS1_30default_config_static_selectorELNS0_4arch9wavefront6targetE0EEEvS11_.private_seg_size, 0
	.set _ZN7rocprim17ROCPRIM_400000_NS6detail17trampoline_kernelINS0_14default_configENS1_21merge_config_selectorINS0_5tupleIJjjEEENS0_10empty_typeEEEZNS1_10merge_implIS3_NS0_12zip_iteratorINS5_IJN6thrust23THRUST_200600_302600_NS6detail15normal_iteratorINSC_10device_ptrIKjEEEESI_EEEEESK_NSA_INS5_IJNSC_16discard_iteratorINSC_11use_defaultEEESN_EEEEEPS7_SQ_SQ_NSC_11hip_rocprim7__merge17predicate_wrapperIjjNSC_4lessIjEEEEEE10hipError_tPvRmT0_T1_T2_T3_T4_T5_mmT6_P12ihipStream_tbEUlT_E_NS1_11comp_targetILNS1_3genE0ELNS1_11target_archE4294967295ELNS1_3gpuE0ELNS1_3repE0EEENS1_30default_config_static_selectorELNS0_4arch9wavefront6targetE0EEEvS11_.uses_vcc, 1
	.set _ZN7rocprim17ROCPRIM_400000_NS6detail17trampoline_kernelINS0_14default_configENS1_21merge_config_selectorINS0_5tupleIJjjEEENS0_10empty_typeEEEZNS1_10merge_implIS3_NS0_12zip_iteratorINS5_IJN6thrust23THRUST_200600_302600_NS6detail15normal_iteratorINSC_10device_ptrIKjEEEESI_EEEEESK_NSA_INS5_IJNSC_16discard_iteratorINSC_11use_defaultEEESN_EEEEEPS7_SQ_SQ_NSC_11hip_rocprim7__merge17predicate_wrapperIjjNSC_4lessIjEEEEEE10hipError_tPvRmT0_T1_T2_T3_T4_T5_mmT6_P12ihipStream_tbEUlT_E_NS1_11comp_targetILNS1_3genE0ELNS1_11target_archE4294967295ELNS1_3gpuE0ELNS1_3repE0EEENS1_30default_config_static_selectorELNS0_4arch9wavefront6targetE0EEEvS11_.uses_flat_scratch, 0
	.set _ZN7rocprim17ROCPRIM_400000_NS6detail17trampoline_kernelINS0_14default_configENS1_21merge_config_selectorINS0_5tupleIJjjEEENS0_10empty_typeEEEZNS1_10merge_implIS3_NS0_12zip_iteratorINS5_IJN6thrust23THRUST_200600_302600_NS6detail15normal_iteratorINSC_10device_ptrIKjEEEESI_EEEEESK_NSA_INS5_IJNSC_16discard_iteratorINSC_11use_defaultEEESN_EEEEEPS7_SQ_SQ_NSC_11hip_rocprim7__merge17predicate_wrapperIjjNSC_4lessIjEEEEEE10hipError_tPvRmT0_T1_T2_T3_T4_T5_mmT6_P12ihipStream_tbEUlT_E_NS1_11comp_targetILNS1_3genE0ELNS1_11target_archE4294967295ELNS1_3gpuE0ELNS1_3repE0EEENS1_30default_config_static_selectorELNS0_4arch9wavefront6targetE0EEEvS11_.has_dyn_sized_stack, 0
	.set _ZN7rocprim17ROCPRIM_400000_NS6detail17trampoline_kernelINS0_14default_configENS1_21merge_config_selectorINS0_5tupleIJjjEEENS0_10empty_typeEEEZNS1_10merge_implIS3_NS0_12zip_iteratorINS5_IJN6thrust23THRUST_200600_302600_NS6detail15normal_iteratorINSC_10device_ptrIKjEEEESI_EEEEESK_NSA_INS5_IJNSC_16discard_iteratorINSC_11use_defaultEEESN_EEEEEPS7_SQ_SQ_NSC_11hip_rocprim7__merge17predicate_wrapperIjjNSC_4lessIjEEEEEE10hipError_tPvRmT0_T1_T2_T3_T4_T5_mmT6_P12ihipStream_tbEUlT_E_NS1_11comp_targetILNS1_3genE0ELNS1_11target_archE4294967295ELNS1_3gpuE0ELNS1_3repE0EEENS1_30default_config_static_selectorELNS0_4arch9wavefront6targetE0EEEvS11_.has_recursion, 0
	.set _ZN7rocprim17ROCPRIM_400000_NS6detail17trampoline_kernelINS0_14default_configENS1_21merge_config_selectorINS0_5tupleIJjjEEENS0_10empty_typeEEEZNS1_10merge_implIS3_NS0_12zip_iteratorINS5_IJN6thrust23THRUST_200600_302600_NS6detail15normal_iteratorINSC_10device_ptrIKjEEEESI_EEEEESK_NSA_INS5_IJNSC_16discard_iteratorINSC_11use_defaultEEESN_EEEEEPS7_SQ_SQ_NSC_11hip_rocprim7__merge17predicate_wrapperIjjNSC_4lessIjEEEEEE10hipError_tPvRmT0_T1_T2_T3_T4_T5_mmT6_P12ihipStream_tbEUlT_E_NS1_11comp_targetILNS1_3genE0ELNS1_11target_archE4294967295ELNS1_3gpuE0ELNS1_3repE0EEENS1_30default_config_static_selectorELNS0_4arch9wavefront6targetE0EEEvS11_.has_indirect_call, 0
	.section	.AMDGPU.csdata,"",@progbits
; Kernel info:
; codeLenInByte = 484
; TotalNumSgprs: 16
; NumVgprs: 15
; ScratchSize: 0
; MemoryBound: 0
; FloatMode: 240
; IeeeMode: 1
; LDSByteSize: 0 bytes/workgroup (compile time only)
; SGPRBlocks: 0
; VGPRBlocks: 0
; NumSGPRsForWavesPerEU: 16
; NumVGPRsForWavesPerEU: 15
; NamedBarCnt: 0
; Occupancy: 16
; WaveLimiterHint : 0
; COMPUTE_PGM_RSRC2:SCRATCH_EN: 0
; COMPUTE_PGM_RSRC2:USER_SGPR: 2
; COMPUTE_PGM_RSRC2:TRAP_HANDLER: 0
; COMPUTE_PGM_RSRC2:TGID_X_EN: 1
; COMPUTE_PGM_RSRC2:TGID_Y_EN: 0
; COMPUTE_PGM_RSRC2:TGID_Z_EN: 0
; COMPUTE_PGM_RSRC2:TIDIG_COMP_CNT: 0
	.section	.text._ZN7rocprim17ROCPRIM_400000_NS6detail17trampoline_kernelINS0_14default_configENS1_21merge_config_selectorINS0_5tupleIJjjEEENS0_10empty_typeEEEZNS1_10merge_implIS3_NS0_12zip_iteratorINS5_IJN6thrust23THRUST_200600_302600_NS6detail15normal_iteratorINSC_10device_ptrIKjEEEESI_EEEEESK_NSA_INS5_IJNSC_16discard_iteratorINSC_11use_defaultEEESN_EEEEEPS7_SQ_SQ_NSC_11hip_rocprim7__merge17predicate_wrapperIjjNSC_4lessIjEEEEEE10hipError_tPvRmT0_T1_T2_T3_T4_T5_mmT6_P12ihipStream_tbEUlT_E_NS1_11comp_targetILNS1_3genE5ELNS1_11target_archE942ELNS1_3gpuE9ELNS1_3repE0EEENS1_30default_config_static_selectorELNS0_4arch9wavefront6targetE0EEEvS11_,"axG",@progbits,_ZN7rocprim17ROCPRIM_400000_NS6detail17trampoline_kernelINS0_14default_configENS1_21merge_config_selectorINS0_5tupleIJjjEEENS0_10empty_typeEEEZNS1_10merge_implIS3_NS0_12zip_iteratorINS5_IJN6thrust23THRUST_200600_302600_NS6detail15normal_iteratorINSC_10device_ptrIKjEEEESI_EEEEESK_NSA_INS5_IJNSC_16discard_iteratorINSC_11use_defaultEEESN_EEEEEPS7_SQ_SQ_NSC_11hip_rocprim7__merge17predicate_wrapperIjjNSC_4lessIjEEEEEE10hipError_tPvRmT0_T1_T2_T3_T4_T5_mmT6_P12ihipStream_tbEUlT_E_NS1_11comp_targetILNS1_3genE5ELNS1_11target_archE942ELNS1_3gpuE9ELNS1_3repE0EEENS1_30default_config_static_selectorELNS0_4arch9wavefront6targetE0EEEvS11_,comdat
	.protected	_ZN7rocprim17ROCPRIM_400000_NS6detail17trampoline_kernelINS0_14default_configENS1_21merge_config_selectorINS0_5tupleIJjjEEENS0_10empty_typeEEEZNS1_10merge_implIS3_NS0_12zip_iteratorINS5_IJN6thrust23THRUST_200600_302600_NS6detail15normal_iteratorINSC_10device_ptrIKjEEEESI_EEEEESK_NSA_INS5_IJNSC_16discard_iteratorINSC_11use_defaultEEESN_EEEEEPS7_SQ_SQ_NSC_11hip_rocprim7__merge17predicate_wrapperIjjNSC_4lessIjEEEEEE10hipError_tPvRmT0_T1_T2_T3_T4_T5_mmT6_P12ihipStream_tbEUlT_E_NS1_11comp_targetILNS1_3genE5ELNS1_11target_archE942ELNS1_3gpuE9ELNS1_3repE0EEENS1_30default_config_static_selectorELNS0_4arch9wavefront6targetE0EEEvS11_ ; -- Begin function _ZN7rocprim17ROCPRIM_400000_NS6detail17trampoline_kernelINS0_14default_configENS1_21merge_config_selectorINS0_5tupleIJjjEEENS0_10empty_typeEEEZNS1_10merge_implIS3_NS0_12zip_iteratorINS5_IJN6thrust23THRUST_200600_302600_NS6detail15normal_iteratorINSC_10device_ptrIKjEEEESI_EEEEESK_NSA_INS5_IJNSC_16discard_iteratorINSC_11use_defaultEEESN_EEEEEPS7_SQ_SQ_NSC_11hip_rocprim7__merge17predicate_wrapperIjjNSC_4lessIjEEEEEE10hipError_tPvRmT0_T1_T2_T3_T4_T5_mmT6_P12ihipStream_tbEUlT_E_NS1_11comp_targetILNS1_3genE5ELNS1_11target_archE942ELNS1_3gpuE9ELNS1_3repE0EEENS1_30default_config_static_selectorELNS0_4arch9wavefront6targetE0EEEvS11_
	.globl	_ZN7rocprim17ROCPRIM_400000_NS6detail17trampoline_kernelINS0_14default_configENS1_21merge_config_selectorINS0_5tupleIJjjEEENS0_10empty_typeEEEZNS1_10merge_implIS3_NS0_12zip_iteratorINS5_IJN6thrust23THRUST_200600_302600_NS6detail15normal_iteratorINSC_10device_ptrIKjEEEESI_EEEEESK_NSA_INS5_IJNSC_16discard_iteratorINSC_11use_defaultEEESN_EEEEEPS7_SQ_SQ_NSC_11hip_rocprim7__merge17predicate_wrapperIjjNSC_4lessIjEEEEEE10hipError_tPvRmT0_T1_T2_T3_T4_T5_mmT6_P12ihipStream_tbEUlT_E_NS1_11comp_targetILNS1_3genE5ELNS1_11target_archE942ELNS1_3gpuE9ELNS1_3repE0EEENS1_30default_config_static_selectorELNS0_4arch9wavefront6targetE0EEEvS11_
	.p2align	8
	.type	_ZN7rocprim17ROCPRIM_400000_NS6detail17trampoline_kernelINS0_14default_configENS1_21merge_config_selectorINS0_5tupleIJjjEEENS0_10empty_typeEEEZNS1_10merge_implIS3_NS0_12zip_iteratorINS5_IJN6thrust23THRUST_200600_302600_NS6detail15normal_iteratorINSC_10device_ptrIKjEEEESI_EEEEESK_NSA_INS5_IJNSC_16discard_iteratorINSC_11use_defaultEEESN_EEEEEPS7_SQ_SQ_NSC_11hip_rocprim7__merge17predicate_wrapperIjjNSC_4lessIjEEEEEE10hipError_tPvRmT0_T1_T2_T3_T4_T5_mmT6_P12ihipStream_tbEUlT_E_NS1_11comp_targetILNS1_3genE5ELNS1_11target_archE942ELNS1_3gpuE9ELNS1_3repE0EEENS1_30default_config_static_selectorELNS0_4arch9wavefront6targetE0EEEvS11_,@function
_ZN7rocprim17ROCPRIM_400000_NS6detail17trampoline_kernelINS0_14default_configENS1_21merge_config_selectorINS0_5tupleIJjjEEENS0_10empty_typeEEEZNS1_10merge_implIS3_NS0_12zip_iteratorINS5_IJN6thrust23THRUST_200600_302600_NS6detail15normal_iteratorINSC_10device_ptrIKjEEEESI_EEEEESK_NSA_INS5_IJNSC_16discard_iteratorINSC_11use_defaultEEESN_EEEEEPS7_SQ_SQ_NSC_11hip_rocprim7__merge17predicate_wrapperIjjNSC_4lessIjEEEEEE10hipError_tPvRmT0_T1_T2_T3_T4_T5_mmT6_P12ihipStream_tbEUlT_E_NS1_11comp_targetILNS1_3genE5ELNS1_11target_archE942ELNS1_3gpuE9ELNS1_3repE0EEENS1_30default_config_static_selectorELNS0_4arch9wavefront6targetE0EEEvS11_: ; @_ZN7rocprim17ROCPRIM_400000_NS6detail17trampoline_kernelINS0_14default_configENS1_21merge_config_selectorINS0_5tupleIJjjEEENS0_10empty_typeEEEZNS1_10merge_implIS3_NS0_12zip_iteratorINS5_IJN6thrust23THRUST_200600_302600_NS6detail15normal_iteratorINSC_10device_ptrIKjEEEESI_EEEEESK_NSA_INS5_IJNSC_16discard_iteratorINSC_11use_defaultEEESN_EEEEEPS7_SQ_SQ_NSC_11hip_rocprim7__merge17predicate_wrapperIjjNSC_4lessIjEEEEEE10hipError_tPvRmT0_T1_T2_T3_T4_T5_mmT6_P12ihipStream_tbEUlT_E_NS1_11comp_targetILNS1_3genE5ELNS1_11target_archE942ELNS1_3gpuE9ELNS1_3repE0EEENS1_30default_config_static_selectorELNS0_4arch9wavefront6targetE0EEEvS11_
; %bb.0:
	.section	.rodata,"a",@progbits
	.p2align	6, 0x0
	.amdhsa_kernel _ZN7rocprim17ROCPRIM_400000_NS6detail17trampoline_kernelINS0_14default_configENS1_21merge_config_selectorINS0_5tupleIJjjEEENS0_10empty_typeEEEZNS1_10merge_implIS3_NS0_12zip_iteratorINS5_IJN6thrust23THRUST_200600_302600_NS6detail15normal_iteratorINSC_10device_ptrIKjEEEESI_EEEEESK_NSA_INS5_IJNSC_16discard_iteratorINSC_11use_defaultEEESN_EEEEEPS7_SQ_SQ_NSC_11hip_rocprim7__merge17predicate_wrapperIjjNSC_4lessIjEEEEEE10hipError_tPvRmT0_T1_T2_T3_T4_T5_mmT6_P12ihipStream_tbEUlT_E_NS1_11comp_targetILNS1_3genE5ELNS1_11target_archE942ELNS1_3gpuE9ELNS1_3repE0EEENS1_30default_config_static_selectorELNS0_4arch9wavefront6targetE0EEEvS11_
		.amdhsa_group_segment_fixed_size 0
		.amdhsa_private_segment_fixed_size 0
		.amdhsa_kernarg_size 64
		.amdhsa_user_sgpr_count 2
		.amdhsa_user_sgpr_dispatch_ptr 0
		.amdhsa_user_sgpr_queue_ptr 0
		.amdhsa_user_sgpr_kernarg_segment_ptr 1
		.amdhsa_user_sgpr_dispatch_id 0
		.amdhsa_user_sgpr_kernarg_preload_length 0
		.amdhsa_user_sgpr_kernarg_preload_offset 0
		.amdhsa_user_sgpr_private_segment_size 0
		.amdhsa_wavefront_size32 1
		.amdhsa_uses_dynamic_stack 0
		.amdhsa_enable_private_segment 0
		.amdhsa_system_sgpr_workgroup_id_x 1
		.amdhsa_system_sgpr_workgroup_id_y 0
		.amdhsa_system_sgpr_workgroup_id_z 0
		.amdhsa_system_sgpr_workgroup_info 0
		.amdhsa_system_vgpr_workitem_id 0
		.amdhsa_next_free_vgpr 1
		.amdhsa_next_free_sgpr 1
		.amdhsa_named_barrier_count 0
		.amdhsa_reserve_vcc 0
		.amdhsa_float_round_mode_32 0
		.amdhsa_float_round_mode_16_64 0
		.amdhsa_float_denorm_mode_32 3
		.amdhsa_float_denorm_mode_16_64 3
		.amdhsa_fp16_overflow 0
		.amdhsa_memory_ordered 1
		.amdhsa_forward_progress 1
		.amdhsa_inst_pref_size 0
		.amdhsa_round_robin_scheduling 0
		.amdhsa_exception_fp_ieee_invalid_op 0
		.amdhsa_exception_fp_denorm_src 0
		.amdhsa_exception_fp_ieee_div_zero 0
		.amdhsa_exception_fp_ieee_overflow 0
		.amdhsa_exception_fp_ieee_underflow 0
		.amdhsa_exception_fp_ieee_inexact 0
		.amdhsa_exception_int_div_zero 0
	.end_amdhsa_kernel
	.section	.text._ZN7rocprim17ROCPRIM_400000_NS6detail17trampoline_kernelINS0_14default_configENS1_21merge_config_selectorINS0_5tupleIJjjEEENS0_10empty_typeEEEZNS1_10merge_implIS3_NS0_12zip_iteratorINS5_IJN6thrust23THRUST_200600_302600_NS6detail15normal_iteratorINSC_10device_ptrIKjEEEESI_EEEEESK_NSA_INS5_IJNSC_16discard_iteratorINSC_11use_defaultEEESN_EEEEEPS7_SQ_SQ_NSC_11hip_rocprim7__merge17predicate_wrapperIjjNSC_4lessIjEEEEEE10hipError_tPvRmT0_T1_T2_T3_T4_T5_mmT6_P12ihipStream_tbEUlT_E_NS1_11comp_targetILNS1_3genE5ELNS1_11target_archE942ELNS1_3gpuE9ELNS1_3repE0EEENS1_30default_config_static_selectorELNS0_4arch9wavefront6targetE0EEEvS11_,"axG",@progbits,_ZN7rocprim17ROCPRIM_400000_NS6detail17trampoline_kernelINS0_14default_configENS1_21merge_config_selectorINS0_5tupleIJjjEEENS0_10empty_typeEEEZNS1_10merge_implIS3_NS0_12zip_iteratorINS5_IJN6thrust23THRUST_200600_302600_NS6detail15normal_iteratorINSC_10device_ptrIKjEEEESI_EEEEESK_NSA_INS5_IJNSC_16discard_iteratorINSC_11use_defaultEEESN_EEEEEPS7_SQ_SQ_NSC_11hip_rocprim7__merge17predicate_wrapperIjjNSC_4lessIjEEEEEE10hipError_tPvRmT0_T1_T2_T3_T4_T5_mmT6_P12ihipStream_tbEUlT_E_NS1_11comp_targetILNS1_3genE5ELNS1_11target_archE942ELNS1_3gpuE9ELNS1_3repE0EEENS1_30default_config_static_selectorELNS0_4arch9wavefront6targetE0EEEvS11_,comdat
.Lfunc_end534:
	.size	_ZN7rocprim17ROCPRIM_400000_NS6detail17trampoline_kernelINS0_14default_configENS1_21merge_config_selectorINS0_5tupleIJjjEEENS0_10empty_typeEEEZNS1_10merge_implIS3_NS0_12zip_iteratorINS5_IJN6thrust23THRUST_200600_302600_NS6detail15normal_iteratorINSC_10device_ptrIKjEEEESI_EEEEESK_NSA_INS5_IJNSC_16discard_iteratorINSC_11use_defaultEEESN_EEEEEPS7_SQ_SQ_NSC_11hip_rocprim7__merge17predicate_wrapperIjjNSC_4lessIjEEEEEE10hipError_tPvRmT0_T1_T2_T3_T4_T5_mmT6_P12ihipStream_tbEUlT_E_NS1_11comp_targetILNS1_3genE5ELNS1_11target_archE942ELNS1_3gpuE9ELNS1_3repE0EEENS1_30default_config_static_selectorELNS0_4arch9wavefront6targetE0EEEvS11_, .Lfunc_end534-_ZN7rocprim17ROCPRIM_400000_NS6detail17trampoline_kernelINS0_14default_configENS1_21merge_config_selectorINS0_5tupleIJjjEEENS0_10empty_typeEEEZNS1_10merge_implIS3_NS0_12zip_iteratorINS5_IJN6thrust23THRUST_200600_302600_NS6detail15normal_iteratorINSC_10device_ptrIKjEEEESI_EEEEESK_NSA_INS5_IJNSC_16discard_iteratorINSC_11use_defaultEEESN_EEEEEPS7_SQ_SQ_NSC_11hip_rocprim7__merge17predicate_wrapperIjjNSC_4lessIjEEEEEE10hipError_tPvRmT0_T1_T2_T3_T4_T5_mmT6_P12ihipStream_tbEUlT_E_NS1_11comp_targetILNS1_3genE5ELNS1_11target_archE942ELNS1_3gpuE9ELNS1_3repE0EEENS1_30default_config_static_selectorELNS0_4arch9wavefront6targetE0EEEvS11_
                                        ; -- End function
	.set _ZN7rocprim17ROCPRIM_400000_NS6detail17trampoline_kernelINS0_14default_configENS1_21merge_config_selectorINS0_5tupleIJjjEEENS0_10empty_typeEEEZNS1_10merge_implIS3_NS0_12zip_iteratorINS5_IJN6thrust23THRUST_200600_302600_NS6detail15normal_iteratorINSC_10device_ptrIKjEEEESI_EEEEESK_NSA_INS5_IJNSC_16discard_iteratorINSC_11use_defaultEEESN_EEEEEPS7_SQ_SQ_NSC_11hip_rocprim7__merge17predicate_wrapperIjjNSC_4lessIjEEEEEE10hipError_tPvRmT0_T1_T2_T3_T4_T5_mmT6_P12ihipStream_tbEUlT_E_NS1_11comp_targetILNS1_3genE5ELNS1_11target_archE942ELNS1_3gpuE9ELNS1_3repE0EEENS1_30default_config_static_selectorELNS0_4arch9wavefront6targetE0EEEvS11_.num_vgpr, 0
	.set _ZN7rocprim17ROCPRIM_400000_NS6detail17trampoline_kernelINS0_14default_configENS1_21merge_config_selectorINS0_5tupleIJjjEEENS0_10empty_typeEEEZNS1_10merge_implIS3_NS0_12zip_iteratorINS5_IJN6thrust23THRUST_200600_302600_NS6detail15normal_iteratorINSC_10device_ptrIKjEEEESI_EEEEESK_NSA_INS5_IJNSC_16discard_iteratorINSC_11use_defaultEEESN_EEEEEPS7_SQ_SQ_NSC_11hip_rocprim7__merge17predicate_wrapperIjjNSC_4lessIjEEEEEE10hipError_tPvRmT0_T1_T2_T3_T4_T5_mmT6_P12ihipStream_tbEUlT_E_NS1_11comp_targetILNS1_3genE5ELNS1_11target_archE942ELNS1_3gpuE9ELNS1_3repE0EEENS1_30default_config_static_selectorELNS0_4arch9wavefront6targetE0EEEvS11_.num_agpr, 0
	.set _ZN7rocprim17ROCPRIM_400000_NS6detail17trampoline_kernelINS0_14default_configENS1_21merge_config_selectorINS0_5tupleIJjjEEENS0_10empty_typeEEEZNS1_10merge_implIS3_NS0_12zip_iteratorINS5_IJN6thrust23THRUST_200600_302600_NS6detail15normal_iteratorINSC_10device_ptrIKjEEEESI_EEEEESK_NSA_INS5_IJNSC_16discard_iteratorINSC_11use_defaultEEESN_EEEEEPS7_SQ_SQ_NSC_11hip_rocprim7__merge17predicate_wrapperIjjNSC_4lessIjEEEEEE10hipError_tPvRmT0_T1_T2_T3_T4_T5_mmT6_P12ihipStream_tbEUlT_E_NS1_11comp_targetILNS1_3genE5ELNS1_11target_archE942ELNS1_3gpuE9ELNS1_3repE0EEENS1_30default_config_static_selectorELNS0_4arch9wavefront6targetE0EEEvS11_.numbered_sgpr, 0
	.set _ZN7rocprim17ROCPRIM_400000_NS6detail17trampoline_kernelINS0_14default_configENS1_21merge_config_selectorINS0_5tupleIJjjEEENS0_10empty_typeEEEZNS1_10merge_implIS3_NS0_12zip_iteratorINS5_IJN6thrust23THRUST_200600_302600_NS6detail15normal_iteratorINSC_10device_ptrIKjEEEESI_EEEEESK_NSA_INS5_IJNSC_16discard_iteratorINSC_11use_defaultEEESN_EEEEEPS7_SQ_SQ_NSC_11hip_rocprim7__merge17predicate_wrapperIjjNSC_4lessIjEEEEEE10hipError_tPvRmT0_T1_T2_T3_T4_T5_mmT6_P12ihipStream_tbEUlT_E_NS1_11comp_targetILNS1_3genE5ELNS1_11target_archE942ELNS1_3gpuE9ELNS1_3repE0EEENS1_30default_config_static_selectorELNS0_4arch9wavefront6targetE0EEEvS11_.num_named_barrier, 0
	.set _ZN7rocprim17ROCPRIM_400000_NS6detail17trampoline_kernelINS0_14default_configENS1_21merge_config_selectorINS0_5tupleIJjjEEENS0_10empty_typeEEEZNS1_10merge_implIS3_NS0_12zip_iteratorINS5_IJN6thrust23THRUST_200600_302600_NS6detail15normal_iteratorINSC_10device_ptrIKjEEEESI_EEEEESK_NSA_INS5_IJNSC_16discard_iteratorINSC_11use_defaultEEESN_EEEEEPS7_SQ_SQ_NSC_11hip_rocprim7__merge17predicate_wrapperIjjNSC_4lessIjEEEEEE10hipError_tPvRmT0_T1_T2_T3_T4_T5_mmT6_P12ihipStream_tbEUlT_E_NS1_11comp_targetILNS1_3genE5ELNS1_11target_archE942ELNS1_3gpuE9ELNS1_3repE0EEENS1_30default_config_static_selectorELNS0_4arch9wavefront6targetE0EEEvS11_.private_seg_size, 0
	.set _ZN7rocprim17ROCPRIM_400000_NS6detail17trampoline_kernelINS0_14default_configENS1_21merge_config_selectorINS0_5tupleIJjjEEENS0_10empty_typeEEEZNS1_10merge_implIS3_NS0_12zip_iteratorINS5_IJN6thrust23THRUST_200600_302600_NS6detail15normal_iteratorINSC_10device_ptrIKjEEEESI_EEEEESK_NSA_INS5_IJNSC_16discard_iteratorINSC_11use_defaultEEESN_EEEEEPS7_SQ_SQ_NSC_11hip_rocprim7__merge17predicate_wrapperIjjNSC_4lessIjEEEEEE10hipError_tPvRmT0_T1_T2_T3_T4_T5_mmT6_P12ihipStream_tbEUlT_E_NS1_11comp_targetILNS1_3genE5ELNS1_11target_archE942ELNS1_3gpuE9ELNS1_3repE0EEENS1_30default_config_static_selectorELNS0_4arch9wavefront6targetE0EEEvS11_.uses_vcc, 0
	.set _ZN7rocprim17ROCPRIM_400000_NS6detail17trampoline_kernelINS0_14default_configENS1_21merge_config_selectorINS0_5tupleIJjjEEENS0_10empty_typeEEEZNS1_10merge_implIS3_NS0_12zip_iteratorINS5_IJN6thrust23THRUST_200600_302600_NS6detail15normal_iteratorINSC_10device_ptrIKjEEEESI_EEEEESK_NSA_INS5_IJNSC_16discard_iteratorINSC_11use_defaultEEESN_EEEEEPS7_SQ_SQ_NSC_11hip_rocprim7__merge17predicate_wrapperIjjNSC_4lessIjEEEEEE10hipError_tPvRmT0_T1_T2_T3_T4_T5_mmT6_P12ihipStream_tbEUlT_E_NS1_11comp_targetILNS1_3genE5ELNS1_11target_archE942ELNS1_3gpuE9ELNS1_3repE0EEENS1_30default_config_static_selectorELNS0_4arch9wavefront6targetE0EEEvS11_.uses_flat_scratch, 0
	.set _ZN7rocprim17ROCPRIM_400000_NS6detail17trampoline_kernelINS0_14default_configENS1_21merge_config_selectorINS0_5tupleIJjjEEENS0_10empty_typeEEEZNS1_10merge_implIS3_NS0_12zip_iteratorINS5_IJN6thrust23THRUST_200600_302600_NS6detail15normal_iteratorINSC_10device_ptrIKjEEEESI_EEEEESK_NSA_INS5_IJNSC_16discard_iteratorINSC_11use_defaultEEESN_EEEEEPS7_SQ_SQ_NSC_11hip_rocprim7__merge17predicate_wrapperIjjNSC_4lessIjEEEEEE10hipError_tPvRmT0_T1_T2_T3_T4_T5_mmT6_P12ihipStream_tbEUlT_E_NS1_11comp_targetILNS1_3genE5ELNS1_11target_archE942ELNS1_3gpuE9ELNS1_3repE0EEENS1_30default_config_static_selectorELNS0_4arch9wavefront6targetE0EEEvS11_.has_dyn_sized_stack, 0
	.set _ZN7rocprim17ROCPRIM_400000_NS6detail17trampoline_kernelINS0_14default_configENS1_21merge_config_selectorINS0_5tupleIJjjEEENS0_10empty_typeEEEZNS1_10merge_implIS3_NS0_12zip_iteratorINS5_IJN6thrust23THRUST_200600_302600_NS6detail15normal_iteratorINSC_10device_ptrIKjEEEESI_EEEEESK_NSA_INS5_IJNSC_16discard_iteratorINSC_11use_defaultEEESN_EEEEEPS7_SQ_SQ_NSC_11hip_rocprim7__merge17predicate_wrapperIjjNSC_4lessIjEEEEEE10hipError_tPvRmT0_T1_T2_T3_T4_T5_mmT6_P12ihipStream_tbEUlT_E_NS1_11comp_targetILNS1_3genE5ELNS1_11target_archE942ELNS1_3gpuE9ELNS1_3repE0EEENS1_30default_config_static_selectorELNS0_4arch9wavefront6targetE0EEEvS11_.has_recursion, 0
	.set _ZN7rocprim17ROCPRIM_400000_NS6detail17trampoline_kernelINS0_14default_configENS1_21merge_config_selectorINS0_5tupleIJjjEEENS0_10empty_typeEEEZNS1_10merge_implIS3_NS0_12zip_iteratorINS5_IJN6thrust23THRUST_200600_302600_NS6detail15normal_iteratorINSC_10device_ptrIKjEEEESI_EEEEESK_NSA_INS5_IJNSC_16discard_iteratorINSC_11use_defaultEEESN_EEEEEPS7_SQ_SQ_NSC_11hip_rocprim7__merge17predicate_wrapperIjjNSC_4lessIjEEEEEE10hipError_tPvRmT0_T1_T2_T3_T4_T5_mmT6_P12ihipStream_tbEUlT_E_NS1_11comp_targetILNS1_3genE5ELNS1_11target_archE942ELNS1_3gpuE9ELNS1_3repE0EEENS1_30default_config_static_selectorELNS0_4arch9wavefront6targetE0EEEvS11_.has_indirect_call, 0
	.section	.AMDGPU.csdata,"",@progbits
; Kernel info:
; codeLenInByte = 0
; TotalNumSgprs: 0
; NumVgprs: 0
; ScratchSize: 0
; MemoryBound: 0
; FloatMode: 240
; IeeeMode: 1
; LDSByteSize: 0 bytes/workgroup (compile time only)
; SGPRBlocks: 0
; VGPRBlocks: 0
; NumSGPRsForWavesPerEU: 1
; NumVGPRsForWavesPerEU: 1
; NamedBarCnt: 0
; Occupancy: 16
; WaveLimiterHint : 0
; COMPUTE_PGM_RSRC2:SCRATCH_EN: 0
; COMPUTE_PGM_RSRC2:USER_SGPR: 2
; COMPUTE_PGM_RSRC2:TRAP_HANDLER: 0
; COMPUTE_PGM_RSRC2:TGID_X_EN: 1
; COMPUTE_PGM_RSRC2:TGID_Y_EN: 0
; COMPUTE_PGM_RSRC2:TGID_Z_EN: 0
; COMPUTE_PGM_RSRC2:TIDIG_COMP_CNT: 0
	.section	.text._ZN7rocprim17ROCPRIM_400000_NS6detail17trampoline_kernelINS0_14default_configENS1_21merge_config_selectorINS0_5tupleIJjjEEENS0_10empty_typeEEEZNS1_10merge_implIS3_NS0_12zip_iteratorINS5_IJN6thrust23THRUST_200600_302600_NS6detail15normal_iteratorINSC_10device_ptrIKjEEEESI_EEEEESK_NSA_INS5_IJNSC_16discard_iteratorINSC_11use_defaultEEESN_EEEEEPS7_SQ_SQ_NSC_11hip_rocprim7__merge17predicate_wrapperIjjNSC_4lessIjEEEEEE10hipError_tPvRmT0_T1_T2_T3_T4_T5_mmT6_P12ihipStream_tbEUlT_E_NS1_11comp_targetILNS1_3genE4ELNS1_11target_archE910ELNS1_3gpuE8ELNS1_3repE0EEENS1_30default_config_static_selectorELNS0_4arch9wavefront6targetE0EEEvS11_,"axG",@progbits,_ZN7rocprim17ROCPRIM_400000_NS6detail17trampoline_kernelINS0_14default_configENS1_21merge_config_selectorINS0_5tupleIJjjEEENS0_10empty_typeEEEZNS1_10merge_implIS3_NS0_12zip_iteratorINS5_IJN6thrust23THRUST_200600_302600_NS6detail15normal_iteratorINSC_10device_ptrIKjEEEESI_EEEEESK_NSA_INS5_IJNSC_16discard_iteratorINSC_11use_defaultEEESN_EEEEEPS7_SQ_SQ_NSC_11hip_rocprim7__merge17predicate_wrapperIjjNSC_4lessIjEEEEEE10hipError_tPvRmT0_T1_T2_T3_T4_T5_mmT6_P12ihipStream_tbEUlT_E_NS1_11comp_targetILNS1_3genE4ELNS1_11target_archE910ELNS1_3gpuE8ELNS1_3repE0EEENS1_30default_config_static_selectorELNS0_4arch9wavefront6targetE0EEEvS11_,comdat
	.protected	_ZN7rocprim17ROCPRIM_400000_NS6detail17trampoline_kernelINS0_14default_configENS1_21merge_config_selectorINS0_5tupleIJjjEEENS0_10empty_typeEEEZNS1_10merge_implIS3_NS0_12zip_iteratorINS5_IJN6thrust23THRUST_200600_302600_NS6detail15normal_iteratorINSC_10device_ptrIKjEEEESI_EEEEESK_NSA_INS5_IJNSC_16discard_iteratorINSC_11use_defaultEEESN_EEEEEPS7_SQ_SQ_NSC_11hip_rocprim7__merge17predicate_wrapperIjjNSC_4lessIjEEEEEE10hipError_tPvRmT0_T1_T2_T3_T4_T5_mmT6_P12ihipStream_tbEUlT_E_NS1_11comp_targetILNS1_3genE4ELNS1_11target_archE910ELNS1_3gpuE8ELNS1_3repE0EEENS1_30default_config_static_selectorELNS0_4arch9wavefront6targetE0EEEvS11_ ; -- Begin function _ZN7rocprim17ROCPRIM_400000_NS6detail17trampoline_kernelINS0_14default_configENS1_21merge_config_selectorINS0_5tupleIJjjEEENS0_10empty_typeEEEZNS1_10merge_implIS3_NS0_12zip_iteratorINS5_IJN6thrust23THRUST_200600_302600_NS6detail15normal_iteratorINSC_10device_ptrIKjEEEESI_EEEEESK_NSA_INS5_IJNSC_16discard_iteratorINSC_11use_defaultEEESN_EEEEEPS7_SQ_SQ_NSC_11hip_rocprim7__merge17predicate_wrapperIjjNSC_4lessIjEEEEEE10hipError_tPvRmT0_T1_T2_T3_T4_T5_mmT6_P12ihipStream_tbEUlT_E_NS1_11comp_targetILNS1_3genE4ELNS1_11target_archE910ELNS1_3gpuE8ELNS1_3repE0EEENS1_30default_config_static_selectorELNS0_4arch9wavefront6targetE0EEEvS11_
	.globl	_ZN7rocprim17ROCPRIM_400000_NS6detail17trampoline_kernelINS0_14default_configENS1_21merge_config_selectorINS0_5tupleIJjjEEENS0_10empty_typeEEEZNS1_10merge_implIS3_NS0_12zip_iteratorINS5_IJN6thrust23THRUST_200600_302600_NS6detail15normal_iteratorINSC_10device_ptrIKjEEEESI_EEEEESK_NSA_INS5_IJNSC_16discard_iteratorINSC_11use_defaultEEESN_EEEEEPS7_SQ_SQ_NSC_11hip_rocprim7__merge17predicate_wrapperIjjNSC_4lessIjEEEEEE10hipError_tPvRmT0_T1_T2_T3_T4_T5_mmT6_P12ihipStream_tbEUlT_E_NS1_11comp_targetILNS1_3genE4ELNS1_11target_archE910ELNS1_3gpuE8ELNS1_3repE0EEENS1_30default_config_static_selectorELNS0_4arch9wavefront6targetE0EEEvS11_
	.p2align	8
	.type	_ZN7rocprim17ROCPRIM_400000_NS6detail17trampoline_kernelINS0_14default_configENS1_21merge_config_selectorINS0_5tupleIJjjEEENS0_10empty_typeEEEZNS1_10merge_implIS3_NS0_12zip_iteratorINS5_IJN6thrust23THRUST_200600_302600_NS6detail15normal_iteratorINSC_10device_ptrIKjEEEESI_EEEEESK_NSA_INS5_IJNSC_16discard_iteratorINSC_11use_defaultEEESN_EEEEEPS7_SQ_SQ_NSC_11hip_rocprim7__merge17predicate_wrapperIjjNSC_4lessIjEEEEEE10hipError_tPvRmT0_T1_T2_T3_T4_T5_mmT6_P12ihipStream_tbEUlT_E_NS1_11comp_targetILNS1_3genE4ELNS1_11target_archE910ELNS1_3gpuE8ELNS1_3repE0EEENS1_30default_config_static_selectorELNS0_4arch9wavefront6targetE0EEEvS11_,@function
_ZN7rocprim17ROCPRIM_400000_NS6detail17trampoline_kernelINS0_14default_configENS1_21merge_config_selectorINS0_5tupleIJjjEEENS0_10empty_typeEEEZNS1_10merge_implIS3_NS0_12zip_iteratorINS5_IJN6thrust23THRUST_200600_302600_NS6detail15normal_iteratorINSC_10device_ptrIKjEEEESI_EEEEESK_NSA_INS5_IJNSC_16discard_iteratorINSC_11use_defaultEEESN_EEEEEPS7_SQ_SQ_NSC_11hip_rocprim7__merge17predicate_wrapperIjjNSC_4lessIjEEEEEE10hipError_tPvRmT0_T1_T2_T3_T4_T5_mmT6_P12ihipStream_tbEUlT_E_NS1_11comp_targetILNS1_3genE4ELNS1_11target_archE910ELNS1_3gpuE8ELNS1_3repE0EEENS1_30default_config_static_selectorELNS0_4arch9wavefront6targetE0EEEvS11_: ; @_ZN7rocprim17ROCPRIM_400000_NS6detail17trampoline_kernelINS0_14default_configENS1_21merge_config_selectorINS0_5tupleIJjjEEENS0_10empty_typeEEEZNS1_10merge_implIS3_NS0_12zip_iteratorINS5_IJN6thrust23THRUST_200600_302600_NS6detail15normal_iteratorINSC_10device_ptrIKjEEEESI_EEEEESK_NSA_INS5_IJNSC_16discard_iteratorINSC_11use_defaultEEESN_EEEEEPS7_SQ_SQ_NSC_11hip_rocprim7__merge17predicate_wrapperIjjNSC_4lessIjEEEEEE10hipError_tPvRmT0_T1_T2_T3_T4_T5_mmT6_P12ihipStream_tbEUlT_E_NS1_11comp_targetILNS1_3genE4ELNS1_11target_archE910ELNS1_3gpuE8ELNS1_3repE0EEENS1_30default_config_static_selectorELNS0_4arch9wavefront6targetE0EEEvS11_
; %bb.0:
	.section	.rodata,"a",@progbits
	.p2align	6, 0x0
	.amdhsa_kernel _ZN7rocprim17ROCPRIM_400000_NS6detail17trampoline_kernelINS0_14default_configENS1_21merge_config_selectorINS0_5tupleIJjjEEENS0_10empty_typeEEEZNS1_10merge_implIS3_NS0_12zip_iteratorINS5_IJN6thrust23THRUST_200600_302600_NS6detail15normal_iteratorINSC_10device_ptrIKjEEEESI_EEEEESK_NSA_INS5_IJNSC_16discard_iteratorINSC_11use_defaultEEESN_EEEEEPS7_SQ_SQ_NSC_11hip_rocprim7__merge17predicate_wrapperIjjNSC_4lessIjEEEEEE10hipError_tPvRmT0_T1_T2_T3_T4_T5_mmT6_P12ihipStream_tbEUlT_E_NS1_11comp_targetILNS1_3genE4ELNS1_11target_archE910ELNS1_3gpuE8ELNS1_3repE0EEENS1_30default_config_static_selectorELNS0_4arch9wavefront6targetE0EEEvS11_
		.amdhsa_group_segment_fixed_size 0
		.amdhsa_private_segment_fixed_size 0
		.amdhsa_kernarg_size 64
		.amdhsa_user_sgpr_count 2
		.amdhsa_user_sgpr_dispatch_ptr 0
		.amdhsa_user_sgpr_queue_ptr 0
		.amdhsa_user_sgpr_kernarg_segment_ptr 1
		.amdhsa_user_sgpr_dispatch_id 0
		.amdhsa_user_sgpr_kernarg_preload_length 0
		.amdhsa_user_sgpr_kernarg_preload_offset 0
		.amdhsa_user_sgpr_private_segment_size 0
		.amdhsa_wavefront_size32 1
		.amdhsa_uses_dynamic_stack 0
		.amdhsa_enable_private_segment 0
		.amdhsa_system_sgpr_workgroup_id_x 1
		.amdhsa_system_sgpr_workgroup_id_y 0
		.amdhsa_system_sgpr_workgroup_id_z 0
		.amdhsa_system_sgpr_workgroup_info 0
		.amdhsa_system_vgpr_workitem_id 0
		.amdhsa_next_free_vgpr 1
		.amdhsa_next_free_sgpr 1
		.amdhsa_named_barrier_count 0
		.amdhsa_reserve_vcc 0
		.amdhsa_float_round_mode_32 0
		.amdhsa_float_round_mode_16_64 0
		.amdhsa_float_denorm_mode_32 3
		.amdhsa_float_denorm_mode_16_64 3
		.amdhsa_fp16_overflow 0
		.amdhsa_memory_ordered 1
		.amdhsa_forward_progress 1
		.amdhsa_inst_pref_size 0
		.amdhsa_round_robin_scheduling 0
		.amdhsa_exception_fp_ieee_invalid_op 0
		.amdhsa_exception_fp_denorm_src 0
		.amdhsa_exception_fp_ieee_div_zero 0
		.amdhsa_exception_fp_ieee_overflow 0
		.amdhsa_exception_fp_ieee_underflow 0
		.amdhsa_exception_fp_ieee_inexact 0
		.amdhsa_exception_int_div_zero 0
	.end_amdhsa_kernel
	.section	.text._ZN7rocprim17ROCPRIM_400000_NS6detail17trampoline_kernelINS0_14default_configENS1_21merge_config_selectorINS0_5tupleIJjjEEENS0_10empty_typeEEEZNS1_10merge_implIS3_NS0_12zip_iteratorINS5_IJN6thrust23THRUST_200600_302600_NS6detail15normal_iteratorINSC_10device_ptrIKjEEEESI_EEEEESK_NSA_INS5_IJNSC_16discard_iteratorINSC_11use_defaultEEESN_EEEEEPS7_SQ_SQ_NSC_11hip_rocprim7__merge17predicate_wrapperIjjNSC_4lessIjEEEEEE10hipError_tPvRmT0_T1_T2_T3_T4_T5_mmT6_P12ihipStream_tbEUlT_E_NS1_11comp_targetILNS1_3genE4ELNS1_11target_archE910ELNS1_3gpuE8ELNS1_3repE0EEENS1_30default_config_static_selectorELNS0_4arch9wavefront6targetE0EEEvS11_,"axG",@progbits,_ZN7rocprim17ROCPRIM_400000_NS6detail17trampoline_kernelINS0_14default_configENS1_21merge_config_selectorINS0_5tupleIJjjEEENS0_10empty_typeEEEZNS1_10merge_implIS3_NS0_12zip_iteratorINS5_IJN6thrust23THRUST_200600_302600_NS6detail15normal_iteratorINSC_10device_ptrIKjEEEESI_EEEEESK_NSA_INS5_IJNSC_16discard_iteratorINSC_11use_defaultEEESN_EEEEEPS7_SQ_SQ_NSC_11hip_rocprim7__merge17predicate_wrapperIjjNSC_4lessIjEEEEEE10hipError_tPvRmT0_T1_T2_T3_T4_T5_mmT6_P12ihipStream_tbEUlT_E_NS1_11comp_targetILNS1_3genE4ELNS1_11target_archE910ELNS1_3gpuE8ELNS1_3repE0EEENS1_30default_config_static_selectorELNS0_4arch9wavefront6targetE0EEEvS11_,comdat
.Lfunc_end535:
	.size	_ZN7rocprim17ROCPRIM_400000_NS6detail17trampoline_kernelINS0_14default_configENS1_21merge_config_selectorINS0_5tupleIJjjEEENS0_10empty_typeEEEZNS1_10merge_implIS3_NS0_12zip_iteratorINS5_IJN6thrust23THRUST_200600_302600_NS6detail15normal_iteratorINSC_10device_ptrIKjEEEESI_EEEEESK_NSA_INS5_IJNSC_16discard_iteratorINSC_11use_defaultEEESN_EEEEEPS7_SQ_SQ_NSC_11hip_rocprim7__merge17predicate_wrapperIjjNSC_4lessIjEEEEEE10hipError_tPvRmT0_T1_T2_T3_T4_T5_mmT6_P12ihipStream_tbEUlT_E_NS1_11comp_targetILNS1_3genE4ELNS1_11target_archE910ELNS1_3gpuE8ELNS1_3repE0EEENS1_30default_config_static_selectorELNS0_4arch9wavefront6targetE0EEEvS11_, .Lfunc_end535-_ZN7rocprim17ROCPRIM_400000_NS6detail17trampoline_kernelINS0_14default_configENS1_21merge_config_selectorINS0_5tupleIJjjEEENS0_10empty_typeEEEZNS1_10merge_implIS3_NS0_12zip_iteratorINS5_IJN6thrust23THRUST_200600_302600_NS6detail15normal_iteratorINSC_10device_ptrIKjEEEESI_EEEEESK_NSA_INS5_IJNSC_16discard_iteratorINSC_11use_defaultEEESN_EEEEEPS7_SQ_SQ_NSC_11hip_rocprim7__merge17predicate_wrapperIjjNSC_4lessIjEEEEEE10hipError_tPvRmT0_T1_T2_T3_T4_T5_mmT6_P12ihipStream_tbEUlT_E_NS1_11comp_targetILNS1_3genE4ELNS1_11target_archE910ELNS1_3gpuE8ELNS1_3repE0EEENS1_30default_config_static_selectorELNS0_4arch9wavefront6targetE0EEEvS11_
                                        ; -- End function
	.set _ZN7rocprim17ROCPRIM_400000_NS6detail17trampoline_kernelINS0_14default_configENS1_21merge_config_selectorINS0_5tupleIJjjEEENS0_10empty_typeEEEZNS1_10merge_implIS3_NS0_12zip_iteratorINS5_IJN6thrust23THRUST_200600_302600_NS6detail15normal_iteratorINSC_10device_ptrIKjEEEESI_EEEEESK_NSA_INS5_IJNSC_16discard_iteratorINSC_11use_defaultEEESN_EEEEEPS7_SQ_SQ_NSC_11hip_rocprim7__merge17predicate_wrapperIjjNSC_4lessIjEEEEEE10hipError_tPvRmT0_T1_T2_T3_T4_T5_mmT6_P12ihipStream_tbEUlT_E_NS1_11comp_targetILNS1_3genE4ELNS1_11target_archE910ELNS1_3gpuE8ELNS1_3repE0EEENS1_30default_config_static_selectorELNS0_4arch9wavefront6targetE0EEEvS11_.num_vgpr, 0
	.set _ZN7rocprim17ROCPRIM_400000_NS6detail17trampoline_kernelINS0_14default_configENS1_21merge_config_selectorINS0_5tupleIJjjEEENS0_10empty_typeEEEZNS1_10merge_implIS3_NS0_12zip_iteratorINS5_IJN6thrust23THRUST_200600_302600_NS6detail15normal_iteratorINSC_10device_ptrIKjEEEESI_EEEEESK_NSA_INS5_IJNSC_16discard_iteratorINSC_11use_defaultEEESN_EEEEEPS7_SQ_SQ_NSC_11hip_rocprim7__merge17predicate_wrapperIjjNSC_4lessIjEEEEEE10hipError_tPvRmT0_T1_T2_T3_T4_T5_mmT6_P12ihipStream_tbEUlT_E_NS1_11comp_targetILNS1_3genE4ELNS1_11target_archE910ELNS1_3gpuE8ELNS1_3repE0EEENS1_30default_config_static_selectorELNS0_4arch9wavefront6targetE0EEEvS11_.num_agpr, 0
	.set _ZN7rocprim17ROCPRIM_400000_NS6detail17trampoline_kernelINS0_14default_configENS1_21merge_config_selectorINS0_5tupleIJjjEEENS0_10empty_typeEEEZNS1_10merge_implIS3_NS0_12zip_iteratorINS5_IJN6thrust23THRUST_200600_302600_NS6detail15normal_iteratorINSC_10device_ptrIKjEEEESI_EEEEESK_NSA_INS5_IJNSC_16discard_iteratorINSC_11use_defaultEEESN_EEEEEPS7_SQ_SQ_NSC_11hip_rocprim7__merge17predicate_wrapperIjjNSC_4lessIjEEEEEE10hipError_tPvRmT0_T1_T2_T3_T4_T5_mmT6_P12ihipStream_tbEUlT_E_NS1_11comp_targetILNS1_3genE4ELNS1_11target_archE910ELNS1_3gpuE8ELNS1_3repE0EEENS1_30default_config_static_selectorELNS0_4arch9wavefront6targetE0EEEvS11_.numbered_sgpr, 0
	.set _ZN7rocprim17ROCPRIM_400000_NS6detail17trampoline_kernelINS0_14default_configENS1_21merge_config_selectorINS0_5tupleIJjjEEENS0_10empty_typeEEEZNS1_10merge_implIS3_NS0_12zip_iteratorINS5_IJN6thrust23THRUST_200600_302600_NS6detail15normal_iteratorINSC_10device_ptrIKjEEEESI_EEEEESK_NSA_INS5_IJNSC_16discard_iteratorINSC_11use_defaultEEESN_EEEEEPS7_SQ_SQ_NSC_11hip_rocprim7__merge17predicate_wrapperIjjNSC_4lessIjEEEEEE10hipError_tPvRmT0_T1_T2_T3_T4_T5_mmT6_P12ihipStream_tbEUlT_E_NS1_11comp_targetILNS1_3genE4ELNS1_11target_archE910ELNS1_3gpuE8ELNS1_3repE0EEENS1_30default_config_static_selectorELNS0_4arch9wavefront6targetE0EEEvS11_.num_named_barrier, 0
	.set _ZN7rocprim17ROCPRIM_400000_NS6detail17trampoline_kernelINS0_14default_configENS1_21merge_config_selectorINS0_5tupleIJjjEEENS0_10empty_typeEEEZNS1_10merge_implIS3_NS0_12zip_iteratorINS5_IJN6thrust23THRUST_200600_302600_NS6detail15normal_iteratorINSC_10device_ptrIKjEEEESI_EEEEESK_NSA_INS5_IJNSC_16discard_iteratorINSC_11use_defaultEEESN_EEEEEPS7_SQ_SQ_NSC_11hip_rocprim7__merge17predicate_wrapperIjjNSC_4lessIjEEEEEE10hipError_tPvRmT0_T1_T2_T3_T4_T5_mmT6_P12ihipStream_tbEUlT_E_NS1_11comp_targetILNS1_3genE4ELNS1_11target_archE910ELNS1_3gpuE8ELNS1_3repE0EEENS1_30default_config_static_selectorELNS0_4arch9wavefront6targetE0EEEvS11_.private_seg_size, 0
	.set _ZN7rocprim17ROCPRIM_400000_NS6detail17trampoline_kernelINS0_14default_configENS1_21merge_config_selectorINS0_5tupleIJjjEEENS0_10empty_typeEEEZNS1_10merge_implIS3_NS0_12zip_iteratorINS5_IJN6thrust23THRUST_200600_302600_NS6detail15normal_iteratorINSC_10device_ptrIKjEEEESI_EEEEESK_NSA_INS5_IJNSC_16discard_iteratorINSC_11use_defaultEEESN_EEEEEPS7_SQ_SQ_NSC_11hip_rocprim7__merge17predicate_wrapperIjjNSC_4lessIjEEEEEE10hipError_tPvRmT0_T1_T2_T3_T4_T5_mmT6_P12ihipStream_tbEUlT_E_NS1_11comp_targetILNS1_3genE4ELNS1_11target_archE910ELNS1_3gpuE8ELNS1_3repE0EEENS1_30default_config_static_selectorELNS0_4arch9wavefront6targetE0EEEvS11_.uses_vcc, 0
	.set _ZN7rocprim17ROCPRIM_400000_NS6detail17trampoline_kernelINS0_14default_configENS1_21merge_config_selectorINS0_5tupleIJjjEEENS0_10empty_typeEEEZNS1_10merge_implIS3_NS0_12zip_iteratorINS5_IJN6thrust23THRUST_200600_302600_NS6detail15normal_iteratorINSC_10device_ptrIKjEEEESI_EEEEESK_NSA_INS5_IJNSC_16discard_iteratorINSC_11use_defaultEEESN_EEEEEPS7_SQ_SQ_NSC_11hip_rocprim7__merge17predicate_wrapperIjjNSC_4lessIjEEEEEE10hipError_tPvRmT0_T1_T2_T3_T4_T5_mmT6_P12ihipStream_tbEUlT_E_NS1_11comp_targetILNS1_3genE4ELNS1_11target_archE910ELNS1_3gpuE8ELNS1_3repE0EEENS1_30default_config_static_selectorELNS0_4arch9wavefront6targetE0EEEvS11_.uses_flat_scratch, 0
	.set _ZN7rocprim17ROCPRIM_400000_NS6detail17trampoline_kernelINS0_14default_configENS1_21merge_config_selectorINS0_5tupleIJjjEEENS0_10empty_typeEEEZNS1_10merge_implIS3_NS0_12zip_iteratorINS5_IJN6thrust23THRUST_200600_302600_NS6detail15normal_iteratorINSC_10device_ptrIKjEEEESI_EEEEESK_NSA_INS5_IJNSC_16discard_iteratorINSC_11use_defaultEEESN_EEEEEPS7_SQ_SQ_NSC_11hip_rocprim7__merge17predicate_wrapperIjjNSC_4lessIjEEEEEE10hipError_tPvRmT0_T1_T2_T3_T4_T5_mmT6_P12ihipStream_tbEUlT_E_NS1_11comp_targetILNS1_3genE4ELNS1_11target_archE910ELNS1_3gpuE8ELNS1_3repE0EEENS1_30default_config_static_selectorELNS0_4arch9wavefront6targetE0EEEvS11_.has_dyn_sized_stack, 0
	.set _ZN7rocprim17ROCPRIM_400000_NS6detail17trampoline_kernelINS0_14default_configENS1_21merge_config_selectorINS0_5tupleIJjjEEENS0_10empty_typeEEEZNS1_10merge_implIS3_NS0_12zip_iteratorINS5_IJN6thrust23THRUST_200600_302600_NS6detail15normal_iteratorINSC_10device_ptrIKjEEEESI_EEEEESK_NSA_INS5_IJNSC_16discard_iteratorINSC_11use_defaultEEESN_EEEEEPS7_SQ_SQ_NSC_11hip_rocprim7__merge17predicate_wrapperIjjNSC_4lessIjEEEEEE10hipError_tPvRmT0_T1_T2_T3_T4_T5_mmT6_P12ihipStream_tbEUlT_E_NS1_11comp_targetILNS1_3genE4ELNS1_11target_archE910ELNS1_3gpuE8ELNS1_3repE0EEENS1_30default_config_static_selectorELNS0_4arch9wavefront6targetE0EEEvS11_.has_recursion, 0
	.set _ZN7rocprim17ROCPRIM_400000_NS6detail17trampoline_kernelINS0_14default_configENS1_21merge_config_selectorINS0_5tupleIJjjEEENS0_10empty_typeEEEZNS1_10merge_implIS3_NS0_12zip_iteratorINS5_IJN6thrust23THRUST_200600_302600_NS6detail15normal_iteratorINSC_10device_ptrIKjEEEESI_EEEEESK_NSA_INS5_IJNSC_16discard_iteratorINSC_11use_defaultEEESN_EEEEEPS7_SQ_SQ_NSC_11hip_rocprim7__merge17predicate_wrapperIjjNSC_4lessIjEEEEEE10hipError_tPvRmT0_T1_T2_T3_T4_T5_mmT6_P12ihipStream_tbEUlT_E_NS1_11comp_targetILNS1_3genE4ELNS1_11target_archE910ELNS1_3gpuE8ELNS1_3repE0EEENS1_30default_config_static_selectorELNS0_4arch9wavefront6targetE0EEEvS11_.has_indirect_call, 0
	.section	.AMDGPU.csdata,"",@progbits
; Kernel info:
; codeLenInByte = 0
; TotalNumSgprs: 0
; NumVgprs: 0
; ScratchSize: 0
; MemoryBound: 0
; FloatMode: 240
; IeeeMode: 1
; LDSByteSize: 0 bytes/workgroup (compile time only)
; SGPRBlocks: 0
; VGPRBlocks: 0
; NumSGPRsForWavesPerEU: 1
; NumVGPRsForWavesPerEU: 1
; NamedBarCnt: 0
; Occupancy: 16
; WaveLimiterHint : 0
; COMPUTE_PGM_RSRC2:SCRATCH_EN: 0
; COMPUTE_PGM_RSRC2:USER_SGPR: 2
; COMPUTE_PGM_RSRC2:TRAP_HANDLER: 0
; COMPUTE_PGM_RSRC2:TGID_X_EN: 1
; COMPUTE_PGM_RSRC2:TGID_Y_EN: 0
; COMPUTE_PGM_RSRC2:TGID_Z_EN: 0
; COMPUTE_PGM_RSRC2:TIDIG_COMP_CNT: 0
	.section	.text._ZN7rocprim17ROCPRIM_400000_NS6detail17trampoline_kernelINS0_14default_configENS1_21merge_config_selectorINS0_5tupleIJjjEEENS0_10empty_typeEEEZNS1_10merge_implIS3_NS0_12zip_iteratorINS5_IJN6thrust23THRUST_200600_302600_NS6detail15normal_iteratorINSC_10device_ptrIKjEEEESI_EEEEESK_NSA_INS5_IJNSC_16discard_iteratorINSC_11use_defaultEEESN_EEEEEPS7_SQ_SQ_NSC_11hip_rocprim7__merge17predicate_wrapperIjjNSC_4lessIjEEEEEE10hipError_tPvRmT0_T1_T2_T3_T4_T5_mmT6_P12ihipStream_tbEUlT_E_NS1_11comp_targetILNS1_3genE3ELNS1_11target_archE908ELNS1_3gpuE7ELNS1_3repE0EEENS1_30default_config_static_selectorELNS0_4arch9wavefront6targetE0EEEvS11_,"axG",@progbits,_ZN7rocprim17ROCPRIM_400000_NS6detail17trampoline_kernelINS0_14default_configENS1_21merge_config_selectorINS0_5tupleIJjjEEENS0_10empty_typeEEEZNS1_10merge_implIS3_NS0_12zip_iteratorINS5_IJN6thrust23THRUST_200600_302600_NS6detail15normal_iteratorINSC_10device_ptrIKjEEEESI_EEEEESK_NSA_INS5_IJNSC_16discard_iteratorINSC_11use_defaultEEESN_EEEEEPS7_SQ_SQ_NSC_11hip_rocprim7__merge17predicate_wrapperIjjNSC_4lessIjEEEEEE10hipError_tPvRmT0_T1_T2_T3_T4_T5_mmT6_P12ihipStream_tbEUlT_E_NS1_11comp_targetILNS1_3genE3ELNS1_11target_archE908ELNS1_3gpuE7ELNS1_3repE0EEENS1_30default_config_static_selectorELNS0_4arch9wavefront6targetE0EEEvS11_,comdat
	.protected	_ZN7rocprim17ROCPRIM_400000_NS6detail17trampoline_kernelINS0_14default_configENS1_21merge_config_selectorINS0_5tupleIJjjEEENS0_10empty_typeEEEZNS1_10merge_implIS3_NS0_12zip_iteratorINS5_IJN6thrust23THRUST_200600_302600_NS6detail15normal_iteratorINSC_10device_ptrIKjEEEESI_EEEEESK_NSA_INS5_IJNSC_16discard_iteratorINSC_11use_defaultEEESN_EEEEEPS7_SQ_SQ_NSC_11hip_rocprim7__merge17predicate_wrapperIjjNSC_4lessIjEEEEEE10hipError_tPvRmT0_T1_T2_T3_T4_T5_mmT6_P12ihipStream_tbEUlT_E_NS1_11comp_targetILNS1_3genE3ELNS1_11target_archE908ELNS1_3gpuE7ELNS1_3repE0EEENS1_30default_config_static_selectorELNS0_4arch9wavefront6targetE0EEEvS11_ ; -- Begin function _ZN7rocprim17ROCPRIM_400000_NS6detail17trampoline_kernelINS0_14default_configENS1_21merge_config_selectorINS0_5tupleIJjjEEENS0_10empty_typeEEEZNS1_10merge_implIS3_NS0_12zip_iteratorINS5_IJN6thrust23THRUST_200600_302600_NS6detail15normal_iteratorINSC_10device_ptrIKjEEEESI_EEEEESK_NSA_INS5_IJNSC_16discard_iteratorINSC_11use_defaultEEESN_EEEEEPS7_SQ_SQ_NSC_11hip_rocprim7__merge17predicate_wrapperIjjNSC_4lessIjEEEEEE10hipError_tPvRmT0_T1_T2_T3_T4_T5_mmT6_P12ihipStream_tbEUlT_E_NS1_11comp_targetILNS1_3genE3ELNS1_11target_archE908ELNS1_3gpuE7ELNS1_3repE0EEENS1_30default_config_static_selectorELNS0_4arch9wavefront6targetE0EEEvS11_
	.globl	_ZN7rocprim17ROCPRIM_400000_NS6detail17trampoline_kernelINS0_14default_configENS1_21merge_config_selectorINS0_5tupleIJjjEEENS0_10empty_typeEEEZNS1_10merge_implIS3_NS0_12zip_iteratorINS5_IJN6thrust23THRUST_200600_302600_NS6detail15normal_iteratorINSC_10device_ptrIKjEEEESI_EEEEESK_NSA_INS5_IJNSC_16discard_iteratorINSC_11use_defaultEEESN_EEEEEPS7_SQ_SQ_NSC_11hip_rocprim7__merge17predicate_wrapperIjjNSC_4lessIjEEEEEE10hipError_tPvRmT0_T1_T2_T3_T4_T5_mmT6_P12ihipStream_tbEUlT_E_NS1_11comp_targetILNS1_3genE3ELNS1_11target_archE908ELNS1_3gpuE7ELNS1_3repE0EEENS1_30default_config_static_selectorELNS0_4arch9wavefront6targetE0EEEvS11_
	.p2align	8
	.type	_ZN7rocprim17ROCPRIM_400000_NS6detail17trampoline_kernelINS0_14default_configENS1_21merge_config_selectorINS0_5tupleIJjjEEENS0_10empty_typeEEEZNS1_10merge_implIS3_NS0_12zip_iteratorINS5_IJN6thrust23THRUST_200600_302600_NS6detail15normal_iteratorINSC_10device_ptrIKjEEEESI_EEEEESK_NSA_INS5_IJNSC_16discard_iteratorINSC_11use_defaultEEESN_EEEEEPS7_SQ_SQ_NSC_11hip_rocprim7__merge17predicate_wrapperIjjNSC_4lessIjEEEEEE10hipError_tPvRmT0_T1_T2_T3_T4_T5_mmT6_P12ihipStream_tbEUlT_E_NS1_11comp_targetILNS1_3genE3ELNS1_11target_archE908ELNS1_3gpuE7ELNS1_3repE0EEENS1_30default_config_static_selectorELNS0_4arch9wavefront6targetE0EEEvS11_,@function
_ZN7rocprim17ROCPRIM_400000_NS6detail17trampoline_kernelINS0_14default_configENS1_21merge_config_selectorINS0_5tupleIJjjEEENS0_10empty_typeEEEZNS1_10merge_implIS3_NS0_12zip_iteratorINS5_IJN6thrust23THRUST_200600_302600_NS6detail15normal_iteratorINSC_10device_ptrIKjEEEESI_EEEEESK_NSA_INS5_IJNSC_16discard_iteratorINSC_11use_defaultEEESN_EEEEEPS7_SQ_SQ_NSC_11hip_rocprim7__merge17predicate_wrapperIjjNSC_4lessIjEEEEEE10hipError_tPvRmT0_T1_T2_T3_T4_T5_mmT6_P12ihipStream_tbEUlT_E_NS1_11comp_targetILNS1_3genE3ELNS1_11target_archE908ELNS1_3gpuE7ELNS1_3repE0EEENS1_30default_config_static_selectorELNS0_4arch9wavefront6targetE0EEEvS11_: ; @_ZN7rocprim17ROCPRIM_400000_NS6detail17trampoline_kernelINS0_14default_configENS1_21merge_config_selectorINS0_5tupleIJjjEEENS0_10empty_typeEEEZNS1_10merge_implIS3_NS0_12zip_iteratorINS5_IJN6thrust23THRUST_200600_302600_NS6detail15normal_iteratorINSC_10device_ptrIKjEEEESI_EEEEESK_NSA_INS5_IJNSC_16discard_iteratorINSC_11use_defaultEEESN_EEEEEPS7_SQ_SQ_NSC_11hip_rocprim7__merge17predicate_wrapperIjjNSC_4lessIjEEEEEE10hipError_tPvRmT0_T1_T2_T3_T4_T5_mmT6_P12ihipStream_tbEUlT_E_NS1_11comp_targetILNS1_3genE3ELNS1_11target_archE908ELNS1_3gpuE7ELNS1_3repE0EEENS1_30default_config_static_selectorELNS0_4arch9wavefront6targetE0EEEvS11_
; %bb.0:
	.section	.rodata,"a",@progbits
	.p2align	6, 0x0
	.amdhsa_kernel _ZN7rocprim17ROCPRIM_400000_NS6detail17trampoline_kernelINS0_14default_configENS1_21merge_config_selectorINS0_5tupleIJjjEEENS0_10empty_typeEEEZNS1_10merge_implIS3_NS0_12zip_iteratorINS5_IJN6thrust23THRUST_200600_302600_NS6detail15normal_iteratorINSC_10device_ptrIKjEEEESI_EEEEESK_NSA_INS5_IJNSC_16discard_iteratorINSC_11use_defaultEEESN_EEEEEPS7_SQ_SQ_NSC_11hip_rocprim7__merge17predicate_wrapperIjjNSC_4lessIjEEEEEE10hipError_tPvRmT0_T1_T2_T3_T4_T5_mmT6_P12ihipStream_tbEUlT_E_NS1_11comp_targetILNS1_3genE3ELNS1_11target_archE908ELNS1_3gpuE7ELNS1_3repE0EEENS1_30default_config_static_selectorELNS0_4arch9wavefront6targetE0EEEvS11_
		.amdhsa_group_segment_fixed_size 0
		.amdhsa_private_segment_fixed_size 0
		.amdhsa_kernarg_size 64
		.amdhsa_user_sgpr_count 2
		.amdhsa_user_sgpr_dispatch_ptr 0
		.amdhsa_user_sgpr_queue_ptr 0
		.amdhsa_user_sgpr_kernarg_segment_ptr 1
		.amdhsa_user_sgpr_dispatch_id 0
		.amdhsa_user_sgpr_kernarg_preload_length 0
		.amdhsa_user_sgpr_kernarg_preload_offset 0
		.amdhsa_user_sgpr_private_segment_size 0
		.amdhsa_wavefront_size32 1
		.amdhsa_uses_dynamic_stack 0
		.amdhsa_enable_private_segment 0
		.amdhsa_system_sgpr_workgroup_id_x 1
		.amdhsa_system_sgpr_workgroup_id_y 0
		.amdhsa_system_sgpr_workgroup_id_z 0
		.amdhsa_system_sgpr_workgroup_info 0
		.amdhsa_system_vgpr_workitem_id 0
		.amdhsa_next_free_vgpr 1
		.amdhsa_next_free_sgpr 1
		.amdhsa_named_barrier_count 0
		.amdhsa_reserve_vcc 0
		.amdhsa_float_round_mode_32 0
		.amdhsa_float_round_mode_16_64 0
		.amdhsa_float_denorm_mode_32 3
		.amdhsa_float_denorm_mode_16_64 3
		.amdhsa_fp16_overflow 0
		.amdhsa_memory_ordered 1
		.amdhsa_forward_progress 1
		.amdhsa_inst_pref_size 0
		.amdhsa_round_robin_scheduling 0
		.amdhsa_exception_fp_ieee_invalid_op 0
		.amdhsa_exception_fp_denorm_src 0
		.amdhsa_exception_fp_ieee_div_zero 0
		.amdhsa_exception_fp_ieee_overflow 0
		.amdhsa_exception_fp_ieee_underflow 0
		.amdhsa_exception_fp_ieee_inexact 0
		.amdhsa_exception_int_div_zero 0
	.end_amdhsa_kernel
	.section	.text._ZN7rocprim17ROCPRIM_400000_NS6detail17trampoline_kernelINS0_14default_configENS1_21merge_config_selectorINS0_5tupleIJjjEEENS0_10empty_typeEEEZNS1_10merge_implIS3_NS0_12zip_iteratorINS5_IJN6thrust23THRUST_200600_302600_NS6detail15normal_iteratorINSC_10device_ptrIKjEEEESI_EEEEESK_NSA_INS5_IJNSC_16discard_iteratorINSC_11use_defaultEEESN_EEEEEPS7_SQ_SQ_NSC_11hip_rocprim7__merge17predicate_wrapperIjjNSC_4lessIjEEEEEE10hipError_tPvRmT0_T1_T2_T3_T4_T5_mmT6_P12ihipStream_tbEUlT_E_NS1_11comp_targetILNS1_3genE3ELNS1_11target_archE908ELNS1_3gpuE7ELNS1_3repE0EEENS1_30default_config_static_selectorELNS0_4arch9wavefront6targetE0EEEvS11_,"axG",@progbits,_ZN7rocprim17ROCPRIM_400000_NS6detail17trampoline_kernelINS0_14default_configENS1_21merge_config_selectorINS0_5tupleIJjjEEENS0_10empty_typeEEEZNS1_10merge_implIS3_NS0_12zip_iteratorINS5_IJN6thrust23THRUST_200600_302600_NS6detail15normal_iteratorINSC_10device_ptrIKjEEEESI_EEEEESK_NSA_INS5_IJNSC_16discard_iteratorINSC_11use_defaultEEESN_EEEEEPS7_SQ_SQ_NSC_11hip_rocprim7__merge17predicate_wrapperIjjNSC_4lessIjEEEEEE10hipError_tPvRmT0_T1_T2_T3_T4_T5_mmT6_P12ihipStream_tbEUlT_E_NS1_11comp_targetILNS1_3genE3ELNS1_11target_archE908ELNS1_3gpuE7ELNS1_3repE0EEENS1_30default_config_static_selectorELNS0_4arch9wavefront6targetE0EEEvS11_,comdat
.Lfunc_end536:
	.size	_ZN7rocprim17ROCPRIM_400000_NS6detail17trampoline_kernelINS0_14default_configENS1_21merge_config_selectorINS0_5tupleIJjjEEENS0_10empty_typeEEEZNS1_10merge_implIS3_NS0_12zip_iteratorINS5_IJN6thrust23THRUST_200600_302600_NS6detail15normal_iteratorINSC_10device_ptrIKjEEEESI_EEEEESK_NSA_INS5_IJNSC_16discard_iteratorINSC_11use_defaultEEESN_EEEEEPS7_SQ_SQ_NSC_11hip_rocprim7__merge17predicate_wrapperIjjNSC_4lessIjEEEEEE10hipError_tPvRmT0_T1_T2_T3_T4_T5_mmT6_P12ihipStream_tbEUlT_E_NS1_11comp_targetILNS1_3genE3ELNS1_11target_archE908ELNS1_3gpuE7ELNS1_3repE0EEENS1_30default_config_static_selectorELNS0_4arch9wavefront6targetE0EEEvS11_, .Lfunc_end536-_ZN7rocprim17ROCPRIM_400000_NS6detail17trampoline_kernelINS0_14default_configENS1_21merge_config_selectorINS0_5tupleIJjjEEENS0_10empty_typeEEEZNS1_10merge_implIS3_NS0_12zip_iteratorINS5_IJN6thrust23THRUST_200600_302600_NS6detail15normal_iteratorINSC_10device_ptrIKjEEEESI_EEEEESK_NSA_INS5_IJNSC_16discard_iteratorINSC_11use_defaultEEESN_EEEEEPS7_SQ_SQ_NSC_11hip_rocprim7__merge17predicate_wrapperIjjNSC_4lessIjEEEEEE10hipError_tPvRmT0_T1_T2_T3_T4_T5_mmT6_P12ihipStream_tbEUlT_E_NS1_11comp_targetILNS1_3genE3ELNS1_11target_archE908ELNS1_3gpuE7ELNS1_3repE0EEENS1_30default_config_static_selectorELNS0_4arch9wavefront6targetE0EEEvS11_
                                        ; -- End function
	.set _ZN7rocprim17ROCPRIM_400000_NS6detail17trampoline_kernelINS0_14default_configENS1_21merge_config_selectorINS0_5tupleIJjjEEENS0_10empty_typeEEEZNS1_10merge_implIS3_NS0_12zip_iteratorINS5_IJN6thrust23THRUST_200600_302600_NS6detail15normal_iteratorINSC_10device_ptrIKjEEEESI_EEEEESK_NSA_INS5_IJNSC_16discard_iteratorINSC_11use_defaultEEESN_EEEEEPS7_SQ_SQ_NSC_11hip_rocprim7__merge17predicate_wrapperIjjNSC_4lessIjEEEEEE10hipError_tPvRmT0_T1_T2_T3_T4_T5_mmT6_P12ihipStream_tbEUlT_E_NS1_11comp_targetILNS1_3genE3ELNS1_11target_archE908ELNS1_3gpuE7ELNS1_3repE0EEENS1_30default_config_static_selectorELNS0_4arch9wavefront6targetE0EEEvS11_.num_vgpr, 0
	.set _ZN7rocprim17ROCPRIM_400000_NS6detail17trampoline_kernelINS0_14default_configENS1_21merge_config_selectorINS0_5tupleIJjjEEENS0_10empty_typeEEEZNS1_10merge_implIS3_NS0_12zip_iteratorINS5_IJN6thrust23THRUST_200600_302600_NS6detail15normal_iteratorINSC_10device_ptrIKjEEEESI_EEEEESK_NSA_INS5_IJNSC_16discard_iteratorINSC_11use_defaultEEESN_EEEEEPS7_SQ_SQ_NSC_11hip_rocprim7__merge17predicate_wrapperIjjNSC_4lessIjEEEEEE10hipError_tPvRmT0_T1_T2_T3_T4_T5_mmT6_P12ihipStream_tbEUlT_E_NS1_11comp_targetILNS1_3genE3ELNS1_11target_archE908ELNS1_3gpuE7ELNS1_3repE0EEENS1_30default_config_static_selectorELNS0_4arch9wavefront6targetE0EEEvS11_.num_agpr, 0
	.set _ZN7rocprim17ROCPRIM_400000_NS6detail17trampoline_kernelINS0_14default_configENS1_21merge_config_selectorINS0_5tupleIJjjEEENS0_10empty_typeEEEZNS1_10merge_implIS3_NS0_12zip_iteratorINS5_IJN6thrust23THRUST_200600_302600_NS6detail15normal_iteratorINSC_10device_ptrIKjEEEESI_EEEEESK_NSA_INS5_IJNSC_16discard_iteratorINSC_11use_defaultEEESN_EEEEEPS7_SQ_SQ_NSC_11hip_rocprim7__merge17predicate_wrapperIjjNSC_4lessIjEEEEEE10hipError_tPvRmT0_T1_T2_T3_T4_T5_mmT6_P12ihipStream_tbEUlT_E_NS1_11comp_targetILNS1_3genE3ELNS1_11target_archE908ELNS1_3gpuE7ELNS1_3repE0EEENS1_30default_config_static_selectorELNS0_4arch9wavefront6targetE0EEEvS11_.numbered_sgpr, 0
	.set _ZN7rocprim17ROCPRIM_400000_NS6detail17trampoline_kernelINS0_14default_configENS1_21merge_config_selectorINS0_5tupleIJjjEEENS0_10empty_typeEEEZNS1_10merge_implIS3_NS0_12zip_iteratorINS5_IJN6thrust23THRUST_200600_302600_NS6detail15normal_iteratorINSC_10device_ptrIKjEEEESI_EEEEESK_NSA_INS5_IJNSC_16discard_iteratorINSC_11use_defaultEEESN_EEEEEPS7_SQ_SQ_NSC_11hip_rocprim7__merge17predicate_wrapperIjjNSC_4lessIjEEEEEE10hipError_tPvRmT0_T1_T2_T3_T4_T5_mmT6_P12ihipStream_tbEUlT_E_NS1_11comp_targetILNS1_3genE3ELNS1_11target_archE908ELNS1_3gpuE7ELNS1_3repE0EEENS1_30default_config_static_selectorELNS0_4arch9wavefront6targetE0EEEvS11_.num_named_barrier, 0
	.set _ZN7rocprim17ROCPRIM_400000_NS6detail17trampoline_kernelINS0_14default_configENS1_21merge_config_selectorINS0_5tupleIJjjEEENS0_10empty_typeEEEZNS1_10merge_implIS3_NS0_12zip_iteratorINS5_IJN6thrust23THRUST_200600_302600_NS6detail15normal_iteratorINSC_10device_ptrIKjEEEESI_EEEEESK_NSA_INS5_IJNSC_16discard_iteratorINSC_11use_defaultEEESN_EEEEEPS7_SQ_SQ_NSC_11hip_rocprim7__merge17predicate_wrapperIjjNSC_4lessIjEEEEEE10hipError_tPvRmT0_T1_T2_T3_T4_T5_mmT6_P12ihipStream_tbEUlT_E_NS1_11comp_targetILNS1_3genE3ELNS1_11target_archE908ELNS1_3gpuE7ELNS1_3repE0EEENS1_30default_config_static_selectorELNS0_4arch9wavefront6targetE0EEEvS11_.private_seg_size, 0
	.set _ZN7rocprim17ROCPRIM_400000_NS6detail17trampoline_kernelINS0_14default_configENS1_21merge_config_selectorINS0_5tupleIJjjEEENS0_10empty_typeEEEZNS1_10merge_implIS3_NS0_12zip_iteratorINS5_IJN6thrust23THRUST_200600_302600_NS6detail15normal_iteratorINSC_10device_ptrIKjEEEESI_EEEEESK_NSA_INS5_IJNSC_16discard_iteratorINSC_11use_defaultEEESN_EEEEEPS7_SQ_SQ_NSC_11hip_rocprim7__merge17predicate_wrapperIjjNSC_4lessIjEEEEEE10hipError_tPvRmT0_T1_T2_T3_T4_T5_mmT6_P12ihipStream_tbEUlT_E_NS1_11comp_targetILNS1_3genE3ELNS1_11target_archE908ELNS1_3gpuE7ELNS1_3repE0EEENS1_30default_config_static_selectorELNS0_4arch9wavefront6targetE0EEEvS11_.uses_vcc, 0
	.set _ZN7rocprim17ROCPRIM_400000_NS6detail17trampoline_kernelINS0_14default_configENS1_21merge_config_selectorINS0_5tupleIJjjEEENS0_10empty_typeEEEZNS1_10merge_implIS3_NS0_12zip_iteratorINS5_IJN6thrust23THRUST_200600_302600_NS6detail15normal_iteratorINSC_10device_ptrIKjEEEESI_EEEEESK_NSA_INS5_IJNSC_16discard_iteratorINSC_11use_defaultEEESN_EEEEEPS7_SQ_SQ_NSC_11hip_rocprim7__merge17predicate_wrapperIjjNSC_4lessIjEEEEEE10hipError_tPvRmT0_T1_T2_T3_T4_T5_mmT6_P12ihipStream_tbEUlT_E_NS1_11comp_targetILNS1_3genE3ELNS1_11target_archE908ELNS1_3gpuE7ELNS1_3repE0EEENS1_30default_config_static_selectorELNS0_4arch9wavefront6targetE0EEEvS11_.uses_flat_scratch, 0
	.set _ZN7rocprim17ROCPRIM_400000_NS6detail17trampoline_kernelINS0_14default_configENS1_21merge_config_selectorINS0_5tupleIJjjEEENS0_10empty_typeEEEZNS1_10merge_implIS3_NS0_12zip_iteratorINS5_IJN6thrust23THRUST_200600_302600_NS6detail15normal_iteratorINSC_10device_ptrIKjEEEESI_EEEEESK_NSA_INS5_IJNSC_16discard_iteratorINSC_11use_defaultEEESN_EEEEEPS7_SQ_SQ_NSC_11hip_rocprim7__merge17predicate_wrapperIjjNSC_4lessIjEEEEEE10hipError_tPvRmT0_T1_T2_T3_T4_T5_mmT6_P12ihipStream_tbEUlT_E_NS1_11comp_targetILNS1_3genE3ELNS1_11target_archE908ELNS1_3gpuE7ELNS1_3repE0EEENS1_30default_config_static_selectorELNS0_4arch9wavefront6targetE0EEEvS11_.has_dyn_sized_stack, 0
	.set _ZN7rocprim17ROCPRIM_400000_NS6detail17trampoline_kernelINS0_14default_configENS1_21merge_config_selectorINS0_5tupleIJjjEEENS0_10empty_typeEEEZNS1_10merge_implIS3_NS0_12zip_iteratorINS5_IJN6thrust23THRUST_200600_302600_NS6detail15normal_iteratorINSC_10device_ptrIKjEEEESI_EEEEESK_NSA_INS5_IJNSC_16discard_iteratorINSC_11use_defaultEEESN_EEEEEPS7_SQ_SQ_NSC_11hip_rocprim7__merge17predicate_wrapperIjjNSC_4lessIjEEEEEE10hipError_tPvRmT0_T1_T2_T3_T4_T5_mmT6_P12ihipStream_tbEUlT_E_NS1_11comp_targetILNS1_3genE3ELNS1_11target_archE908ELNS1_3gpuE7ELNS1_3repE0EEENS1_30default_config_static_selectorELNS0_4arch9wavefront6targetE0EEEvS11_.has_recursion, 0
	.set _ZN7rocprim17ROCPRIM_400000_NS6detail17trampoline_kernelINS0_14default_configENS1_21merge_config_selectorINS0_5tupleIJjjEEENS0_10empty_typeEEEZNS1_10merge_implIS3_NS0_12zip_iteratorINS5_IJN6thrust23THRUST_200600_302600_NS6detail15normal_iteratorINSC_10device_ptrIKjEEEESI_EEEEESK_NSA_INS5_IJNSC_16discard_iteratorINSC_11use_defaultEEESN_EEEEEPS7_SQ_SQ_NSC_11hip_rocprim7__merge17predicate_wrapperIjjNSC_4lessIjEEEEEE10hipError_tPvRmT0_T1_T2_T3_T4_T5_mmT6_P12ihipStream_tbEUlT_E_NS1_11comp_targetILNS1_3genE3ELNS1_11target_archE908ELNS1_3gpuE7ELNS1_3repE0EEENS1_30default_config_static_selectorELNS0_4arch9wavefront6targetE0EEEvS11_.has_indirect_call, 0
	.section	.AMDGPU.csdata,"",@progbits
; Kernel info:
; codeLenInByte = 0
; TotalNumSgprs: 0
; NumVgprs: 0
; ScratchSize: 0
; MemoryBound: 0
; FloatMode: 240
; IeeeMode: 1
; LDSByteSize: 0 bytes/workgroup (compile time only)
; SGPRBlocks: 0
; VGPRBlocks: 0
; NumSGPRsForWavesPerEU: 1
; NumVGPRsForWavesPerEU: 1
; NamedBarCnt: 0
; Occupancy: 16
; WaveLimiterHint : 0
; COMPUTE_PGM_RSRC2:SCRATCH_EN: 0
; COMPUTE_PGM_RSRC2:USER_SGPR: 2
; COMPUTE_PGM_RSRC2:TRAP_HANDLER: 0
; COMPUTE_PGM_RSRC2:TGID_X_EN: 1
; COMPUTE_PGM_RSRC2:TGID_Y_EN: 0
; COMPUTE_PGM_RSRC2:TGID_Z_EN: 0
; COMPUTE_PGM_RSRC2:TIDIG_COMP_CNT: 0
	.section	.text._ZN7rocprim17ROCPRIM_400000_NS6detail17trampoline_kernelINS0_14default_configENS1_21merge_config_selectorINS0_5tupleIJjjEEENS0_10empty_typeEEEZNS1_10merge_implIS3_NS0_12zip_iteratorINS5_IJN6thrust23THRUST_200600_302600_NS6detail15normal_iteratorINSC_10device_ptrIKjEEEESI_EEEEESK_NSA_INS5_IJNSC_16discard_iteratorINSC_11use_defaultEEESN_EEEEEPS7_SQ_SQ_NSC_11hip_rocprim7__merge17predicate_wrapperIjjNSC_4lessIjEEEEEE10hipError_tPvRmT0_T1_T2_T3_T4_T5_mmT6_P12ihipStream_tbEUlT_E_NS1_11comp_targetILNS1_3genE2ELNS1_11target_archE906ELNS1_3gpuE6ELNS1_3repE0EEENS1_30default_config_static_selectorELNS0_4arch9wavefront6targetE0EEEvS11_,"axG",@progbits,_ZN7rocprim17ROCPRIM_400000_NS6detail17trampoline_kernelINS0_14default_configENS1_21merge_config_selectorINS0_5tupleIJjjEEENS0_10empty_typeEEEZNS1_10merge_implIS3_NS0_12zip_iteratorINS5_IJN6thrust23THRUST_200600_302600_NS6detail15normal_iteratorINSC_10device_ptrIKjEEEESI_EEEEESK_NSA_INS5_IJNSC_16discard_iteratorINSC_11use_defaultEEESN_EEEEEPS7_SQ_SQ_NSC_11hip_rocprim7__merge17predicate_wrapperIjjNSC_4lessIjEEEEEE10hipError_tPvRmT0_T1_T2_T3_T4_T5_mmT6_P12ihipStream_tbEUlT_E_NS1_11comp_targetILNS1_3genE2ELNS1_11target_archE906ELNS1_3gpuE6ELNS1_3repE0EEENS1_30default_config_static_selectorELNS0_4arch9wavefront6targetE0EEEvS11_,comdat
	.protected	_ZN7rocprim17ROCPRIM_400000_NS6detail17trampoline_kernelINS0_14default_configENS1_21merge_config_selectorINS0_5tupleIJjjEEENS0_10empty_typeEEEZNS1_10merge_implIS3_NS0_12zip_iteratorINS5_IJN6thrust23THRUST_200600_302600_NS6detail15normal_iteratorINSC_10device_ptrIKjEEEESI_EEEEESK_NSA_INS5_IJNSC_16discard_iteratorINSC_11use_defaultEEESN_EEEEEPS7_SQ_SQ_NSC_11hip_rocprim7__merge17predicate_wrapperIjjNSC_4lessIjEEEEEE10hipError_tPvRmT0_T1_T2_T3_T4_T5_mmT6_P12ihipStream_tbEUlT_E_NS1_11comp_targetILNS1_3genE2ELNS1_11target_archE906ELNS1_3gpuE6ELNS1_3repE0EEENS1_30default_config_static_selectorELNS0_4arch9wavefront6targetE0EEEvS11_ ; -- Begin function _ZN7rocprim17ROCPRIM_400000_NS6detail17trampoline_kernelINS0_14default_configENS1_21merge_config_selectorINS0_5tupleIJjjEEENS0_10empty_typeEEEZNS1_10merge_implIS3_NS0_12zip_iteratorINS5_IJN6thrust23THRUST_200600_302600_NS6detail15normal_iteratorINSC_10device_ptrIKjEEEESI_EEEEESK_NSA_INS5_IJNSC_16discard_iteratorINSC_11use_defaultEEESN_EEEEEPS7_SQ_SQ_NSC_11hip_rocprim7__merge17predicate_wrapperIjjNSC_4lessIjEEEEEE10hipError_tPvRmT0_T1_T2_T3_T4_T5_mmT6_P12ihipStream_tbEUlT_E_NS1_11comp_targetILNS1_3genE2ELNS1_11target_archE906ELNS1_3gpuE6ELNS1_3repE0EEENS1_30default_config_static_selectorELNS0_4arch9wavefront6targetE0EEEvS11_
	.globl	_ZN7rocprim17ROCPRIM_400000_NS6detail17trampoline_kernelINS0_14default_configENS1_21merge_config_selectorINS0_5tupleIJjjEEENS0_10empty_typeEEEZNS1_10merge_implIS3_NS0_12zip_iteratorINS5_IJN6thrust23THRUST_200600_302600_NS6detail15normal_iteratorINSC_10device_ptrIKjEEEESI_EEEEESK_NSA_INS5_IJNSC_16discard_iteratorINSC_11use_defaultEEESN_EEEEEPS7_SQ_SQ_NSC_11hip_rocprim7__merge17predicate_wrapperIjjNSC_4lessIjEEEEEE10hipError_tPvRmT0_T1_T2_T3_T4_T5_mmT6_P12ihipStream_tbEUlT_E_NS1_11comp_targetILNS1_3genE2ELNS1_11target_archE906ELNS1_3gpuE6ELNS1_3repE0EEENS1_30default_config_static_selectorELNS0_4arch9wavefront6targetE0EEEvS11_
	.p2align	8
	.type	_ZN7rocprim17ROCPRIM_400000_NS6detail17trampoline_kernelINS0_14default_configENS1_21merge_config_selectorINS0_5tupleIJjjEEENS0_10empty_typeEEEZNS1_10merge_implIS3_NS0_12zip_iteratorINS5_IJN6thrust23THRUST_200600_302600_NS6detail15normal_iteratorINSC_10device_ptrIKjEEEESI_EEEEESK_NSA_INS5_IJNSC_16discard_iteratorINSC_11use_defaultEEESN_EEEEEPS7_SQ_SQ_NSC_11hip_rocprim7__merge17predicate_wrapperIjjNSC_4lessIjEEEEEE10hipError_tPvRmT0_T1_T2_T3_T4_T5_mmT6_P12ihipStream_tbEUlT_E_NS1_11comp_targetILNS1_3genE2ELNS1_11target_archE906ELNS1_3gpuE6ELNS1_3repE0EEENS1_30default_config_static_selectorELNS0_4arch9wavefront6targetE0EEEvS11_,@function
_ZN7rocprim17ROCPRIM_400000_NS6detail17trampoline_kernelINS0_14default_configENS1_21merge_config_selectorINS0_5tupleIJjjEEENS0_10empty_typeEEEZNS1_10merge_implIS3_NS0_12zip_iteratorINS5_IJN6thrust23THRUST_200600_302600_NS6detail15normal_iteratorINSC_10device_ptrIKjEEEESI_EEEEESK_NSA_INS5_IJNSC_16discard_iteratorINSC_11use_defaultEEESN_EEEEEPS7_SQ_SQ_NSC_11hip_rocprim7__merge17predicate_wrapperIjjNSC_4lessIjEEEEEE10hipError_tPvRmT0_T1_T2_T3_T4_T5_mmT6_P12ihipStream_tbEUlT_E_NS1_11comp_targetILNS1_3genE2ELNS1_11target_archE906ELNS1_3gpuE6ELNS1_3repE0EEENS1_30default_config_static_selectorELNS0_4arch9wavefront6targetE0EEEvS11_: ; @_ZN7rocprim17ROCPRIM_400000_NS6detail17trampoline_kernelINS0_14default_configENS1_21merge_config_selectorINS0_5tupleIJjjEEENS0_10empty_typeEEEZNS1_10merge_implIS3_NS0_12zip_iteratorINS5_IJN6thrust23THRUST_200600_302600_NS6detail15normal_iteratorINSC_10device_ptrIKjEEEESI_EEEEESK_NSA_INS5_IJNSC_16discard_iteratorINSC_11use_defaultEEESN_EEEEEPS7_SQ_SQ_NSC_11hip_rocprim7__merge17predicate_wrapperIjjNSC_4lessIjEEEEEE10hipError_tPvRmT0_T1_T2_T3_T4_T5_mmT6_P12ihipStream_tbEUlT_E_NS1_11comp_targetILNS1_3genE2ELNS1_11target_archE906ELNS1_3gpuE6ELNS1_3repE0EEENS1_30default_config_static_selectorELNS0_4arch9wavefront6targetE0EEEvS11_
; %bb.0:
	.section	.rodata,"a",@progbits
	.p2align	6, 0x0
	.amdhsa_kernel _ZN7rocprim17ROCPRIM_400000_NS6detail17trampoline_kernelINS0_14default_configENS1_21merge_config_selectorINS0_5tupleIJjjEEENS0_10empty_typeEEEZNS1_10merge_implIS3_NS0_12zip_iteratorINS5_IJN6thrust23THRUST_200600_302600_NS6detail15normal_iteratorINSC_10device_ptrIKjEEEESI_EEEEESK_NSA_INS5_IJNSC_16discard_iteratorINSC_11use_defaultEEESN_EEEEEPS7_SQ_SQ_NSC_11hip_rocprim7__merge17predicate_wrapperIjjNSC_4lessIjEEEEEE10hipError_tPvRmT0_T1_T2_T3_T4_T5_mmT6_P12ihipStream_tbEUlT_E_NS1_11comp_targetILNS1_3genE2ELNS1_11target_archE906ELNS1_3gpuE6ELNS1_3repE0EEENS1_30default_config_static_selectorELNS0_4arch9wavefront6targetE0EEEvS11_
		.amdhsa_group_segment_fixed_size 0
		.amdhsa_private_segment_fixed_size 0
		.amdhsa_kernarg_size 64
		.amdhsa_user_sgpr_count 2
		.amdhsa_user_sgpr_dispatch_ptr 0
		.amdhsa_user_sgpr_queue_ptr 0
		.amdhsa_user_sgpr_kernarg_segment_ptr 1
		.amdhsa_user_sgpr_dispatch_id 0
		.amdhsa_user_sgpr_kernarg_preload_length 0
		.amdhsa_user_sgpr_kernarg_preload_offset 0
		.amdhsa_user_sgpr_private_segment_size 0
		.amdhsa_wavefront_size32 1
		.amdhsa_uses_dynamic_stack 0
		.amdhsa_enable_private_segment 0
		.amdhsa_system_sgpr_workgroup_id_x 1
		.amdhsa_system_sgpr_workgroup_id_y 0
		.amdhsa_system_sgpr_workgroup_id_z 0
		.amdhsa_system_sgpr_workgroup_info 0
		.amdhsa_system_vgpr_workitem_id 0
		.amdhsa_next_free_vgpr 1
		.amdhsa_next_free_sgpr 1
		.amdhsa_named_barrier_count 0
		.amdhsa_reserve_vcc 0
		.amdhsa_float_round_mode_32 0
		.amdhsa_float_round_mode_16_64 0
		.amdhsa_float_denorm_mode_32 3
		.amdhsa_float_denorm_mode_16_64 3
		.amdhsa_fp16_overflow 0
		.amdhsa_memory_ordered 1
		.amdhsa_forward_progress 1
		.amdhsa_inst_pref_size 0
		.amdhsa_round_robin_scheduling 0
		.amdhsa_exception_fp_ieee_invalid_op 0
		.amdhsa_exception_fp_denorm_src 0
		.amdhsa_exception_fp_ieee_div_zero 0
		.amdhsa_exception_fp_ieee_overflow 0
		.amdhsa_exception_fp_ieee_underflow 0
		.amdhsa_exception_fp_ieee_inexact 0
		.amdhsa_exception_int_div_zero 0
	.end_amdhsa_kernel
	.section	.text._ZN7rocprim17ROCPRIM_400000_NS6detail17trampoline_kernelINS0_14default_configENS1_21merge_config_selectorINS0_5tupleIJjjEEENS0_10empty_typeEEEZNS1_10merge_implIS3_NS0_12zip_iteratorINS5_IJN6thrust23THRUST_200600_302600_NS6detail15normal_iteratorINSC_10device_ptrIKjEEEESI_EEEEESK_NSA_INS5_IJNSC_16discard_iteratorINSC_11use_defaultEEESN_EEEEEPS7_SQ_SQ_NSC_11hip_rocprim7__merge17predicate_wrapperIjjNSC_4lessIjEEEEEE10hipError_tPvRmT0_T1_T2_T3_T4_T5_mmT6_P12ihipStream_tbEUlT_E_NS1_11comp_targetILNS1_3genE2ELNS1_11target_archE906ELNS1_3gpuE6ELNS1_3repE0EEENS1_30default_config_static_selectorELNS0_4arch9wavefront6targetE0EEEvS11_,"axG",@progbits,_ZN7rocprim17ROCPRIM_400000_NS6detail17trampoline_kernelINS0_14default_configENS1_21merge_config_selectorINS0_5tupleIJjjEEENS0_10empty_typeEEEZNS1_10merge_implIS3_NS0_12zip_iteratorINS5_IJN6thrust23THRUST_200600_302600_NS6detail15normal_iteratorINSC_10device_ptrIKjEEEESI_EEEEESK_NSA_INS5_IJNSC_16discard_iteratorINSC_11use_defaultEEESN_EEEEEPS7_SQ_SQ_NSC_11hip_rocprim7__merge17predicate_wrapperIjjNSC_4lessIjEEEEEE10hipError_tPvRmT0_T1_T2_T3_T4_T5_mmT6_P12ihipStream_tbEUlT_E_NS1_11comp_targetILNS1_3genE2ELNS1_11target_archE906ELNS1_3gpuE6ELNS1_3repE0EEENS1_30default_config_static_selectorELNS0_4arch9wavefront6targetE0EEEvS11_,comdat
.Lfunc_end537:
	.size	_ZN7rocprim17ROCPRIM_400000_NS6detail17trampoline_kernelINS0_14default_configENS1_21merge_config_selectorINS0_5tupleIJjjEEENS0_10empty_typeEEEZNS1_10merge_implIS3_NS0_12zip_iteratorINS5_IJN6thrust23THRUST_200600_302600_NS6detail15normal_iteratorINSC_10device_ptrIKjEEEESI_EEEEESK_NSA_INS5_IJNSC_16discard_iteratorINSC_11use_defaultEEESN_EEEEEPS7_SQ_SQ_NSC_11hip_rocprim7__merge17predicate_wrapperIjjNSC_4lessIjEEEEEE10hipError_tPvRmT0_T1_T2_T3_T4_T5_mmT6_P12ihipStream_tbEUlT_E_NS1_11comp_targetILNS1_3genE2ELNS1_11target_archE906ELNS1_3gpuE6ELNS1_3repE0EEENS1_30default_config_static_selectorELNS0_4arch9wavefront6targetE0EEEvS11_, .Lfunc_end537-_ZN7rocprim17ROCPRIM_400000_NS6detail17trampoline_kernelINS0_14default_configENS1_21merge_config_selectorINS0_5tupleIJjjEEENS0_10empty_typeEEEZNS1_10merge_implIS3_NS0_12zip_iteratorINS5_IJN6thrust23THRUST_200600_302600_NS6detail15normal_iteratorINSC_10device_ptrIKjEEEESI_EEEEESK_NSA_INS5_IJNSC_16discard_iteratorINSC_11use_defaultEEESN_EEEEEPS7_SQ_SQ_NSC_11hip_rocprim7__merge17predicate_wrapperIjjNSC_4lessIjEEEEEE10hipError_tPvRmT0_T1_T2_T3_T4_T5_mmT6_P12ihipStream_tbEUlT_E_NS1_11comp_targetILNS1_3genE2ELNS1_11target_archE906ELNS1_3gpuE6ELNS1_3repE0EEENS1_30default_config_static_selectorELNS0_4arch9wavefront6targetE0EEEvS11_
                                        ; -- End function
	.set _ZN7rocprim17ROCPRIM_400000_NS6detail17trampoline_kernelINS0_14default_configENS1_21merge_config_selectorINS0_5tupleIJjjEEENS0_10empty_typeEEEZNS1_10merge_implIS3_NS0_12zip_iteratorINS5_IJN6thrust23THRUST_200600_302600_NS6detail15normal_iteratorINSC_10device_ptrIKjEEEESI_EEEEESK_NSA_INS5_IJNSC_16discard_iteratorINSC_11use_defaultEEESN_EEEEEPS7_SQ_SQ_NSC_11hip_rocprim7__merge17predicate_wrapperIjjNSC_4lessIjEEEEEE10hipError_tPvRmT0_T1_T2_T3_T4_T5_mmT6_P12ihipStream_tbEUlT_E_NS1_11comp_targetILNS1_3genE2ELNS1_11target_archE906ELNS1_3gpuE6ELNS1_3repE0EEENS1_30default_config_static_selectorELNS0_4arch9wavefront6targetE0EEEvS11_.num_vgpr, 0
	.set _ZN7rocprim17ROCPRIM_400000_NS6detail17trampoline_kernelINS0_14default_configENS1_21merge_config_selectorINS0_5tupleIJjjEEENS0_10empty_typeEEEZNS1_10merge_implIS3_NS0_12zip_iteratorINS5_IJN6thrust23THRUST_200600_302600_NS6detail15normal_iteratorINSC_10device_ptrIKjEEEESI_EEEEESK_NSA_INS5_IJNSC_16discard_iteratorINSC_11use_defaultEEESN_EEEEEPS7_SQ_SQ_NSC_11hip_rocprim7__merge17predicate_wrapperIjjNSC_4lessIjEEEEEE10hipError_tPvRmT0_T1_T2_T3_T4_T5_mmT6_P12ihipStream_tbEUlT_E_NS1_11comp_targetILNS1_3genE2ELNS1_11target_archE906ELNS1_3gpuE6ELNS1_3repE0EEENS1_30default_config_static_selectorELNS0_4arch9wavefront6targetE0EEEvS11_.num_agpr, 0
	.set _ZN7rocprim17ROCPRIM_400000_NS6detail17trampoline_kernelINS0_14default_configENS1_21merge_config_selectorINS0_5tupleIJjjEEENS0_10empty_typeEEEZNS1_10merge_implIS3_NS0_12zip_iteratorINS5_IJN6thrust23THRUST_200600_302600_NS6detail15normal_iteratorINSC_10device_ptrIKjEEEESI_EEEEESK_NSA_INS5_IJNSC_16discard_iteratorINSC_11use_defaultEEESN_EEEEEPS7_SQ_SQ_NSC_11hip_rocprim7__merge17predicate_wrapperIjjNSC_4lessIjEEEEEE10hipError_tPvRmT0_T1_T2_T3_T4_T5_mmT6_P12ihipStream_tbEUlT_E_NS1_11comp_targetILNS1_3genE2ELNS1_11target_archE906ELNS1_3gpuE6ELNS1_3repE0EEENS1_30default_config_static_selectorELNS0_4arch9wavefront6targetE0EEEvS11_.numbered_sgpr, 0
	.set _ZN7rocprim17ROCPRIM_400000_NS6detail17trampoline_kernelINS0_14default_configENS1_21merge_config_selectorINS0_5tupleIJjjEEENS0_10empty_typeEEEZNS1_10merge_implIS3_NS0_12zip_iteratorINS5_IJN6thrust23THRUST_200600_302600_NS6detail15normal_iteratorINSC_10device_ptrIKjEEEESI_EEEEESK_NSA_INS5_IJNSC_16discard_iteratorINSC_11use_defaultEEESN_EEEEEPS7_SQ_SQ_NSC_11hip_rocprim7__merge17predicate_wrapperIjjNSC_4lessIjEEEEEE10hipError_tPvRmT0_T1_T2_T3_T4_T5_mmT6_P12ihipStream_tbEUlT_E_NS1_11comp_targetILNS1_3genE2ELNS1_11target_archE906ELNS1_3gpuE6ELNS1_3repE0EEENS1_30default_config_static_selectorELNS0_4arch9wavefront6targetE0EEEvS11_.num_named_barrier, 0
	.set _ZN7rocprim17ROCPRIM_400000_NS6detail17trampoline_kernelINS0_14default_configENS1_21merge_config_selectorINS0_5tupleIJjjEEENS0_10empty_typeEEEZNS1_10merge_implIS3_NS0_12zip_iteratorINS5_IJN6thrust23THRUST_200600_302600_NS6detail15normal_iteratorINSC_10device_ptrIKjEEEESI_EEEEESK_NSA_INS5_IJNSC_16discard_iteratorINSC_11use_defaultEEESN_EEEEEPS7_SQ_SQ_NSC_11hip_rocprim7__merge17predicate_wrapperIjjNSC_4lessIjEEEEEE10hipError_tPvRmT0_T1_T2_T3_T4_T5_mmT6_P12ihipStream_tbEUlT_E_NS1_11comp_targetILNS1_3genE2ELNS1_11target_archE906ELNS1_3gpuE6ELNS1_3repE0EEENS1_30default_config_static_selectorELNS0_4arch9wavefront6targetE0EEEvS11_.private_seg_size, 0
	.set _ZN7rocprim17ROCPRIM_400000_NS6detail17trampoline_kernelINS0_14default_configENS1_21merge_config_selectorINS0_5tupleIJjjEEENS0_10empty_typeEEEZNS1_10merge_implIS3_NS0_12zip_iteratorINS5_IJN6thrust23THRUST_200600_302600_NS6detail15normal_iteratorINSC_10device_ptrIKjEEEESI_EEEEESK_NSA_INS5_IJNSC_16discard_iteratorINSC_11use_defaultEEESN_EEEEEPS7_SQ_SQ_NSC_11hip_rocprim7__merge17predicate_wrapperIjjNSC_4lessIjEEEEEE10hipError_tPvRmT0_T1_T2_T3_T4_T5_mmT6_P12ihipStream_tbEUlT_E_NS1_11comp_targetILNS1_3genE2ELNS1_11target_archE906ELNS1_3gpuE6ELNS1_3repE0EEENS1_30default_config_static_selectorELNS0_4arch9wavefront6targetE0EEEvS11_.uses_vcc, 0
	.set _ZN7rocprim17ROCPRIM_400000_NS6detail17trampoline_kernelINS0_14default_configENS1_21merge_config_selectorINS0_5tupleIJjjEEENS0_10empty_typeEEEZNS1_10merge_implIS3_NS0_12zip_iteratorINS5_IJN6thrust23THRUST_200600_302600_NS6detail15normal_iteratorINSC_10device_ptrIKjEEEESI_EEEEESK_NSA_INS5_IJNSC_16discard_iteratorINSC_11use_defaultEEESN_EEEEEPS7_SQ_SQ_NSC_11hip_rocprim7__merge17predicate_wrapperIjjNSC_4lessIjEEEEEE10hipError_tPvRmT0_T1_T2_T3_T4_T5_mmT6_P12ihipStream_tbEUlT_E_NS1_11comp_targetILNS1_3genE2ELNS1_11target_archE906ELNS1_3gpuE6ELNS1_3repE0EEENS1_30default_config_static_selectorELNS0_4arch9wavefront6targetE0EEEvS11_.uses_flat_scratch, 0
	.set _ZN7rocprim17ROCPRIM_400000_NS6detail17trampoline_kernelINS0_14default_configENS1_21merge_config_selectorINS0_5tupleIJjjEEENS0_10empty_typeEEEZNS1_10merge_implIS3_NS0_12zip_iteratorINS5_IJN6thrust23THRUST_200600_302600_NS6detail15normal_iteratorINSC_10device_ptrIKjEEEESI_EEEEESK_NSA_INS5_IJNSC_16discard_iteratorINSC_11use_defaultEEESN_EEEEEPS7_SQ_SQ_NSC_11hip_rocprim7__merge17predicate_wrapperIjjNSC_4lessIjEEEEEE10hipError_tPvRmT0_T1_T2_T3_T4_T5_mmT6_P12ihipStream_tbEUlT_E_NS1_11comp_targetILNS1_3genE2ELNS1_11target_archE906ELNS1_3gpuE6ELNS1_3repE0EEENS1_30default_config_static_selectorELNS0_4arch9wavefront6targetE0EEEvS11_.has_dyn_sized_stack, 0
	.set _ZN7rocprim17ROCPRIM_400000_NS6detail17trampoline_kernelINS0_14default_configENS1_21merge_config_selectorINS0_5tupleIJjjEEENS0_10empty_typeEEEZNS1_10merge_implIS3_NS0_12zip_iteratorINS5_IJN6thrust23THRUST_200600_302600_NS6detail15normal_iteratorINSC_10device_ptrIKjEEEESI_EEEEESK_NSA_INS5_IJNSC_16discard_iteratorINSC_11use_defaultEEESN_EEEEEPS7_SQ_SQ_NSC_11hip_rocprim7__merge17predicate_wrapperIjjNSC_4lessIjEEEEEE10hipError_tPvRmT0_T1_T2_T3_T4_T5_mmT6_P12ihipStream_tbEUlT_E_NS1_11comp_targetILNS1_3genE2ELNS1_11target_archE906ELNS1_3gpuE6ELNS1_3repE0EEENS1_30default_config_static_selectorELNS0_4arch9wavefront6targetE0EEEvS11_.has_recursion, 0
	.set _ZN7rocprim17ROCPRIM_400000_NS6detail17trampoline_kernelINS0_14default_configENS1_21merge_config_selectorINS0_5tupleIJjjEEENS0_10empty_typeEEEZNS1_10merge_implIS3_NS0_12zip_iteratorINS5_IJN6thrust23THRUST_200600_302600_NS6detail15normal_iteratorINSC_10device_ptrIKjEEEESI_EEEEESK_NSA_INS5_IJNSC_16discard_iteratorINSC_11use_defaultEEESN_EEEEEPS7_SQ_SQ_NSC_11hip_rocprim7__merge17predicate_wrapperIjjNSC_4lessIjEEEEEE10hipError_tPvRmT0_T1_T2_T3_T4_T5_mmT6_P12ihipStream_tbEUlT_E_NS1_11comp_targetILNS1_3genE2ELNS1_11target_archE906ELNS1_3gpuE6ELNS1_3repE0EEENS1_30default_config_static_selectorELNS0_4arch9wavefront6targetE0EEEvS11_.has_indirect_call, 0
	.section	.AMDGPU.csdata,"",@progbits
; Kernel info:
; codeLenInByte = 0
; TotalNumSgprs: 0
; NumVgprs: 0
; ScratchSize: 0
; MemoryBound: 0
; FloatMode: 240
; IeeeMode: 1
; LDSByteSize: 0 bytes/workgroup (compile time only)
; SGPRBlocks: 0
; VGPRBlocks: 0
; NumSGPRsForWavesPerEU: 1
; NumVGPRsForWavesPerEU: 1
; NamedBarCnt: 0
; Occupancy: 16
; WaveLimiterHint : 0
; COMPUTE_PGM_RSRC2:SCRATCH_EN: 0
; COMPUTE_PGM_RSRC2:USER_SGPR: 2
; COMPUTE_PGM_RSRC2:TRAP_HANDLER: 0
; COMPUTE_PGM_RSRC2:TGID_X_EN: 1
; COMPUTE_PGM_RSRC2:TGID_Y_EN: 0
; COMPUTE_PGM_RSRC2:TGID_Z_EN: 0
; COMPUTE_PGM_RSRC2:TIDIG_COMP_CNT: 0
	.section	.text._ZN7rocprim17ROCPRIM_400000_NS6detail17trampoline_kernelINS0_14default_configENS1_21merge_config_selectorINS0_5tupleIJjjEEENS0_10empty_typeEEEZNS1_10merge_implIS3_NS0_12zip_iteratorINS5_IJN6thrust23THRUST_200600_302600_NS6detail15normal_iteratorINSC_10device_ptrIKjEEEESI_EEEEESK_NSA_INS5_IJNSC_16discard_iteratorINSC_11use_defaultEEESN_EEEEEPS7_SQ_SQ_NSC_11hip_rocprim7__merge17predicate_wrapperIjjNSC_4lessIjEEEEEE10hipError_tPvRmT0_T1_T2_T3_T4_T5_mmT6_P12ihipStream_tbEUlT_E_NS1_11comp_targetILNS1_3genE10ELNS1_11target_archE1201ELNS1_3gpuE5ELNS1_3repE0EEENS1_30default_config_static_selectorELNS0_4arch9wavefront6targetE0EEEvS11_,"axG",@progbits,_ZN7rocprim17ROCPRIM_400000_NS6detail17trampoline_kernelINS0_14default_configENS1_21merge_config_selectorINS0_5tupleIJjjEEENS0_10empty_typeEEEZNS1_10merge_implIS3_NS0_12zip_iteratorINS5_IJN6thrust23THRUST_200600_302600_NS6detail15normal_iteratorINSC_10device_ptrIKjEEEESI_EEEEESK_NSA_INS5_IJNSC_16discard_iteratorINSC_11use_defaultEEESN_EEEEEPS7_SQ_SQ_NSC_11hip_rocprim7__merge17predicate_wrapperIjjNSC_4lessIjEEEEEE10hipError_tPvRmT0_T1_T2_T3_T4_T5_mmT6_P12ihipStream_tbEUlT_E_NS1_11comp_targetILNS1_3genE10ELNS1_11target_archE1201ELNS1_3gpuE5ELNS1_3repE0EEENS1_30default_config_static_selectorELNS0_4arch9wavefront6targetE0EEEvS11_,comdat
	.protected	_ZN7rocprim17ROCPRIM_400000_NS6detail17trampoline_kernelINS0_14default_configENS1_21merge_config_selectorINS0_5tupleIJjjEEENS0_10empty_typeEEEZNS1_10merge_implIS3_NS0_12zip_iteratorINS5_IJN6thrust23THRUST_200600_302600_NS6detail15normal_iteratorINSC_10device_ptrIKjEEEESI_EEEEESK_NSA_INS5_IJNSC_16discard_iteratorINSC_11use_defaultEEESN_EEEEEPS7_SQ_SQ_NSC_11hip_rocprim7__merge17predicate_wrapperIjjNSC_4lessIjEEEEEE10hipError_tPvRmT0_T1_T2_T3_T4_T5_mmT6_P12ihipStream_tbEUlT_E_NS1_11comp_targetILNS1_3genE10ELNS1_11target_archE1201ELNS1_3gpuE5ELNS1_3repE0EEENS1_30default_config_static_selectorELNS0_4arch9wavefront6targetE0EEEvS11_ ; -- Begin function _ZN7rocprim17ROCPRIM_400000_NS6detail17trampoline_kernelINS0_14default_configENS1_21merge_config_selectorINS0_5tupleIJjjEEENS0_10empty_typeEEEZNS1_10merge_implIS3_NS0_12zip_iteratorINS5_IJN6thrust23THRUST_200600_302600_NS6detail15normal_iteratorINSC_10device_ptrIKjEEEESI_EEEEESK_NSA_INS5_IJNSC_16discard_iteratorINSC_11use_defaultEEESN_EEEEEPS7_SQ_SQ_NSC_11hip_rocprim7__merge17predicate_wrapperIjjNSC_4lessIjEEEEEE10hipError_tPvRmT0_T1_T2_T3_T4_T5_mmT6_P12ihipStream_tbEUlT_E_NS1_11comp_targetILNS1_3genE10ELNS1_11target_archE1201ELNS1_3gpuE5ELNS1_3repE0EEENS1_30default_config_static_selectorELNS0_4arch9wavefront6targetE0EEEvS11_
	.globl	_ZN7rocprim17ROCPRIM_400000_NS6detail17trampoline_kernelINS0_14default_configENS1_21merge_config_selectorINS0_5tupleIJjjEEENS0_10empty_typeEEEZNS1_10merge_implIS3_NS0_12zip_iteratorINS5_IJN6thrust23THRUST_200600_302600_NS6detail15normal_iteratorINSC_10device_ptrIKjEEEESI_EEEEESK_NSA_INS5_IJNSC_16discard_iteratorINSC_11use_defaultEEESN_EEEEEPS7_SQ_SQ_NSC_11hip_rocprim7__merge17predicate_wrapperIjjNSC_4lessIjEEEEEE10hipError_tPvRmT0_T1_T2_T3_T4_T5_mmT6_P12ihipStream_tbEUlT_E_NS1_11comp_targetILNS1_3genE10ELNS1_11target_archE1201ELNS1_3gpuE5ELNS1_3repE0EEENS1_30default_config_static_selectorELNS0_4arch9wavefront6targetE0EEEvS11_
	.p2align	8
	.type	_ZN7rocprim17ROCPRIM_400000_NS6detail17trampoline_kernelINS0_14default_configENS1_21merge_config_selectorINS0_5tupleIJjjEEENS0_10empty_typeEEEZNS1_10merge_implIS3_NS0_12zip_iteratorINS5_IJN6thrust23THRUST_200600_302600_NS6detail15normal_iteratorINSC_10device_ptrIKjEEEESI_EEEEESK_NSA_INS5_IJNSC_16discard_iteratorINSC_11use_defaultEEESN_EEEEEPS7_SQ_SQ_NSC_11hip_rocprim7__merge17predicate_wrapperIjjNSC_4lessIjEEEEEE10hipError_tPvRmT0_T1_T2_T3_T4_T5_mmT6_P12ihipStream_tbEUlT_E_NS1_11comp_targetILNS1_3genE10ELNS1_11target_archE1201ELNS1_3gpuE5ELNS1_3repE0EEENS1_30default_config_static_selectorELNS0_4arch9wavefront6targetE0EEEvS11_,@function
_ZN7rocprim17ROCPRIM_400000_NS6detail17trampoline_kernelINS0_14default_configENS1_21merge_config_selectorINS0_5tupleIJjjEEENS0_10empty_typeEEEZNS1_10merge_implIS3_NS0_12zip_iteratorINS5_IJN6thrust23THRUST_200600_302600_NS6detail15normal_iteratorINSC_10device_ptrIKjEEEESI_EEEEESK_NSA_INS5_IJNSC_16discard_iteratorINSC_11use_defaultEEESN_EEEEEPS7_SQ_SQ_NSC_11hip_rocprim7__merge17predicate_wrapperIjjNSC_4lessIjEEEEEE10hipError_tPvRmT0_T1_T2_T3_T4_T5_mmT6_P12ihipStream_tbEUlT_E_NS1_11comp_targetILNS1_3genE10ELNS1_11target_archE1201ELNS1_3gpuE5ELNS1_3repE0EEENS1_30default_config_static_selectorELNS0_4arch9wavefront6targetE0EEEvS11_: ; @_ZN7rocprim17ROCPRIM_400000_NS6detail17trampoline_kernelINS0_14default_configENS1_21merge_config_selectorINS0_5tupleIJjjEEENS0_10empty_typeEEEZNS1_10merge_implIS3_NS0_12zip_iteratorINS5_IJN6thrust23THRUST_200600_302600_NS6detail15normal_iteratorINSC_10device_ptrIKjEEEESI_EEEEESK_NSA_INS5_IJNSC_16discard_iteratorINSC_11use_defaultEEESN_EEEEEPS7_SQ_SQ_NSC_11hip_rocprim7__merge17predicate_wrapperIjjNSC_4lessIjEEEEEE10hipError_tPvRmT0_T1_T2_T3_T4_T5_mmT6_P12ihipStream_tbEUlT_E_NS1_11comp_targetILNS1_3genE10ELNS1_11target_archE1201ELNS1_3gpuE5ELNS1_3repE0EEENS1_30default_config_static_selectorELNS0_4arch9wavefront6targetE0EEEvS11_
; %bb.0:
	.section	.rodata,"a",@progbits
	.p2align	6, 0x0
	.amdhsa_kernel _ZN7rocprim17ROCPRIM_400000_NS6detail17trampoline_kernelINS0_14default_configENS1_21merge_config_selectorINS0_5tupleIJjjEEENS0_10empty_typeEEEZNS1_10merge_implIS3_NS0_12zip_iteratorINS5_IJN6thrust23THRUST_200600_302600_NS6detail15normal_iteratorINSC_10device_ptrIKjEEEESI_EEEEESK_NSA_INS5_IJNSC_16discard_iteratorINSC_11use_defaultEEESN_EEEEEPS7_SQ_SQ_NSC_11hip_rocprim7__merge17predicate_wrapperIjjNSC_4lessIjEEEEEE10hipError_tPvRmT0_T1_T2_T3_T4_T5_mmT6_P12ihipStream_tbEUlT_E_NS1_11comp_targetILNS1_3genE10ELNS1_11target_archE1201ELNS1_3gpuE5ELNS1_3repE0EEENS1_30default_config_static_selectorELNS0_4arch9wavefront6targetE0EEEvS11_
		.amdhsa_group_segment_fixed_size 0
		.amdhsa_private_segment_fixed_size 0
		.amdhsa_kernarg_size 64
		.amdhsa_user_sgpr_count 2
		.amdhsa_user_sgpr_dispatch_ptr 0
		.amdhsa_user_sgpr_queue_ptr 0
		.amdhsa_user_sgpr_kernarg_segment_ptr 1
		.amdhsa_user_sgpr_dispatch_id 0
		.amdhsa_user_sgpr_kernarg_preload_length 0
		.amdhsa_user_sgpr_kernarg_preload_offset 0
		.amdhsa_user_sgpr_private_segment_size 0
		.amdhsa_wavefront_size32 1
		.amdhsa_uses_dynamic_stack 0
		.amdhsa_enable_private_segment 0
		.amdhsa_system_sgpr_workgroup_id_x 1
		.amdhsa_system_sgpr_workgroup_id_y 0
		.amdhsa_system_sgpr_workgroup_id_z 0
		.amdhsa_system_sgpr_workgroup_info 0
		.amdhsa_system_vgpr_workitem_id 0
		.amdhsa_next_free_vgpr 1
		.amdhsa_next_free_sgpr 1
		.amdhsa_named_barrier_count 0
		.amdhsa_reserve_vcc 0
		.amdhsa_float_round_mode_32 0
		.amdhsa_float_round_mode_16_64 0
		.amdhsa_float_denorm_mode_32 3
		.amdhsa_float_denorm_mode_16_64 3
		.amdhsa_fp16_overflow 0
		.amdhsa_memory_ordered 1
		.amdhsa_forward_progress 1
		.amdhsa_inst_pref_size 0
		.amdhsa_round_robin_scheduling 0
		.amdhsa_exception_fp_ieee_invalid_op 0
		.amdhsa_exception_fp_denorm_src 0
		.amdhsa_exception_fp_ieee_div_zero 0
		.amdhsa_exception_fp_ieee_overflow 0
		.amdhsa_exception_fp_ieee_underflow 0
		.amdhsa_exception_fp_ieee_inexact 0
		.amdhsa_exception_int_div_zero 0
	.end_amdhsa_kernel
	.section	.text._ZN7rocprim17ROCPRIM_400000_NS6detail17trampoline_kernelINS0_14default_configENS1_21merge_config_selectorINS0_5tupleIJjjEEENS0_10empty_typeEEEZNS1_10merge_implIS3_NS0_12zip_iteratorINS5_IJN6thrust23THRUST_200600_302600_NS6detail15normal_iteratorINSC_10device_ptrIKjEEEESI_EEEEESK_NSA_INS5_IJNSC_16discard_iteratorINSC_11use_defaultEEESN_EEEEEPS7_SQ_SQ_NSC_11hip_rocprim7__merge17predicate_wrapperIjjNSC_4lessIjEEEEEE10hipError_tPvRmT0_T1_T2_T3_T4_T5_mmT6_P12ihipStream_tbEUlT_E_NS1_11comp_targetILNS1_3genE10ELNS1_11target_archE1201ELNS1_3gpuE5ELNS1_3repE0EEENS1_30default_config_static_selectorELNS0_4arch9wavefront6targetE0EEEvS11_,"axG",@progbits,_ZN7rocprim17ROCPRIM_400000_NS6detail17trampoline_kernelINS0_14default_configENS1_21merge_config_selectorINS0_5tupleIJjjEEENS0_10empty_typeEEEZNS1_10merge_implIS3_NS0_12zip_iteratorINS5_IJN6thrust23THRUST_200600_302600_NS6detail15normal_iteratorINSC_10device_ptrIKjEEEESI_EEEEESK_NSA_INS5_IJNSC_16discard_iteratorINSC_11use_defaultEEESN_EEEEEPS7_SQ_SQ_NSC_11hip_rocprim7__merge17predicate_wrapperIjjNSC_4lessIjEEEEEE10hipError_tPvRmT0_T1_T2_T3_T4_T5_mmT6_P12ihipStream_tbEUlT_E_NS1_11comp_targetILNS1_3genE10ELNS1_11target_archE1201ELNS1_3gpuE5ELNS1_3repE0EEENS1_30default_config_static_selectorELNS0_4arch9wavefront6targetE0EEEvS11_,comdat
.Lfunc_end538:
	.size	_ZN7rocprim17ROCPRIM_400000_NS6detail17trampoline_kernelINS0_14default_configENS1_21merge_config_selectorINS0_5tupleIJjjEEENS0_10empty_typeEEEZNS1_10merge_implIS3_NS0_12zip_iteratorINS5_IJN6thrust23THRUST_200600_302600_NS6detail15normal_iteratorINSC_10device_ptrIKjEEEESI_EEEEESK_NSA_INS5_IJNSC_16discard_iteratorINSC_11use_defaultEEESN_EEEEEPS7_SQ_SQ_NSC_11hip_rocprim7__merge17predicate_wrapperIjjNSC_4lessIjEEEEEE10hipError_tPvRmT0_T1_T2_T3_T4_T5_mmT6_P12ihipStream_tbEUlT_E_NS1_11comp_targetILNS1_3genE10ELNS1_11target_archE1201ELNS1_3gpuE5ELNS1_3repE0EEENS1_30default_config_static_selectorELNS0_4arch9wavefront6targetE0EEEvS11_, .Lfunc_end538-_ZN7rocprim17ROCPRIM_400000_NS6detail17trampoline_kernelINS0_14default_configENS1_21merge_config_selectorINS0_5tupleIJjjEEENS0_10empty_typeEEEZNS1_10merge_implIS3_NS0_12zip_iteratorINS5_IJN6thrust23THRUST_200600_302600_NS6detail15normal_iteratorINSC_10device_ptrIKjEEEESI_EEEEESK_NSA_INS5_IJNSC_16discard_iteratorINSC_11use_defaultEEESN_EEEEEPS7_SQ_SQ_NSC_11hip_rocprim7__merge17predicate_wrapperIjjNSC_4lessIjEEEEEE10hipError_tPvRmT0_T1_T2_T3_T4_T5_mmT6_P12ihipStream_tbEUlT_E_NS1_11comp_targetILNS1_3genE10ELNS1_11target_archE1201ELNS1_3gpuE5ELNS1_3repE0EEENS1_30default_config_static_selectorELNS0_4arch9wavefront6targetE0EEEvS11_
                                        ; -- End function
	.set _ZN7rocprim17ROCPRIM_400000_NS6detail17trampoline_kernelINS0_14default_configENS1_21merge_config_selectorINS0_5tupleIJjjEEENS0_10empty_typeEEEZNS1_10merge_implIS3_NS0_12zip_iteratorINS5_IJN6thrust23THRUST_200600_302600_NS6detail15normal_iteratorINSC_10device_ptrIKjEEEESI_EEEEESK_NSA_INS5_IJNSC_16discard_iteratorINSC_11use_defaultEEESN_EEEEEPS7_SQ_SQ_NSC_11hip_rocprim7__merge17predicate_wrapperIjjNSC_4lessIjEEEEEE10hipError_tPvRmT0_T1_T2_T3_T4_T5_mmT6_P12ihipStream_tbEUlT_E_NS1_11comp_targetILNS1_3genE10ELNS1_11target_archE1201ELNS1_3gpuE5ELNS1_3repE0EEENS1_30default_config_static_selectorELNS0_4arch9wavefront6targetE0EEEvS11_.num_vgpr, 0
	.set _ZN7rocprim17ROCPRIM_400000_NS6detail17trampoline_kernelINS0_14default_configENS1_21merge_config_selectorINS0_5tupleIJjjEEENS0_10empty_typeEEEZNS1_10merge_implIS3_NS0_12zip_iteratorINS5_IJN6thrust23THRUST_200600_302600_NS6detail15normal_iteratorINSC_10device_ptrIKjEEEESI_EEEEESK_NSA_INS5_IJNSC_16discard_iteratorINSC_11use_defaultEEESN_EEEEEPS7_SQ_SQ_NSC_11hip_rocprim7__merge17predicate_wrapperIjjNSC_4lessIjEEEEEE10hipError_tPvRmT0_T1_T2_T3_T4_T5_mmT6_P12ihipStream_tbEUlT_E_NS1_11comp_targetILNS1_3genE10ELNS1_11target_archE1201ELNS1_3gpuE5ELNS1_3repE0EEENS1_30default_config_static_selectorELNS0_4arch9wavefront6targetE0EEEvS11_.num_agpr, 0
	.set _ZN7rocprim17ROCPRIM_400000_NS6detail17trampoline_kernelINS0_14default_configENS1_21merge_config_selectorINS0_5tupleIJjjEEENS0_10empty_typeEEEZNS1_10merge_implIS3_NS0_12zip_iteratorINS5_IJN6thrust23THRUST_200600_302600_NS6detail15normal_iteratorINSC_10device_ptrIKjEEEESI_EEEEESK_NSA_INS5_IJNSC_16discard_iteratorINSC_11use_defaultEEESN_EEEEEPS7_SQ_SQ_NSC_11hip_rocprim7__merge17predicate_wrapperIjjNSC_4lessIjEEEEEE10hipError_tPvRmT0_T1_T2_T3_T4_T5_mmT6_P12ihipStream_tbEUlT_E_NS1_11comp_targetILNS1_3genE10ELNS1_11target_archE1201ELNS1_3gpuE5ELNS1_3repE0EEENS1_30default_config_static_selectorELNS0_4arch9wavefront6targetE0EEEvS11_.numbered_sgpr, 0
	.set _ZN7rocprim17ROCPRIM_400000_NS6detail17trampoline_kernelINS0_14default_configENS1_21merge_config_selectorINS0_5tupleIJjjEEENS0_10empty_typeEEEZNS1_10merge_implIS3_NS0_12zip_iteratorINS5_IJN6thrust23THRUST_200600_302600_NS6detail15normal_iteratorINSC_10device_ptrIKjEEEESI_EEEEESK_NSA_INS5_IJNSC_16discard_iteratorINSC_11use_defaultEEESN_EEEEEPS7_SQ_SQ_NSC_11hip_rocprim7__merge17predicate_wrapperIjjNSC_4lessIjEEEEEE10hipError_tPvRmT0_T1_T2_T3_T4_T5_mmT6_P12ihipStream_tbEUlT_E_NS1_11comp_targetILNS1_3genE10ELNS1_11target_archE1201ELNS1_3gpuE5ELNS1_3repE0EEENS1_30default_config_static_selectorELNS0_4arch9wavefront6targetE0EEEvS11_.num_named_barrier, 0
	.set _ZN7rocprim17ROCPRIM_400000_NS6detail17trampoline_kernelINS0_14default_configENS1_21merge_config_selectorINS0_5tupleIJjjEEENS0_10empty_typeEEEZNS1_10merge_implIS3_NS0_12zip_iteratorINS5_IJN6thrust23THRUST_200600_302600_NS6detail15normal_iteratorINSC_10device_ptrIKjEEEESI_EEEEESK_NSA_INS5_IJNSC_16discard_iteratorINSC_11use_defaultEEESN_EEEEEPS7_SQ_SQ_NSC_11hip_rocprim7__merge17predicate_wrapperIjjNSC_4lessIjEEEEEE10hipError_tPvRmT0_T1_T2_T3_T4_T5_mmT6_P12ihipStream_tbEUlT_E_NS1_11comp_targetILNS1_3genE10ELNS1_11target_archE1201ELNS1_3gpuE5ELNS1_3repE0EEENS1_30default_config_static_selectorELNS0_4arch9wavefront6targetE0EEEvS11_.private_seg_size, 0
	.set _ZN7rocprim17ROCPRIM_400000_NS6detail17trampoline_kernelINS0_14default_configENS1_21merge_config_selectorINS0_5tupleIJjjEEENS0_10empty_typeEEEZNS1_10merge_implIS3_NS0_12zip_iteratorINS5_IJN6thrust23THRUST_200600_302600_NS6detail15normal_iteratorINSC_10device_ptrIKjEEEESI_EEEEESK_NSA_INS5_IJNSC_16discard_iteratorINSC_11use_defaultEEESN_EEEEEPS7_SQ_SQ_NSC_11hip_rocprim7__merge17predicate_wrapperIjjNSC_4lessIjEEEEEE10hipError_tPvRmT0_T1_T2_T3_T4_T5_mmT6_P12ihipStream_tbEUlT_E_NS1_11comp_targetILNS1_3genE10ELNS1_11target_archE1201ELNS1_3gpuE5ELNS1_3repE0EEENS1_30default_config_static_selectorELNS0_4arch9wavefront6targetE0EEEvS11_.uses_vcc, 0
	.set _ZN7rocprim17ROCPRIM_400000_NS6detail17trampoline_kernelINS0_14default_configENS1_21merge_config_selectorINS0_5tupleIJjjEEENS0_10empty_typeEEEZNS1_10merge_implIS3_NS0_12zip_iteratorINS5_IJN6thrust23THRUST_200600_302600_NS6detail15normal_iteratorINSC_10device_ptrIKjEEEESI_EEEEESK_NSA_INS5_IJNSC_16discard_iteratorINSC_11use_defaultEEESN_EEEEEPS7_SQ_SQ_NSC_11hip_rocprim7__merge17predicate_wrapperIjjNSC_4lessIjEEEEEE10hipError_tPvRmT0_T1_T2_T3_T4_T5_mmT6_P12ihipStream_tbEUlT_E_NS1_11comp_targetILNS1_3genE10ELNS1_11target_archE1201ELNS1_3gpuE5ELNS1_3repE0EEENS1_30default_config_static_selectorELNS0_4arch9wavefront6targetE0EEEvS11_.uses_flat_scratch, 0
	.set _ZN7rocprim17ROCPRIM_400000_NS6detail17trampoline_kernelINS0_14default_configENS1_21merge_config_selectorINS0_5tupleIJjjEEENS0_10empty_typeEEEZNS1_10merge_implIS3_NS0_12zip_iteratorINS5_IJN6thrust23THRUST_200600_302600_NS6detail15normal_iteratorINSC_10device_ptrIKjEEEESI_EEEEESK_NSA_INS5_IJNSC_16discard_iteratorINSC_11use_defaultEEESN_EEEEEPS7_SQ_SQ_NSC_11hip_rocprim7__merge17predicate_wrapperIjjNSC_4lessIjEEEEEE10hipError_tPvRmT0_T1_T2_T3_T4_T5_mmT6_P12ihipStream_tbEUlT_E_NS1_11comp_targetILNS1_3genE10ELNS1_11target_archE1201ELNS1_3gpuE5ELNS1_3repE0EEENS1_30default_config_static_selectorELNS0_4arch9wavefront6targetE0EEEvS11_.has_dyn_sized_stack, 0
	.set _ZN7rocprim17ROCPRIM_400000_NS6detail17trampoline_kernelINS0_14default_configENS1_21merge_config_selectorINS0_5tupleIJjjEEENS0_10empty_typeEEEZNS1_10merge_implIS3_NS0_12zip_iteratorINS5_IJN6thrust23THRUST_200600_302600_NS6detail15normal_iteratorINSC_10device_ptrIKjEEEESI_EEEEESK_NSA_INS5_IJNSC_16discard_iteratorINSC_11use_defaultEEESN_EEEEEPS7_SQ_SQ_NSC_11hip_rocprim7__merge17predicate_wrapperIjjNSC_4lessIjEEEEEE10hipError_tPvRmT0_T1_T2_T3_T4_T5_mmT6_P12ihipStream_tbEUlT_E_NS1_11comp_targetILNS1_3genE10ELNS1_11target_archE1201ELNS1_3gpuE5ELNS1_3repE0EEENS1_30default_config_static_selectorELNS0_4arch9wavefront6targetE0EEEvS11_.has_recursion, 0
	.set _ZN7rocprim17ROCPRIM_400000_NS6detail17trampoline_kernelINS0_14default_configENS1_21merge_config_selectorINS0_5tupleIJjjEEENS0_10empty_typeEEEZNS1_10merge_implIS3_NS0_12zip_iteratorINS5_IJN6thrust23THRUST_200600_302600_NS6detail15normal_iteratorINSC_10device_ptrIKjEEEESI_EEEEESK_NSA_INS5_IJNSC_16discard_iteratorINSC_11use_defaultEEESN_EEEEEPS7_SQ_SQ_NSC_11hip_rocprim7__merge17predicate_wrapperIjjNSC_4lessIjEEEEEE10hipError_tPvRmT0_T1_T2_T3_T4_T5_mmT6_P12ihipStream_tbEUlT_E_NS1_11comp_targetILNS1_3genE10ELNS1_11target_archE1201ELNS1_3gpuE5ELNS1_3repE0EEENS1_30default_config_static_selectorELNS0_4arch9wavefront6targetE0EEEvS11_.has_indirect_call, 0
	.section	.AMDGPU.csdata,"",@progbits
; Kernel info:
; codeLenInByte = 0
; TotalNumSgprs: 0
; NumVgprs: 0
; ScratchSize: 0
; MemoryBound: 0
; FloatMode: 240
; IeeeMode: 1
; LDSByteSize: 0 bytes/workgroup (compile time only)
; SGPRBlocks: 0
; VGPRBlocks: 0
; NumSGPRsForWavesPerEU: 1
; NumVGPRsForWavesPerEU: 1
; NamedBarCnt: 0
; Occupancy: 16
; WaveLimiterHint : 0
; COMPUTE_PGM_RSRC2:SCRATCH_EN: 0
; COMPUTE_PGM_RSRC2:USER_SGPR: 2
; COMPUTE_PGM_RSRC2:TRAP_HANDLER: 0
; COMPUTE_PGM_RSRC2:TGID_X_EN: 1
; COMPUTE_PGM_RSRC2:TGID_Y_EN: 0
; COMPUTE_PGM_RSRC2:TGID_Z_EN: 0
; COMPUTE_PGM_RSRC2:TIDIG_COMP_CNT: 0
	.section	.text._ZN7rocprim17ROCPRIM_400000_NS6detail17trampoline_kernelINS0_14default_configENS1_21merge_config_selectorINS0_5tupleIJjjEEENS0_10empty_typeEEEZNS1_10merge_implIS3_NS0_12zip_iteratorINS5_IJN6thrust23THRUST_200600_302600_NS6detail15normal_iteratorINSC_10device_ptrIKjEEEESI_EEEEESK_NSA_INS5_IJNSC_16discard_iteratorINSC_11use_defaultEEESN_EEEEEPS7_SQ_SQ_NSC_11hip_rocprim7__merge17predicate_wrapperIjjNSC_4lessIjEEEEEE10hipError_tPvRmT0_T1_T2_T3_T4_T5_mmT6_P12ihipStream_tbEUlT_E_NS1_11comp_targetILNS1_3genE10ELNS1_11target_archE1200ELNS1_3gpuE4ELNS1_3repE0EEENS1_30default_config_static_selectorELNS0_4arch9wavefront6targetE0EEEvS11_,"axG",@progbits,_ZN7rocprim17ROCPRIM_400000_NS6detail17trampoline_kernelINS0_14default_configENS1_21merge_config_selectorINS0_5tupleIJjjEEENS0_10empty_typeEEEZNS1_10merge_implIS3_NS0_12zip_iteratorINS5_IJN6thrust23THRUST_200600_302600_NS6detail15normal_iteratorINSC_10device_ptrIKjEEEESI_EEEEESK_NSA_INS5_IJNSC_16discard_iteratorINSC_11use_defaultEEESN_EEEEEPS7_SQ_SQ_NSC_11hip_rocprim7__merge17predicate_wrapperIjjNSC_4lessIjEEEEEE10hipError_tPvRmT0_T1_T2_T3_T4_T5_mmT6_P12ihipStream_tbEUlT_E_NS1_11comp_targetILNS1_3genE10ELNS1_11target_archE1200ELNS1_3gpuE4ELNS1_3repE0EEENS1_30default_config_static_selectorELNS0_4arch9wavefront6targetE0EEEvS11_,comdat
	.protected	_ZN7rocprim17ROCPRIM_400000_NS6detail17trampoline_kernelINS0_14default_configENS1_21merge_config_selectorINS0_5tupleIJjjEEENS0_10empty_typeEEEZNS1_10merge_implIS3_NS0_12zip_iteratorINS5_IJN6thrust23THRUST_200600_302600_NS6detail15normal_iteratorINSC_10device_ptrIKjEEEESI_EEEEESK_NSA_INS5_IJNSC_16discard_iteratorINSC_11use_defaultEEESN_EEEEEPS7_SQ_SQ_NSC_11hip_rocprim7__merge17predicate_wrapperIjjNSC_4lessIjEEEEEE10hipError_tPvRmT0_T1_T2_T3_T4_T5_mmT6_P12ihipStream_tbEUlT_E_NS1_11comp_targetILNS1_3genE10ELNS1_11target_archE1200ELNS1_3gpuE4ELNS1_3repE0EEENS1_30default_config_static_selectorELNS0_4arch9wavefront6targetE0EEEvS11_ ; -- Begin function _ZN7rocprim17ROCPRIM_400000_NS6detail17trampoline_kernelINS0_14default_configENS1_21merge_config_selectorINS0_5tupleIJjjEEENS0_10empty_typeEEEZNS1_10merge_implIS3_NS0_12zip_iteratorINS5_IJN6thrust23THRUST_200600_302600_NS6detail15normal_iteratorINSC_10device_ptrIKjEEEESI_EEEEESK_NSA_INS5_IJNSC_16discard_iteratorINSC_11use_defaultEEESN_EEEEEPS7_SQ_SQ_NSC_11hip_rocprim7__merge17predicate_wrapperIjjNSC_4lessIjEEEEEE10hipError_tPvRmT0_T1_T2_T3_T4_T5_mmT6_P12ihipStream_tbEUlT_E_NS1_11comp_targetILNS1_3genE10ELNS1_11target_archE1200ELNS1_3gpuE4ELNS1_3repE0EEENS1_30default_config_static_selectorELNS0_4arch9wavefront6targetE0EEEvS11_
	.globl	_ZN7rocprim17ROCPRIM_400000_NS6detail17trampoline_kernelINS0_14default_configENS1_21merge_config_selectorINS0_5tupleIJjjEEENS0_10empty_typeEEEZNS1_10merge_implIS3_NS0_12zip_iteratorINS5_IJN6thrust23THRUST_200600_302600_NS6detail15normal_iteratorINSC_10device_ptrIKjEEEESI_EEEEESK_NSA_INS5_IJNSC_16discard_iteratorINSC_11use_defaultEEESN_EEEEEPS7_SQ_SQ_NSC_11hip_rocprim7__merge17predicate_wrapperIjjNSC_4lessIjEEEEEE10hipError_tPvRmT0_T1_T2_T3_T4_T5_mmT6_P12ihipStream_tbEUlT_E_NS1_11comp_targetILNS1_3genE10ELNS1_11target_archE1200ELNS1_3gpuE4ELNS1_3repE0EEENS1_30default_config_static_selectorELNS0_4arch9wavefront6targetE0EEEvS11_
	.p2align	8
	.type	_ZN7rocprim17ROCPRIM_400000_NS6detail17trampoline_kernelINS0_14default_configENS1_21merge_config_selectorINS0_5tupleIJjjEEENS0_10empty_typeEEEZNS1_10merge_implIS3_NS0_12zip_iteratorINS5_IJN6thrust23THRUST_200600_302600_NS6detail15normal_iteratorINSC_10device_ptrIKjEEEESI_EEEEESK_NSA_INS5_IJNSC_16discard_iteratorINSC_11use_defaultEEESN_EEEEEPS7_SQ_SQ_NSC_11hip_rocprim7__merge17predicate_wrapperIjjNSC_4lessIjEEEEEE10hipError_tPvRmT0_T1_T2_T3_T4_T5_mmT6_P12ihipStream_tbEUlT_E_NS1_11comp_targetILNS1_3genE10ELNS1_11target_archE1200ELNS1_3gpuE4ELNS1_3repE0EEENS1_30default_config_static_selectorELNS0_4arch9wavefront6targetE0EEEvS11_,@function
_ZN7rocprim17ROCPRIM_400000_NS6detail17trampoline_kernelINS0_14default_configENS1_21merge_config_selectorINS0_5tupleIJjjEEENS0_10empty_typeEEEZNS1_10merge_implIS3_NS0_12zip_iteratorINS5_IJN6thrust23THRUST_200600_302600_NS6detail15normal_iteratorINSC_10device_ptrIKjEEEESI_EEEEESK_NSA_INS5_IJNSC_16discard_iteratorINSC_11use_defaultEEESN_EEEEEPS7_SQ_SQ_NSC_11hip_rocprim7__merge17predicate_wrapperIjjNSC_4lessIjEEEEEE10hipError_tPvRmT0_T1_T2_T3_T4_T5_mmT6_P12ihipStream_tbEUlT_E_NS1_11comp_targetILNS1_3genE10ELNS1_11target_archE1200ELNS1_3gpuE4ELNS1_3repE0EEENS1_30default_config_static_selectorELNS0_4arch9wavefront6targetE0EEEvS11_: ; @_ZN7rocprim17ROCPRIM_400000_NS6detail17trampoline_kernelINS0_14default_configENS1_21merge_config_selectorINS0_5tupleIJjjEEENS0_10empty_typeEEEZNS1_10merge_implIS3_NS0_12zip_iteratorINS5_IJN6thrust23THRUST_200600_302600_NS6detail15normal_iteratorINSC_10device_ptrIKjEEEESI_EEEEESK_NSA_INS5_IJNSC_16discard_iteratorINSC_11use_defaultEEESN_EEEEEPS7_SQ_SQ_NSC_11hip_rocprim7__merge17predicate_wrapperIjjNSC_4lessIjEEEEEE10hipError_tPvRmT0_T1_T2_T3_T4_T5_mmT6_P12ihipStream_tbEUlT_E_NS1_11comp_targetILNS1_3genE10ELNS1_11target_archE1200ELNS1_3gpuE4ELNS1_3repE0EEENS1_30default_config_static_selectorELNS0_4arch9wavefront6targetE0EEEvS11_
; %bb.0:
	.section	.rodata,"a",@progbits
	.p2align	6, 0x0
	.amdhsa_kernel _ZN7rocprim17ROCPRIM_400000_NS6detail17trampoline_kernelINS0_14default_configENS1_21merge_config_selectorINS0_5tupleIJjjEEENS0_10empty_typeEEEZNS1_10merge_implIS3_NS0_12zip_iteratorINS5_IJN6thrust23THRUST_200600_302600_NS6detail15normal_iteratorINSC_10device_ptrIKjEEEESI_EEEEESK_NSA_INS5_IJNSC_16discard_iteratorINSC_11use_defaultEEESN_EEEEEPS7_SQ_SQ_NSC_11hip_rocprim7__merge17predicate_wrapperIjjNSC_4lessIjEEEEEE10hipError_tPvRmT0_T1_T2_T3_T4_T5_mmT6_P12ihipStream_tbEUlT_E_NS1_11comp_targetILNS1_3genE10ELNS1_11target_archE1200ELNS1_3gpuE4ELNS1_3repE0EEENS1_30default_config_static_selectorELNS0_4arch9wavefront6targetE0EEEvS11_
		.amdhsa_group_segment_fixed_size 0
		.amdhsa_private_segment_fixed_size 0
		.amdhsa_kernarg_size 64
		.amdhsa_user_sgpr_count 2
		.amdhsa_user_sgpr_dispatch_ptr 0
		.amdhsa_user_sgpr_queue_ptr 0
		.amdhsa_user_sgpr_kernarg_segment_ptr 1
		.amdhsa_user_sgpr_dispatch_id 0
		.amdhsa_user_sgpr_kernarg_preload_length 0
		.amdhsa_user_sgpr_kernarg_preload_offset 0
		.amdhsa_user_sgpr_private_segment_size 0
		.amdhsa_wavefront_size32 1
		.amdhsa_uses_dynamic_stack 0
		.amdhsa_enable_private_segment 0
		.amdhsa_system_sgpr_workgroup_id_x 1
		.amdhsa_system_sgpr_workgroup_id_y 0
		.amdhsa_system_sgpr_workgroup_id_z 0
		.amdhsa_system_sgpr_workgroup_info 0
		.amdhsa_system_vgpr_workitem_id 0
		.amdhsa_next_free_vgpr 1
		.amdhsa_next_free_sgpr 1
		.amdhsa_named_barrier_count 0
		.amdhsa_reserve_vcc 0
		.amdhsa_float_round_mode_32 0
		.amdhsa_float_round_mode_16_64 0
		.amdhsa_float_denorm_mode_32 3
		.amdhsa_float_denorm_mode_16_64 3
		.amdhsa_fp16_overflow 0
		.amdhsa_memory_ordered 1
		.amdhsa_forward_progress 1
		.amdhsa_inst_pref_size 0
		.amdhsa_round_robin_scheduling 0
		.amdhsa_exception_fp_ieee_invalid_op 0
		.amdhsa_exception_fp_denorm_src 0
		.amdhsa_exception_fp_ieee_div_zero 0
		.amdhsa_exception_fp_ieee_overflow 0
		.amdhsa_exception_fp_ieee_underflow 0
		.amdhsa_exception_fp_ieee_inexact 0
		.amdhsa_exception_int_div_zero 0
	.end_amdhsa_kernel
	.section	.text._ZN7rocprim17ROCPRIM_400000_NS6detail17trampoline_kernelINS0_14default_configENS1_21merge_config_selectorINS0_5tupleIJjjEEENS0_10empty_typeEEEZNS1_10merge_implIS3_NS0_12zip_iteratorINS5_IJN6thrust23THRUST_200600_302600_NS6detail15normal_iteratorINSC_10device_ptrIKjEEEESI_EEEEESK_NSA_INS5_IJNSC_16discard_iteratorINSC_11use_defaultEEESN_EEEEEPS7_SQ_SQ_NSC_11hip_rocprim7__merge17predicate_wrapperIjjNSC_4lessIjEEEEEE10hipError_tPvRmT0_T1_T2_T3_T4_T5_mmT6_P12ihipStream_tbEUlT_E_NS1_11comp_targetILNS1_3genE10ELNS1_11target_archE1200ELNS1_3gpuE4ELNS1_3repE0EEENS1_30default_config_static_selectorELNS0_4arch9wavefront6targetE0EEEvS11_,"axG",@progbits,_ZN7rocprim17ROCPRIM_400000_NS6detail17trampoline_kernelINS0_14default_configENS1_21merge_config_selectorINS0_5tupleIJjjEEENS0_10empty_typeEEEZNS1_10merge_implIS3_NS0_12zip_iteratorINS5_IJN6thrust23THRUST_200600_302600_NS6detail15normal_iteratorINSC_10device_ptrIKjEEEESI_EEEEESK_NSA_INS5_IJNSC_16discard_iteratorINSC_11use_defaultEEESN_EEEEEPS7_SQ_SQ_NSC_11hip_rocprim7__merge17predicate_wrapperIjjNSC_4lessIjEEEEEE10hipError_tPvRmT0_T1_T2_T3_T4_T5_mmT6_P12ihipStream_tbEUlT_E_NS1_11comp_targetILNS1_3genE10ELNS1_11target_archE1200ELNS1_3gpuE4ELNS1_3repE0EEENS1_30default_config_static_selectorELNS0_4arch9wavefront6targetE0EEEvS11_,comdat
.Lfunc_end539:
	.size	_ZN7rocprim17ROCPRIM_400000_NS6detail17trampoline_kernelINS0_14default_configENS1_21merge_config_selectorINS0_5tupleIJjjEEENS0_10empty_typeEEEZNS1_10merge_implIS3_NS0_12zip_iteratorINS5_IJN6thrust23THRUST_200600_302600_NS6detail15normal_iteratorINSC_10device_ptrIKjEEEESI_EEEEESK_NSA_INS5_IJNSC_16discard_iteratorINSC_11use_defaultEEESN_EEEEEPS7_SQ_SQ_NSC_11hip_rocprim7__merge17predicate_wrapperIjjNSC_4lessIjEEEEEE10hipError_tPvRmT0_T1_T2_T3_T4_T5_mmT6_P12ihipStream_tbEUlT_E_NS1_11comp_targetILNS1_3genE10ELNS1_11target_archE1200ELNS1_3gpuE4ELNS1_3repE0EEENS1_30default_config_static_selectorELNS0_4arch9wavefront6targetE0EEEvS11_, .Lfunc_end539-_ZN7rocprim17ROCPRIM_400000_NS6detail17trampoline_kernelINS0_14default_configENS1_21merge_config_selectorINS0_5tupleIJjjEEENS0_10empty_typeEEEZNS1_10merge_implIS3_NS0_12zip_iteratorINS5_IJN6thrust23THRUST_200600_302600_NS6detail15normal_iteratorINSC_10device_ptrIKjEEEESI_EEEEESK_NSA_INS5_IJNSC_16discard_iteratorINSC_11use_defaultEEESN_EEEEEPS7_SQ_SQ_NSC_11hip_rocprim7__merge17predicate_wrapperIjjNSC_4lessIjEEEEEE10hipError_tPvRmT0_T1_T2_T3_T4_T5_mmT6_P12ihipStream_tbEUlT_E_NS1_11comp_targetILNS1_3genE10ELNS1_11target_archE1200ELNS1_3gpuE4ELNS1_3repE0EEENS1_30default_config_static_selectorELNS0_4arch9wavefront6targetE0EEEvS11_
                                        ; -- End function
	.set _ZN7rocprim17ROCPRIM_400000_NS6detail17trampoline_kernelINS0_14default_configENS1_21merge_config_selectorINS0_5tupleIJjjEEENS0_10empty_typeEEEZNS1_10merge_implIS3_NS0_12zip_iteratorINS5_IJN6thrust23THRUST_200600_302600_NS6detail15normal_iteratorINSC_10device_ptrIKjEEEESI_EEEEESK_NSA_INS5_IJNSC_16discard_iteratorINSC_11use_defaultEEESN_EEEEEPS7_SQ_SQ_NSC_11hip_rocprim7__merge17predicate_wrapperIjjNSC_4lessIjEEEEEE10hipError_tPvRmT0_T1_T2_T3_T4_T5_mmT6_P12ihipStream_tbEUlT_E_NS1_11comp_targetILNS1_3genE10ELNS1_11target_archE1200ELNS1_3gpuE4ELNS1_3repE0EEENS1_30default_config_static_selectorELNS0_4arch9wavefront6targetE0EEEvS11_.num_vgpr, 0
	.set _ZN7rocprim17ROCPRIM_400000_NS6detail17trampoline_kernelINS0_14default_configENS1_21merge_config_selectorINS0_5tupleIJjjEEENS0_10empty_typeEEEZNS1_10merge_implIS3_NS0_12zip_iteratorINS5_IJN6thrust23THRUST_200600_302600_NS6detail15normal_iteratorINSC_10device_ptrIKjEEEESI_EEEEESK_NSA_INS5_IJNSC_16discard_iteratorINSC_11use_defaultEEESN_EEEEEPS7_SQ_SQ_NSC_11hip_rocprim7__merge17predicate_wrapperIjjNSC_4lessIjEEEEEE10hipError_tPvRmT0_T1_T2_T3_T4_T5_mmT6_P12ihipStream_tbEUlT_E_NS1_11comp_targetILNS1_3genE10ELNS1_11target_archE1200ELNS1_3gpuE4ELNS1_3repE0EEENS1_30default_config_static_selectorELNS0_4arch9wavefront6targetE0EEEvS11_.num_agpr, 0
	.set _ZN7rocprim17ROCPRIM_400000_NS6detail17trampoline_kernelINS0_14default_configENS1_21merge_config_selectorINS0_5tupleIJjjEEENS0_10empty_typeEEEZNS1_10merge_implIS3_NS0_12zip_iteratorINS5_IJN6thrust23THRUST_200600_302600_NS6detail15normal_iteratorINSC_10device_ptrIKjEEEESI_EEEEESK_NSA_INS5_IJNSC_16discard_iteratorINSC_11use_defaultEEESN_EEEEEPS7_SQ_SQ_NSC_11hip_rocprim7__merge17predicate_wrapperIjjNSC_4lessIjEEEEEE10hipError_tPvRmT0_T1_T2_T3_T4_T5_mmT6_P12ihipStream_tbEUlT_E_NS1_11comp_targetILNS1_3genE10ELNS1_11target_archE1200ELNS1_3gpuE4ELNS1_3repE0EEENS1_30default_config_static_selectorELNS0_4arch9wavefront6targetE0EEEvS11_.numbered_sgpr, 0
	.set _ZN7rocprim17ROCPRIM_400000_NS6detail17trampoline_kernelINS0_14default_configENS1_21merge_config_selectorINS0_5tupleIJjjEEENS0_10empty_typeEEEZNS1_10merge_implIS3_NS0_12zip_iteratorINS5_IJN6thrust23THRUST_200600_302600_NS6detail15normal_iteratorINSC_10device_ptrIKjEEEESI_EEEEESK_NSA_INS5_IJNSC_16discard_iteratorINSC_11use_defaultEEESN_EEEEEPS7_SQ_SQ_NSC_11hip_rocprim7__merge17predicate_wrapperIjjNSC_4lessIjEEEEEE10hipError_tPvRmT0_T1_T2_T3_T4_T5_mmT6_P12ihipStream_tbEUlT_E_NS1_11comp_targetILNS1_3genE10ELNS1_11target_archE1200ELNS1_3gpuE4ELNS1_3repE0EEENS1_30default_config_static_selectorELNS0_4arch9wavefront6targetE0EEEvS11_.num_named_barrier, 0
	.set _ZN7rocprim17ROCPRIM_400000_NS6detail17trampoline_kernelINS0_14default_configENS1_21merge_config_selectorINS0_5tupleIJjjEEENS0_10empty_typeEEEZNS1_10merge_implIS3_NS0_12zip_iteratorINS5_IJN6thrust23THRUST_200600_302600_NS6detail15normal_iteratorINSC_10device_ptrIKjEEEESI_EEEEESK_NSA_INS5_IJNSC_16discard_iteratorINSC_11use_defaultEEESN_EEEEEPS7_SQ_SQ_NSC_11hip_rocprim7__merge17predicate_wrapperIjjNSC_4lessIjEEEEEE10hipError_tPvRmT0_T1_T2_T3_T4_T5_mmT6_P12ihipStream_tbEUlT_E_NS1_11comp_targetILNS1_3genE10ELNS1_11target_archE1200ELNS1_3gpuE4ELNS1_3repE0EEENS1_30default_config_static_selectorELNS0_4arch9wavefront6targetE0EEEvS11_.private_seg_size, 0
	.set _ZN7rocprim17ROCPRIM_400000_NS6detail17trampoline_kernelINS0_14default_configENS1_21merge_config_selectorINS0_5tupleIJjjEEENS0_10empty_typeEEEZNS1_10merge_implIS3_NS0_12zip_iteratorINS5_IJN6thrust23THRUST_200600_302600_NS6detail15normal_iteratorINSC_10device_ptrIKjEEEESI_EEEEESK_NSA_INS5_IJNSC_16discard_iteratorINSC_11use_defaultEEESN_EEEEEPS7_SQ_SQ_NSC_11hip_rocprim7__merge17predicate_wrapperIjjNSC_4lessIjEEEEEE10hipError_tPvRmT0_T1_T2_T3_T4_T5_mmT6_P12ihipStream_tbEUlT_E_NS1_11comp_targetILNS1_3genE10ELNS1_11target_archE1200ELNS1_3gpuE4ELNS1_3repE0EEENS1_30default_config_static_selectorELNS0_4arch9wavefront6targetE0EEEvS11_.uses_vcc, 0
	.set _ZN7rocprim17ROCPRIM_400000_NS6detail17trampoline_kernelINS0_14default_configENS1_21merge_config_selectorINS0_5tupleIJjjEEENS0_10empty_typeEEEZNS1_10merge_implIS3_NS0_12zip_iteratorINS5_IJN6thrust23THRUST_200600_302600_NS6detail15normal_iteratorINSC_10device_ptrIKjEEEESI_EEEEESK_NSA_INS5_IJNSC_16discard_iteratorINSC_11use_defaultEEESN_EEEEEPS7_SQ_SQ_NSC_11hip_rocprim7__merge17predicate_wrapperIjjNSC_4lessIjEEEEEE10hipError_tPvRmT0_T1_T2_T3_T4_T5_mmT6_P12ihipStream_tbEUlT_E_NS1_11comp_targetILNS1_3genE10ELNS1_11target_archE1200ELNS1_3gpuE4ELNS1_3repE0EEENS1_30default_config_static_selectorELNS0_4arch9wavefront6targetE0EEEvS11_.uses_flat_scratch, 0
	.set _ZN7rocprim17ROCPRIM_400000_NS6detail17trampoline_kernelINS0_14default_configENS1_21merge_config_selectorINS0_5tupleIJjjEEENS0_10empty_typeEEEZNS1_10merge_implIS3_NS0_12zip_iteratorINS5_IJN6thrust23THRUST_200600_302600_NS6detail15normal_iteratorINSC_10device_ptrIKjEEEESI_EEEEESK_NSA_INS5_IJNSC_16discard_iteratorINSC_11use_defaultEEESN_EEEEEPS7_SQ_SQ_NSC_11hip_rocprim7__merge17predicate_wrapperIjjNSC_4lessIjEEEEEE10hipError_tPvRmT0_T1_T2_T3_T4_T5_mmT6_P12ihipStream_tbEUlT_E_NS1_11comp_targetILNS1_3genE10ELNS1_11target_archE1200ELNS1_3gpuE4ELNS1_3repE0EEENS1_30default_config_static_selectorELNS0_4arch9wavefront6targetE0EEEvS11_.has_dyn_sized_stack, 0
	.set _ZN7rocprim17ROCPRIM_400000_NS6detail17trampoline_kernelINS0_14default_configENS1_21merge_config_selectorINS0_5tupleIJjjEEENS0_10empty_typeEEEZNS1_10merge_implIS3_NS0_12zip_iteratorINS5_IJN6thrust23THRUST_200600_302600_NS6detail15normal_iteratorINSC_10device_ptrIKjEEEESI_EEEEESK_NSA_INS5_IJNSC_16discard_iteratorINSC_11use_defaultEEESN_EEEEEPS7_SQ_SQ_NSC_11hip_rocprim7__merge17predicate_wrapperIjjNSC_4lessIjEEEEEE10hipError_tPvRmT0_T1_T2_T3_T4_T5_mmT6_P12ihipStream_tbEUlT_E_NS1_11comp_targetILNS1_3genE10ELNS1_11target_archE1200ELNS1_3gpuE4ELNS1_3repE0EEENS1_30default_config_static_selectorELNS0_4arch9wavefront6targetE0EEEvS11_.has_recursion, 0
	.set _ZN7rocprim17ROCPRIM_400000_NS6detail17trampoline_kernelINS0_14default_configENS1_21merge_config_selectorINS0_5tupleIJjjEEENS0_10empty_typeEEEZNS1_10merge_implIS3_NS0_12zip_iteratorINS5_IJN6thrust23THRUST_200600_302600_NS6detail15normal_iteratorINSC_10device_ptrIKjEEEESI_EEEEESK_NSA_INS5_IJNSC_16discard_iteratorINSC_11use_defaultEEESN_EEEEEPS7_SQ_SQ_NSC_11hip_rocprim7__merge17predicate_wrapperIjjNSC_4lessIjEEEEEE10hipError_tPvRmT0_T1_T2_T3_T4_T5_mmT6_P12ihipStream_tbEUlT_E_NS1_11comp_targetILNS1_3genE10ELNS1_11target_archE1200ELNS1_3gpuE4ELNS1_3repE0EEENS1_30default_config_static_selectorELNS0_4arch9wavefront6targetE0EEEvS11_.has_indirect_call, 0
	.section	.AMDGPU.csdata,"",@progbits
; Kernel info:
; codeLenInByte = 0
; TotalNumSgprs: 0
; NumVgprs: 0
; ScratchSize: 0
; MemoryBound: 0
; FloatMode: 240
; IeeeMode: 1
; LDSByteSize: 0 bytes/workgroup (compile time only)
; SGPRBlocks: 0
; VGPRBlocks: 0
; NumSGPRsForWavesPerEU: 1
; NumVGPRsForWavesPerEU: 1
; NamedBarCnt: 0
; Occupancy: 16
; WaveLimiterHint : 0
; COMPUTE_PGM_RSRC2:SCRATCH_EN: 0
; COMPUTE_PGM_RSRC2:USER_SGPR: 2
; COMPUTE_PGM_RSRC2:TRAP_HANDLER: 0
; COMPUTE_PGM_RSRC2:TGID_X_EN: 1
; COMPUTE_PGM_RSRC2:TGID_Y_EN: 0
; COMPUTE_PGM_RSRC2:TGID_Z_EN: 0
; COMPUTE_PGM_RSRC2:TIDIG_COMP_CNT: 0
	.section	.text._ZN7rocprim17ROCPRIM_400000_NS6detail17trampoline_kernelINS0_14default_configENS1_21merge_config_selectorINS0_5tupleIJjjEEENS0_10empty_typeEEEZNS1_10merge_implIS3_NS0_12zip_iteratorINS5_IJN6thrust23THRUST_200600_302600_NS6detail15normal_iteratorINSC_10device_ptrIKjEEEESI_EEEEESK_NSA_INS5_IJNSC_16discard_iteratorINSC_11use_defaultEEESN_EEEEEPS7_SQ_SQ_NSC_11hip_rocprim7__merge17predicate_wrapperIjjNSC_4lessIjEEEEEE10hipError_tPvRmT0_T1_T2_T3_T4_T5_mmT6_P12ihipStream_tbEUlT_E_NS1_11comp_targetILNS1_3genE9ELNS1_11target_archE1100ELNS1_3gpuE3ELNS1_3repE0EEENS1_30default_config_static_selectorELNS0_4arch9wavefront6targetE0EEEvS11_,"axG",@progbits,_ZN7rocprim17ROCPRIM_400000_NS6detail17trampoline_kernelINS0_14default_configENS1_21merge_config_selectorINS0_5tupleIJjjEEENS0_10empty_typeEEEZNS1_10merge_implIS3_NS0_12zip_iteratorINS5_IJN6thrust23THRUST_200600_302600_NS6detail15normal_iteratorINSC_10device_ptrIKjEEEESI_EEEEESK_NSA_INS5_IJNSC_16discard_iteratorINSC_11use_defaultEEESN_EEEEEPS7_SQ_SQ_NSC_11hip_rocprim7__merge17predicate_wrapperIjjNSC_4lessIjEEEEEE10hipError_tPvRmT0_T1_T2_T3_T4_T5_mmT6_P12ihipStream_tbEUlT_E_NS1_11comp_targetILNS1_3genE9ELNS1_11target_archE1100ELNS1_3gpuE3ELNS1_3repE0EEENS1_30default_config_static_selectorELNS0_4arch9wavefront6targetE0EEEvS11_,comdat
	.protected	_ZN7rocprim17ROCPRIM_400000_NS6detail17trampoline_kernelINS0_14default_configENS1_21merge_config_selectorINS0_5tupleIJjjEEENS0_10empty_typeEEEZNS1_10merge_implIS3_NS0_12zip_iteratorINS5_IJN6thrust23THRUST_200600_302600_NS6detail15normal_iteratorINSC_10device_ptrIKjEEEESI_EEEEESK_NSA_INS5_IJNSC_16discard_iteratorINSC_11use_defaultEEESN_EEEEEPS7_SQ_SQ_NSC_11hip_rocprim7__merge17predicate_wrapperIjjNSC_4lessIjEEEEEE10hipError_tPvRmT0_T1_T2_T3_T4_T5_mmT6_P12ihipStream_tbEUlT_E_NS1_11comp_targetILNS1_3genE9ELNS1_11target_archE1100ELNS1_3gpuE3ELNS1_3repE0EEENS1_30default_config_static_selectorELNS0_4arch9wavefront6targetE0EEEvS11_ ; -- Begin function _ZN7rocprim17ROCPRIM_400000_NS6detail17trampoline_kernelINS0_14default_configENS1_21merge_config_selectorINS0_5tupleIJjjEEENS0_10empty_typeEEEZNS1_10merge_implIS3_NS0_12zip_iteratorINS5_IJN6thrust23THRUST_200600_302600_NS6detail15normal_iteratorINSC_10device_ptrIKjEEEESI_EEEEESK_NSA_INS5_IJNSC_16discard_iteratorINSC_11use_defaultEEESN_EEEEEPS7_SQ_SQ_NSC_11hip_rocprim7__merge17predicate_wrapperIjjNSC_4lessIjEEEEEE10hipError_tPvRmT0_T1_T2_T3_T4_T5_mmT6_P12ihipStream_tbEUlT_E_NS1_11comp_targetILNS1_3genE9ELNS1_11target_archE1100ELNS1_3gpuE3ELNS1_3repE0EEENS1_30default_config_static_selectorELNS0_4arch9wavefront6targetE0EEEvS11_
	.globl	_ZN7rocprim17ROCPRIM_400000_NS6detail17trampoline_kernelINS0_14default_configENS1_21merge_config_selectorINS0_5tupleIJjjEEENS0_10empty_typeEEEZNS1_10merge_implIS3_NS0_12zip_iteratorINS5_IJN6thrust23THRUST_200600_302600_NS6detail15normal_iteratorINSC_10device_ptrIKjEEEESI_EEEEESK_NSA_INS5_IJNSC_16discard_iteratorINSC_11use_defaultEEESN_EEEEEPS7_SQ_SQ_NSC_11hip_rocprim7__merge17predicate_wrapperIjjNSC_4lessIjEEEEEE10hipError_tPvRmT0_T1_T2_T3_T4_T5_mmT6_P12ihipStream_tbEUlT_E_NS1_11comp_targetILNS1_3genE9ELNS1_11target_archE1100ELNS1_3gpuE3ELNS1_3repE0EEENS1_30default_config_static_selectorELNS0_4arch9wavefront6targetE0EEEvS11_
	.p2align	8
	.type	_ZN7rocprim17ROCPRIM_400000_NS6detail17trampoline_kernelINS0_14default_configENS1_21merge_config_selectorINS0_5tupleIJjjEEENS0_10empty_typeEEEZNS1_10merge_implIS3_NS0_12zip_iteratorINS5_IJN6thrust23THRUST_200600_302600_NS6detail15normal_iteratorINSC_10device_ptrIKjEEEESI_EEEEESK_NSA_INS5_IJNSC_16discard_iteratorINSC_11use_defaultEEESN_EEEEEPS7_SQ_SQ_NSC_11hip_rocprim7__merge17predicate_wrapperIjjNSC_4lessIjEEEEEE10hipError_tPvRmT0_T1_T2_T3_T4_T5_mmT6_P12ihipStream_tbEUlT_E_NS1_11comp_targetILNS1_3genE9ELNS1_11target_archE1100ELNS1_3gpuE3ELNS1_3repE0EEENS1_30default_config_static_selectorELNS0_4arch9wavefront6targetE0EEEvS11_,@function
_ZN7rocprim17ROCPRIM_400000_NS6detail17trampoline_kernelINS0_14default_configENS1_21merge_config_selectorINS0_5tupleIJjjEEENS0_10empty_typeEEEZNS1_10merge_implIS3_NS0_12zip_iteratorINS5_IJN6thrust23THRUST_200600_302600_NS6detail15normal_iteratorINSC_10device_ptrIKjEEEESI_EEEEESK_NSA_INS5_IJNSC_16discard_iteratorINSC_11use_defaultEEESN_EEEEEPS7_SQ_SQ_NSC_11hip_rocprim7__merge17predicate_wrapperIjjNSC_4lessIjEEEEEE10hipError_tPvRmT0_T1_T2_T3_T4_T5_mmT6_P12ihipStream_tbEUlT_E_NS1_11comp_targetILNS1_3genE9ELNS1_11target_archE1100ELNS1_3gpuE3ELNS1_3repE0EEENS1_30default_config_static_selectorELNS0_4arch9wavefront6targetE0EEEvS11_: ; @_ZN7rocprim17ROCPRIM_400000_NS6detail17trampoline_kernelINS0_14default_configENS1_21merge_config_selectorINS0_5tupleIJjjEEENS0_10empty_typeEEEZNS1_10merge_implIS3_NS0_12zip_iteratorINS5_IJN6thrust23THRUST_200600_302600_NS6detail15normal_iteratorINSC_10device_ptrIKjEEEESI_EEEEESK_NSA_INS5_IJNSC_16discard_iteratorINSC_11use_defaultEEESN_EEEEEPS7_SQ_SQ_NSC_11hip_rocprim7__merge17predicate_wrapperIjjNSC_4lessIjEEEEEE10hipError_tPvRmT0_T1_T2_T3_T4_T5_mmT6_P12ihipStream_tbEUlT_E_NS1_11comp_targetILNS1_3genE9ELNS1_11target_archE1100ELNS1_3gpuE3ELNS1_3repE0EEENS1_30default_config_static_selectorELNS0_4arch9wavefront6targetE0EEEvS11_
; %bb.0:
	.section	.rodata,"a",@progbits
	.p2align	6, 0x0
	.amdhsa_kernel _ZN7rocprim17ROCPRIM_400000_NS6detail17trampoline_kernelINS0_14default_configENS1_21merge_config_selectorINS0_5tupleIJjjEEENS0_10empty_typeEEEZNS1_10merge_implIS3_NS0_12zip_iteratorINS5_IJN6thrust23THRUST_200600_302600_NS6detail15normal_iteratorINSC_10device_ptrIKjEEEESI_EEEEESK_NSA_INS5_IJNSC_16discard_iteratorINSC_11use_defaultEEESN_EEEEEPS7_SQ_SQ_NSC_11hip_rocprim7__merge17predicate_wrapperIjjNSC_4lessIjEEEEEE10hipError_tPvRmT0_T1_T2_T3_T4_T5_mmT6_P12ihipStream_tbEUlT_E_NS1_11comp_targetILNS1_3genE9ELNS1_11target_archE1100ELNS1_3gpuE3ELNS1_3repE0EEENS1_30default_config_static_selectorELNS0_4arch9wavefront6targetE0EEEvS11_
		.amdhsa_group_segment_fixed_size 0
		.amdhsa_private_segment_fixed_size 0
		.amdhsa_kernarg_size 64
		.amdhsa_user_sgpr_count 2
		.amdhsa_user_sgpr_dispatch_ptr 0
		.amdhsa_user_sgpr_queue_ptr 0
		.amdhsa_user_sgpr_kernarg_segment_ptr 1
		.amdhsa_user_sgpr_dispatch_id 0
		.amdhsa_user_sgpr_kernarg_preload_length 0
		.amdhsa_user_sgpr_kernarg_preload_offset 0
		.amdhsa_user_sgpr_private_segment_size 0
		.amdhsa_wavefront_size32 1
		.amdhsa_uses_dynamic_stack 0
		.amdhsa_enable_private_segment 0
		.amdhsa_system_sgpr_workgroup_id_x 1
		.amdhsa_system_sgpr_workgroup_id_y 0
		.amdhsa_system_sgpr_workgroup_id_z 0
		.amdhsa_system_sgpr_workgroup_info 0
		.amdhsa_system_vgpr_workitem_id 0
		.amdhsa_next_free_vgpr 1
		.amdhsa_next_free_sgpr 1
		.amdhsa_named_barrier_count 0
		.amdhsa_reserve_vcc 0
		.amdhsa_float_round_mode_32 0
		.amdhsa_float_round_mode_16_64 0
		.amdhsa_float_denorm_mode_32 3
		.amdhsa_float_denorm_mode_16_64 3
		.amdhsa_fp16_overflow 0
		.amdhsa_memory_ordered 1
		.amdhsa_forward_progress 1
		.amdhsa_inst_pref_size 0
		.amdhsa_round_robin_scheduling 0
		.amdhsa_exception_fp_ieee_invalid_op 0
		.amdhsa_exception_fp_denorm_src 0
		.amdhsa_exception_fp_ieee_div_zero 0
		.amdhsa_exception_fp_ieee_overflow 0
		.amdhsa_exception_fp_ieee_underflow 0
		.amdhsa_exception_fp_ieee_inexact 0
		.amdhsa_exception_int_div_zero 0
	.end_amdhsa_kernel
	.section	.text._ZN7rocprim17ROCPRIM_400000_NS6detail17trampoline_kernelINS0_14default_configENS1_21merge_config_selectorINS0_5tupleIJjjEEENS0_10empty_typeEEEZNS1_10merge_implIS3_NS0_12zip_iteratorINS5_IJN6thrust23THRUST_200600_302600_NS6detail15normal_iteratorINSC_10device_ptrIKjEEEESI_EEEEESK_NSA_INS5_IJNSC_16discard_iteratorINSC_11use_defaultEEESN_EEEEEPS7_SQ_SQ_NSC_11hip_rocprim7__merge17predicate_wrapperIjjNSC_4lessIjEEEEEE10hipError_tPvRmT0_T1_T2_T3_T4_T5_mmT6_P12ihipStream_tbEUlT_E_NS1_11comp_targetILNS1_3genE9ELNS1_11target_archE1100ELNS1_3gpuE3ELNS1_3repE0EEENS1_30default_config_static_selectorELNS0_4arch9wavefront6targetE0EEEvS11_,"axG",@progbits,_ZN7rocprim17ROCPRIM_400000_NS6detail17trampoline_kernelINS0_14default_configENS1_21merge_config_selectorINS0_5tupleIJjjEEENS0_10empty_typeEEEZNS1_10merge_implIS3_NS0_12zip_iteratorINS5_IJN6thrust23THRUST_200600_302600_NS6detail15normal_iteratorINSC_10device_ptrIKjEEEESI_EEEEESK_NSA_INS5_IJNSC_16discard_iteratorINSC_11use_defaultEEESN_EEEEEPS7_SQ_SQ_NSC_11hip_rocprim7__merge17predicate_wrapperIjjNSC_4lessIjEEEEEE10hipError_tPvRmT0_T1_T2_T3_T4_T5_mmT6_P12ihipStream_tbEUlT_E_NS1_11comp_targetILNS1_3genE9ELNS1_11target_archE1100ELNS1_3gpuE3ELNS1_3repE0EEENS1_30default_config_static_selectorELNS0_4arch9wavefront6targetE0EEEvS11_,comdat
.Lfunc_end540:
	.size	_ZN7rocprim17ROCPRIM_400000_NS6detail17trampoline_kernelINS0_14default_configENS1_21merge_config_selectorINS0_5tupleIJjjEEENS0_10empty_typeEEEZNS1_10merge_implIS3_NS0_12zip_iteratorINS5_IJN6thrust23THRUST_200600_302600_NS6detail15normal_iteratorINSC_10device_ptrIKjEEEESI_EEEEESK_NSA_INS5_IJNSC_16discard_iteratorINSC_11use_defaultEEESN_EEEEEPS7_SQ_SQ_NSC_11hip_rocprim7__merge17predicate_wrapperIjjNSC_4lessIjEEEEEE10hipError_tPvRmT0_T1_T2_T3_T4_T5_mmT6_P12ihipStream_tbEUlT_E_NS1_11comp_targetILNS1_3genE9ELNS1_11target_archE1100ELNS1_3gpuE3ELNS1_3repE0EEENS1_30default_config_static_selectorELNS0_4arch9wavefront6targetE0EEEvS11_, .Lfunc_end540-_ZN7rocprim17ROCPRIM_400000_NS6detail17trampoline_kernelINS0_14default_configENS1_21merge_config_selectorINS0_5tupleIJjjEEENS0_10empty_typeEEEZNS1_10merge_implIS3_NS0_12zip_iteratorINS5_IJN6thrust23THRUST_200600_302600_NS6detail15normal_iteratorINSC_10device_ptrIKjEEEESI_EEEEESK_NSA_INS5_IJNSC_16discard_iteratorINSC_11use_defaultEEESN_EEEEEPS7_SQ_SQ_NSC_11hip_rocprim7__merge17predicate_wrapperIjjNSC_4lessIjEEEEEE10hipError_tPvRmT0_T1_T2_T3_T4_T5_mmT6_P12ihipStream_tbEUlT_E_NS1_11comp_targetILNS1_3genE9ELNS1_11target_archE1100ELNS1_3gpuE3ELNS1_3repE0EEENS1_30default_config_static_selectorELNS0_4arch9wavefront6targetE0EEEvS11_
                                        ; -- End function
	.set _ZN7rocprim17ROCPRIM_400000_NS6detail17trampoline_kernelINS0_14default_configENS1_21merge_config_selectorINS0_5tupleIJjjEEENS0_10empty_typeEEEZNS1_10merge_implIS3_NS0_12zip_iteratorINS5_IJN6thrust23THRUST_200600_302600_NS6detail15normal_iteratorINSC_10device_ptrIKjEEEESI_EEEEESK_NSA_INS5_IJNSC_16discard_iteratorINSC_11use_defaultEEESN_EEEEEPS7_SQ_SQ_NSC_11hip_rocprim7__merge17predicate_wrapperIjjNSC_4lessIjEEEEEE10hipError_tPvRmT0_T1_T2_T3_T4_T5_mmT6_P12ihipStream_tbEUlT_E_NS1_11comp_targetILNS1_3genE9ELNS1_11target_archE1100ELNS1_3gpuE3ELNS1_3repE0EEENS1_30default_config_static_selectorELNS0_4arch9wavefront6targetE0EEEvS11_.num_vgpr, 0
	.set _ZN7rocprim17ROCPRIM_400000_NS6detail17trampoline_kernelINS0_14default_configENS1_21merge_config_selectorINS0_5tupleIJjjEEENS0_10empty_typeEEEZNS1_10merge_implIS3_NS0_12zip_iteratorINS5_IJN6thrust23THRUST_200600_302600_NS6detail15normal_iteratorINSC_10device_ptrIKjEEEESI_EEEEESK_NSA_INS5_IJNSC_16discard_iteratorINSC_11use_defaultEEESN_EEEEEPS7_SQ_SQ_NSC_11hip_rocprim7__merge17predicate_wrapperIjjNSC_4lessIjEEEEEE10hipError_tPvRmT0_T1_T2_T3_T4_T5_mmT6_P12ihipStream_tbEUlT_E_NS1_11comp_targetILNS1_3genE9ELNS1_11target_archE1100ELNS1_3gpuE3ELNS1_3repE0EEENS1_30default_config_static_selectorELNS0_4arch9wavefront6targetE0EEEvS11_.num_agpr, 0
	.set _ZN7rocprim17ROCPRIM_400000_NS6detail17trampoline_kernelINS0_14default_configENS1_21merge_config_selectorINS0_5tupleIJjjEEENS0_10empty_typeEEEZNS1_10merge_implIS3_NS0_12zip_iteratorINS5_IJN6thrust23THRUST_200600_302600_NS6detail15normal_iteratorINSC_10device_ptrIKjEEEESI_EEEEESK_NSA_INS5_IJNSC_16discard_iteratorINSC_11use_defaultEEESN_EEEEEPS7_SQ_SQ_NSC_11hip_rocprim7__merge17predicate_wrapperIjjNSC_4lessIjEEEEEE10hipError_tPvRmT0_T1_T2_T3_T4_T5_mmT6_P12ihipStream_tbEUlT_E_NS1_11comp_targetILNS1_3genE9ELNS1_11target_archE1100ELNS1_3gpuE3ELNS1_3repE0EEENS1_30default_config_static_selectorELNS0_4arch9wavefront6targetE0EEEvS11_.numbered_sgpr, 0
	.set _ZN7rocprim17ROCPRIM_400000_NS6detail17trampoline_kernelINS0_14default_configENS1_21merge_config_selectorINS0_5tupleIJjjEEENS0_10empty_typeEEEZNS1_10merge_implIS3_NS0_12zip_iteratorINS5_IJN6thrust23THRUST_200600_302600_NS6detail15normal_iteratorINSC_10device_ptrIKjEEEESI_EEEEESK_NSA_INS5_IJNSC_16discard_iteratorINSC_11use_defaultEEESN_EEEEEPS7_SQ_SQ_NSC_11hip_rocprim7__merge17predicate_wrapperIjjNSC_4lessIjEEEEEE10hipError_tPvRmT0_T1_T2_T3_T4_T5_mmT6_P12ihipStream_tbEUlT_E_NS1_11comp_targetILNS1_3genE9ELNS1_11target_archE1100ELNS1_3gpuE3ELNS1_3repE0EEENS1_30default_config_static_selectorELNS0_4arch9wavefront6targetE0EEEvS11_.num_named_barrier, 0
	.set _ZN7rocprim17ROCPRIM_400000_NS6detail17trampoline_kernelINS0_14default_configENS1_21merge_config_selectorINS0_5tupleIJjjEEENS0_10empty_typeEEEZNS1_10merge_implIS3_NS0_12zip_iteratorINS5_IJN6thrust23THRUST_200600_302600_NS6detail15normal_iteratorINSC_10device_ptrIKjEEEESI_EEEEESK_NSA_INS5_IJNSC_16discard_iteratorINSC_11use_defaultEEESN_EEEEEPS7_SQ_SQ_NSC_11hip_rocprim7__merge17predicate_wrapperIjjNSC_4lessIjEEEEEE10hipError_tPvRmT0_T1_T2_T3_T4_T5_mmT6_P12ihipStream_tbEUlT_E_NS1_11comp_targetILNS1_3genE9ELNS1_11target_archE1100ELNS1_3gpuE3ELNS1_3repE0EEENS1_30default_config_static_selectorELNS0_4arch9wavefront6targetE0EEEvS11_.private_seg_size, 0
	.set _ZN7rocprim17ROCPRIM_400000_NS6detail17trampoline_kernelINS0_14default_configENS1_21merge_config_selectorINS0_5tupleIJjjEEENS0_10empty_typeEEEZNS1_10merge_implIS3_NS0_12zip_iteratorINS5_IJN6thrust23THRUST_200600_302600_NS6detail15normal_iteratorINSC_10device_ptrIKjEEEESI_EEEEESK_NSA_INS5_IJNSC_16discard_iteratorINSC_11use_defaultEEESN_EEEEEPS7_SQ_SQ_NSC_11hip_rocprim7__merge17predicate_wrapperIjjNSC_4lessIjEEEEEE10hipError_tPvRmT0_T1_T2_T3_T4_T5_mmT6_P12ihipStream_tbEUlT_E_NS1_11comp_targetILNS1_3genE9ELNS1_11target_archE1100ELNS1_3gpuE3ELNS1_3repE0EEENS1_30default_config_static_selectorELNS0_4arch9wavefront6targetE0EEEvS11_.uses_vcc, 0
	.set _ZN7rocprim17ROCPRIM_400000_NS6detail17trampoline_kernelINS0_14default_configENS1_21merge_config_selectorINS0_5tupleIJjjEEENS0_10empty_typeEEEZNS1_10merge_implIS3_NS0_12zip_iteratorINS5_IJN6thrust23THRUST_200600_302600_NS6detail15normal_iteratorINSC_10device_ptrIKjEEEESI_EEEEESK_NSA_INS5_IJNSC_16discard_iteratorINSC_11use_defaultEEESN_EEEEEPS7_SQ_SQ_NSC_11hip_rocprim7__merge17predicate_wrapperIjjNSC_4lessIjEEEEEE10hipError_tPvRmT0_T1_T2_T3_T4_T5_mmT6_P12ihipStream_tbEUlT_E_NS1_11comp_targetILNS1_3genE9ELNS1_11target_archE1100ELNS1_3gpuE3ELNS1_3repE0EEENS1_30default_config_static_selectorELNS0_4arch9wavefront6targetE0EEEvS11_.uses_flat_scratch, 0
	.set _ZN7rocprim17ROCPRIM_400000_NS6detail17trampoline_kernelINS0_14default_configENS1_21merge_config_selectorINS0_5tupleIJjjEEENS0_10empty_typeEEEZNS1_10merge_implIS3_NS0_12zip_iteratorINS5_IJN6thrust23THRUST_200600_302600_NS6detail15normal_iteratorINSC_10device_ptrIKjEEEESI_EEEEESK_NSA_INS5_IJNSC_16discard_iteratorINSC_11use_defaultEEESN_EEEEEPS7_SQ_SQ_NSC_11hip_rocprim7__merge17predicate_wrapperIjjNSC_4lessIjEEEEEE10hipError_tPvRmT0_T1_T2_T3_T4_T5_mmT6_P12ihipStream_tbEUlT_E_NS1_11comp_targetILNS1_3genE9ELNS1_11target_archE1100ELNS1_3gpuE3ELNS1_3repE0EEENS1_30default_config_static_selectorELNS0_4arch9wavefront6targetE0EEEvS11_.has_dyn_sized_stack, 0
	.set _ZN7rocprim17ROCPRIM_400000_NS6detail17trampoline_kernelINS0_14default_configENS1_21merge_config_selectorINS0_5tupleIJjjEEENS0_10empty_typeEEEZNS1_10merge_implIS3_NS0_12zip_iteratorINS5_IJN6thrust23THRUST_200600_302600_NS6detail15normal_iteratorINSC_10device_ptrIKjEEEESI_EEEEESK_NSA_INS5_IJNSC_16discard_iteratorINSC_11use_defaultEEESN_EEEEEPS7_SQ_SQ_NSC_11hip_rocprim7__merge17predicate_wrapperIjjNSC_4lessIjEEEEEE10hipError_tPvRmT0_T1_T2_T3_T4_T5_mmT6_P12ihipStream_tbEUlT_E_NS1_11comp_targetILNS1_3genE9ELNS1_11target_archE1100ELNS1_3gpuE3ELNS1_3repE0EEENS1_30default_config_static_selectorELNS0_4arch9wavefront6targetE0EEEvS11_.has_recursion, 0
	.set _ZN7rocprim17ROCPRIM_400000_NS6detail17trampoline_kernelINS0_14default_configENS1_21merge_config_selectorINS0_5tupleIJjjEEENS0_10empty_typeEEEZNS1_10merge_implIS3_NS0_12zip_iteratorINS5_IJN6thrust23THRUST_200600_302600_NS6detail15normal_iteratorINSC_10device_ptrIKjEEEESI_EEEEESK_NSA_INS5_IJNSC_16discard_iteratorINSC_11use_defaultEEESN_EEEEEPS7_SQ_SQ_NSC_11hip_rocprim7__merge17predicate_wrapperIjjNSC_4lessIjEEEEEE10hipError_tPvRmT0_T1_T2_T3_T4_T5_mmT6_P12ihipStream_tbEUlT_E_NS1_11comp_targetILNS1_3genE9ELNS1_11target_archE1100ELNS1_3gpuE3ELNS1_3repE0EEENS1_30default_config_static_selectorELNS0_4arch9wavefront6targetE0EEEvS11_.has_indirect_call, 0
	.section	.AMDGPU.csdata,"",@progbits
; Kernel info:
; codeLenInByte = 0
; TotalNumSgprs: 0
; NumVgprs: 0
; ScratchSize: 0
; MemoryBound: 0
; FloatMode: 240
; IeeeMode: 1
; LDSByteSize: 0 bytes/workgroup (compile time only)
; SGPRBlocks: 0
; VGPRBlocks: 0
; NumSGPRsForWavesPerEU: 1
; NumVGPRsForWavesPerEU: 1
; NamedBarCnt: 0
; Occupancy: 16
; WaveLimiterHint : 0
; COMPUTE_PGM_RSRC2:SCRATCH_EN: 0
; COMPUTE_PGM_RSRC2:USER_SGPR: 2
; COMPUTE_PGM_RSRC2:TRAP_HANDLER: 0
; COMPUTE_PGM_RSRC2:TGID_X_EN: 1
; COMPUTE_PGM_RSRC2:TGID_Y_EN: 0
; COMPUTE_PGM_RSRC2:TGID_Z_EN: 0
; COMPUTE_PGM_RSRC2:TIDIG_COMP_CNT: 0
	.section	.text._ZN7rocprim17ROCPRIM_400000_NS6detail17trampoline_kernelINS0_14default_configENS1_21merge_config_selectorINS0_5tupleIJjjEEENS0_10empty_typeEEEZNS1_10merge_implIS3_NS0_12zip_iteratorINS5_IJN6thrust23THRUST_200600_302600_NS6detail15normal_iteratorINSC_10device_ptrIKjEEEESI_EEEEESK_NSA_INS5_IJNSC_16discard_iteratorINSC_11use_defaultEEESN_EEEEEPS7_SQ_SQ_NSC_11hip_rocprim7__merge17predicate_wrapperIjjNSC_4lessIjEEEEEE10hipError_tPvRmT0_T1_T2_T3_T4_T5_mmT6_P12ihipStream_tbEUlT_E_NS1_11comp_targetILNS1_3genE8ELNS1_11target_archE1030ELNS1_3gpuE2ELNS1_3repE0EEENS1_30default_config_static_selectorELNS0_4arch9wavefront6targetE0EEEvS11_,"axG",@progbits,_ZN7rocprim17ROCPRIM_400000_NS6detail17trampoline_kernelINS0_14default_configENS1_21merge_config_selectorINS0_5tupleIJjjEEENS0_10empty_typeEEEZNS1_10merge_implIS3_NS0_12zip_iteratorINS5_IJN6thrust23THRUST_200600_302600_NS6detail15normal_iteratorINSC_10device_ptrIKjEEEESI_EEEEESK_NSA_INS5_IJNSC_16discard_iteratorINSC_11use_defaultEEESN_EEEEEPS7_SQ_SQ_NSC_11hip_rocprim7__merge17predicate_wrapperIjjNSC_4lessIjEEEEEE10hipError_tPvRmT0_T1_T2_T3_T4_T5_mmT6_P12ihipStream_tbEUlT_E_NS1_11comp_targetILNS1_3genE8ELNS1_11target_archE1030ELNS1_3gpuE2ELNS1_3repE0EEENS1_30default_config_static_selectorELNS0_4arch9wavefront6targetE0EEEvS11_,comdat
	.protected	_ZN7rocprim17ROCPRIM_400000_NS6detail17trampoline_kernelINS0_14default_configENS1_21merge_config_selectorINS0_5tupleIJjjEEENS0_10empty_typeEEEZNS1_10merge_implIS3_NS0_12zip_iteratorINS5_IJN6thrust23THRUST_200600_302600_NS6detail15normal_iteratorINSC_10device_ptrIKjEEEESI_EEEEESK_NSA_INS5_IJNSC_16discard_iteratorINSC_11use_defaultEEESN_EEEEEPS7_SQ_SQ_NSC_11hip_rocprim7__merge17predicate_wrapperIjjNSC_4lessIjEEEEEE10hipError_tPvRmT0_T1_T2_T3_T4_T5_mmT6_P12ihipStream_tbEUlT_E_NS1_11comp_targetILNS1_3genE8ELNS1_11target_archE1030ELNS1_3gpuE2ELNS1_3repE0EEENS1_30default_config_static_selectorELNS0_4arch9wavefront6targetE0EEEvS11_ ; -- Begin function _ZN7rocprim17ROCPRIM_400000_NS6detail17trampoline_kernelINS0_14default_configENS1_21merge_config_selectorINS0_5tupleIJjjEEENS0_10empty_typeEEEZNS1_10merge_implIS3_NS0_12zip_iteratorINS5_IJN6thrust23THRUST_200600_302600_NS6detail15normal_iteratorINSC_10device_ptrIKjEEEESI_EEEEESK_NSA_INS5_IJNSC_16discard_iteratorINSC_11use_defaultEEESN_EEEEEPS7_SQ_SQ_NSC_11hip_rocprim7__merge17predicate_wrapperIjjNSC_4lessIjEEEEEE10hipError_tPvRmT0_T1_T2_T3_T4_T5_mmT6_P12ihipStream_tbEUlT_E_NS1_11comp_targetILNS1_3genE8ELNS1_11target_archE1030ELNS1_3gpuE2ELNS1_3repE0EEENS1_30default_config_static_selectorELNS0_4arch9wavefront6targetE0EEEvS11_
	.globl	_ZN7rocprim17ROCPRIM_400000_NS6detail17trampoline_kernelINS0_14default_configENS1_21merge_config_selectorINS0_5tupleIJjjEEENS0_10empty_typeEEEZNS1_10merge_implIS3_NS0_12zip_iteratorINS5_IJN6thrust23THRUST_200600_302600_NS6detail15normal_iteratorINSC_10device_ptrIKjEEEESI_EEEEESK_NSA_INS5_IJNSC_16discard_iteratorINSC_11use_defaultEEESN_EEEEEPS7_SQ_SQ_NSC_11hip_rocprim7__merge17predicate_wrapperIjjNSC_4lessIjEEEEEE10hipError_tPvRmT0_T1_T2_T3_T4_T5_mmT6_P12ihipStream_tbEUlT_E_NS1_11comp_targetILNS1_3genE8ELNS1_11target_archE1030ELNS1_3gpuE2ELNS1_3repE0EEENS1_30default_config_static_selectorELNS0_4arch9wavefront6targetE0EEEvS11_
	.p2align	8
	.type	_ZN7rocprim17ROCPRIM_400000_NS6detail17trampoline_kernelINS0_14default_configENS1_21merge_config_selectorINS0_5tupleIJjjEEENS0_10empty_typeEEEZNS1_10merge_implIS3_NS0_12zip_iteratorINS5_IJN6thrust23THRUST_200600_302600_NS6detail15normal_iteratorINSC_10device_ptrIKjEEEESI_EEEEESK_NSA_INS5_IJNSC_16discard_iteratorINSC_11use_defaultEEESN_EEEEEPS7_SQ_SQ_NSC_11hip_rocprim7__merge17predicate_wrapperIjjNSC_4lessIjEEEEEE10hipError_tPvRmT0_T1_T2_T3_T4_T5_mmT6_P12ihipStream_tbEUlT_E_NS1_11comp_targetILNS1_3genE8ELNS1_11target_archE1030ELNS1_3gpuE2ELNS1_3repE0EEENS1_30default_config_static_selectorELNS0_4arch9wavefront6targetE0EEEvS11_,@function
_ZN7rocprim17ROCPRIM_400000_NS6detail17trampoline_kernelINS0_14default_configENS1_21merge_config_selectorINS0_5tupleIJjjEEENS0_10empty_typeEEEZNS1_10merge_implIS3_NS0_12zip_iteratorINS5_IJN6thrust23THRUST_200600_302600_NS6detail15normal_iteratorINSC_10device_ptrIKjEEEESI_EEEEESK_NSA_INS5_IJNSC_16discard_iteratorINSC_11use_defaultEEESN_EEEEEPS7_SQ_SQ_NSC_11hip_rocprim7__merge17predicate_wrapperIjjNSC_4lessIjEEEEEE10hipError_tPvRmT0_T1_T2_T3_T4_T5_mmT6_P12ihipStream_tbEUlT_E_NS1_11comp_targetILNS1_3genE8ELNS1_11target_archE1030ELNS1_3gpuE2ELNS1_3repE0EEENS1_30default_config_static_selectorELNS0_4arch9wavefront6targetE0EEEvS11_: ; @_ZN7rocprim17ROCPRIM_400000_NS6detail17trampoline_kernelINS0_14default_configENS1_21merge_config_selectorINS0_5tupleIJjjEEENS0_10empty_typeEEEZNS1_10merge_implIS3_NS0_12zip_iteratorINS5_IJN6thrust23THRUST_200600_302600_NS6detail15normal_iteratorINSC_10device_ptrIKjEEEESI_EEEEESK_NSA_INS5_IJNSC_16discard_iteratorINSC_11use_defaultEEESN_EEEEEPS7_SQ_SQ_NSC_11hip_rocprim7__merge17predicate_wrapperIjjNSC_4lessIjEEEEEE10hipError_tPvRmT0_T1_T2_T3_T4_T5_mmT6_P12ihipStream_tbEUlT_E_NS1_11comp_targetILNS1_3genE8ELNS1_11target_archE1030ELNS1_3gpuE2ELNS1_3repE0EEENS1_30default_config_static_selectorELNS0_4arch9wavefront6targetE0EEEvS11_
; %bb.0:
	.section	.rodata,"a",@progbits
	.p2align	6, 0x0
	.amdhsa_kernel _ZN7rocprim17ROCPRIM_400000_NS6detail17trampoline_kernelINS0_14default_configENS1_21merge_config_selectorINS0_5tupleIJjjEEENS0_10empty_typeEEEZNS1_10merge_implIS3_NS0_12zip_iteratorINS5_IJN6thrust23THRUST_200600_302600_NS6detail15normal_iteratorINSC_10device_ptrIKjEEEESI_EEEEESK_NSA_INS5_IJNSC_16discard_iteratorINSC_11use_defaultEEESN_EEEEEPS7_SQ_SQ_NSC_11hip_rocprim7__merge17predicate_wrapperIjjNSC_4lessIjEEEEEE10hipError_tPvRmT0_T1_T2_T3_T4_T5_mmT6_P12ihipStream_tbEUlT_E_NS1_11comp_targetILNS1_3genE8ELNS1_11target_archE1030ELNS1_3gpuE2ELNS1_3repE0EEENS1_30default_config_static_selectorELNS0_4arch9wavefront6targetE0EEEvS11_
		.amdhsa_group_segment_fixed_size 0
		.amdhsa_private_segment_fixed_size 0
		.amdhsa_kernarg_size 64
		.amdhsa_user_sgpr_count 2
		.amdhsa_user_sgpr_dispatch_ptr 0
		.amdhsa_user_sgpr_queue_ptr 0
		.amdhsa_user_sgpr_kernarg_segment_ptr 1
		.amdhsa_user_sgpr_dispatch_id 0
		.amdhsa_user_sgpr_kernarg_preload_length 0
		.amdhsa_user_sgpr_kernarg_preload_offset 0
		.amdhsa_user_sgpr_private_segment_size 0
		.amdhsa_wavefront_size32 1
		.amdhsa_uses_dynamic_stack 0
		.amdhsa_enable_private_segment 0
		.amdhsa_system_sgpr_workgroup_id_x 1
		.amdhsa_system_sgpr_workgroup_id_y 0
		.amdhsa_system_sgpr_workgroup_id_z 0
		.amdhsa_system_sgpr_workgroup_info 0
		.amdhsa_system_vgpr_workitem_id 0
		.amdhsa_next_free_vgpr 1
		.amdhsa_next_free_sgpr 1
		.amdhsa_named_barrier_count 0
		.amdhsa_reserve_vcc 0
		.amdhsa_float_round_mode_32 0
		.amdhsa_float_round_mode_16_64 0
		.amdhsa_float_denorm_mode_32 3
		.amdhsa_float_denorm_mode_16_64 3
		.amdhsa_fp16_overflow 0
		.amdhsa_memory_ordered 1
		.amdhsa_forward_progress 1
		.amdhsa_inst_pref_size 0
		.amdhsa_round_robin_scheduling 0
		.amdhsa_exception_fp_ieee_invalid_op 0
		.amdhsa_exception_fp_denorm_src 0
		.amdhsa_exception_fp_ieee_div_zero 0
		.amdhsa_exception_fp_ieee_overflow 0
		.amdhsa_exception_fp_ieee_underflow 0
		.amdhsa_exception_fp_ieee_inexact 0
		.amdhsa_exception_int_div_zero 0
	.end_amdhsa_kernel
	.section	.text._ZN7rocprim17ROCPRIM_400000_NS6detail17trampoline_kernelINS0_14default_configENS1_21merge_config_selectorINS0_5tupleIJjjEEENS0_10empty_typeEEEZNS1_10merge_implIS3_NS0_12zip_iteratorINS5_IJN6thrust23THRUST_200600_302600_NS6detail15normal_iteratorINSC_10device_ptrIKjEEEESI_EEEEESK_NSA_INS5_IJNSC_16discard_iteratorINSC_11use_defaultEEESN_EEEEEPS7_SQ_SQ_NSC_11hip_rocprim7__merge17predicate_wrapperIjjNSC_4lessIjEEEEEE10hipError_tPvRmT0_T1_T2_T3_T4_T5_mmT6_P12ihipStream_tbEUlT_E_NS1_11comp_targetILNS1_3genE8ELNS1_11target_archE1030ELNS1_3gpuE2ELNS1_3repE0EEENS1_30default_config_static_selectorELNS0_4arch9wavefront6targetE0EEEvS11_,"axG",@progbits,_ZN7rocprim17ROCPRIM_400000_NS6detail17trampoline_kernelINS0_14default_configENS1_21merge_config_selectorINS0_5tupleIJjjEEENS0_10empty_typeEEEZNS1_10merge_implIS3_NS0_12zip_iteratorINS5_IJN6thrust23THRUST_200600_302600_NS6detail15normal_iteratorINSC_10device_ptrIKjEEEESI_EEEEESK_NSA_INS5_IJNSC_16discard_iteratorINSC_11use_defaultEEESN_EEEEEPS7_SQ_SQ_NSC_11hip_rocprim7__merge17predicate_wrapperIjjNSC_4lessIjEEEEEE10hipError_tPvRmT0_T1_T2_T3_T4_T5_mmT6_P12ihipStream_tbEUlT_E_NS1_11comp_targetILNS1_3genE8ELNS1_11target_archE1030ELNS1_3gpuE2ELNS1_3repE0EEENS1_30default_config_static_selectorELNS0_4arch9wavefront6targetE0EEEvS11_,comdat
.Lfunc_end541:
	.size	_ZN7rocprim17ROCPRIM_400000_NS6detail17trampoline_kernelINS0_14default_configENS1_21merge_config_selectorINS0_5tupleIJjjEEENS0_10empty_typeEEEZNS1_10merge_implIS3_NS0_12zip_iteratorINS5_IJN6thrust23THRUST_200600_302600_NS6detail15normal_iteratorINSC_10device_ptrIKjEEEESI_EEEEESK_NSA_INS5_IJNSC_16discard_iteratorINSC_11use_defaultEEESN_EEEEEPS7_SQ_SQ_NSC_11hip_rocprim7__merge17predicate_wrapperIjjNSC_4lessIjEEEEEE10hipError_tPvRmT0_T1_T2_T3_T4_T5_mmT6_P12ihipStream_tbEUlT_E_NS1_11comp_targetILNS1_3genE8ELNS1_11target_archE1030ELNS1_3gpuE2ELNS1_3repE0EEENS1_30default_config_static_selectorELNS0_4arch9wavefront6targetE0EEEvS11_, .Lfunc_end541-_ZN7rocprim17ROCPRIM_400000_NS6detail17trampoline_kernelINS0_14default_configENS1_21merge_config_selectorINS0_5tupleIJjjEEENS0_10empty_typeEEEZNS1_10merge_implIS3_NS0_12zip_iteratorINS5_IJN6thrust23THRUST_200600_302600_NS6detail15normal_iteratorINSC_10device_ptrIKjEEEESI_EEEEESK_NSA_INS5_IJNSC_16discard_iteratorINSC_11use_defaultEEESN_EEEEEPS7_SQ_SQ_NSC_11hip_rocprim7__merge17predicate_wrapperIjjNSC_4lessIjEEEEEE10hipError_tPvRmT0_T1_T2_T3_T4_T5_mmT6_P12ihipStream_tbEUlT_E_NS1_11comp_targetILNS1_3genE8ELNS1_11target_archE1030ELNS1_3gpuE2ELNS1_3repE0EEENS1_30default_config_static_selectorELNS0_4arch9wavefront6targetE0EEEvS11_
                                        ; -- End function
	.set _ZN7rocprim17ROCPRIM_400000_NS6detail17trampoline_kernelINS0_14default_configENS1_21merge_config_selectorINS0_5tupleIJjjEEENS0_10empty_typeEEEZNS1_10merge_implIS3_NS0_12zip_iteratorINS5_IJN6thrust23THRUST_200600_302600_NS6detail15normal_iteratorINSC_10device_ptrIKjEEEESI_EEEEESK_NSA_INS5_IJNSC_16discard_iteratorINSC_11use_defaultEEESN_EEEEEPS7_SQ_SQ_NSC_11hip_rocprim7__merge17predicate_wrapperIjjNSC_4lessIjEEEEEE10hipError_tPvRmT0_T1_T2_T3_T4_T5_mmT6_P12ihipStream_tbEUlT_E_NS1_11comp_targetILNS1_3genE8ELNS1_11target_archE1030ELNS1_3gpuE2ELNS1_3repE0EEENS1_30default_config_static_selectorELNS0_4arch9wavefront6targetE0EEEvS11_.num_vgpr, 0
	.set _ZN7rocprim17ROCPRIM_400000_NS6detail17trampoline_kernelINS0_14default_configENS1_21merge_config_selectorINS0_5tupleIJjjEEENS0_10empty_typeEEEZNS1_10merge_implIS3_NS0_12zip_iteratorINS5_IJN6thrust23THRUST_200600_302600_NS6detail15normal_iteratorINSC_10device_ptrIKjEEEESI_EEEEESK_NSA_INS5_IJNSC_16discard_iteratorINSC_11use_defaultEEESN_EEEEEPS7_SQ_SQ_NSC_11hip_rocprim7__merge17predicate_wrapperIjjNSC_4lessIjEEEEEE10hipError_tPvRmT0_T1_T2_T3_T4_T5_mmT6_P12ihipStream_tbEUlT_E_NS1_11comp_targetILNS1_3genE8ELNS1_11target_archE1030ELNS1_3gpuE2ELNS1_3repE0EEENS1_30default_config_static_selectorELNS0_4arch9wavefront6targetE0EEEvS11_.num_agpr, 0
	.set _ZN7rocprim17ROCPRIM_400000_NS6detail17trampoline_kernelINS0_14default_configENS1_21merge_config_selectorINS0_5tupleIJjjEEENS0_10empty_typeEEEZNS1_10merge_implIS3_NS0_12zip_iteratorINS5_IJN6thrust23THRUST_200600_302600_NS6detail15normal_iteratorINSC_10device_ptrIKjEEEESI_EEEEESK_NSA_INS5_IJNSC_16discard_iteratorINSC_11use_defaultEEESN_EEEEEPS7_SQ_SQ_NSC_11hip_rocprim7__merge17predicate_wrapperIjjNSC_4lessIjEEEEEE10hipError_tPvRmT0_T1_T2_T3_T4_T5_mmT6_P12ihipStream_tbEUlT_E_NS1_11comp_targetILNS1_3genE8ELNS1_11target_archE1030ELNS1_3gpuE2ELNS1_3repE0EEENS1_30default_config_static_selectorELNS0_4arch9wavefront6targetE0EEEvS11_.numbered_sgpr, 0
	.set _ZN7rocprim17ROCPRIM_400000_NS6detail17trampoline_kernelINS0_14default_configENS1_21merge_config_selectorINS0_5tupleIJjjEEENS0_10empty_typeEEEZNS1_10merge_implIS3_NS0_12zip_iteratorINS5_IJN6thrust23THRUST_200600_302600_NS6detail15normal_iteratorINSC_10device_ptrIKjEEEESI_EEEEESK_NSA_INS5_IJNSC_16discard_iteratorINSC_11use_defaultEEESN_EEEEEPS7_SQ_SQ_NSC_11hip_rocprim7__merge17predicate_wrapperIjjNSC_4lessIjEEEEEE10hipError_tPvRmT0_T1_T2_T3_T4_T5_mmT6_P12ihipStream_tbEUlT_E_NS1_11comp_targetILNS1_3genE8ELNS1_11target_archE1030ELNS1_3gpuE2ELNS1_3repE0EEENS1_30default_config_static_selectorELNS0_4arch9wavefront6targetE0EEEvS11_.num_named_barrier, 0
	.set _ZN7rocprim17ROCPRIM_400000_NS6detail17trampoline_kernelINS0_14default_configENS1_21merge_config_selectorINS0_5tupleIJjjEEENS0_10empty_typeEEEZNS1_10merge_implIS3_NS0_12zip_iteratorINS5_IJN6thrust23THRUST_200600_302600_NS6detail15normal_iteratorINSC_10device_ptrIKjEEEESI_EEEEESK_NSA_INS5_IJNSC_16discard_iteratorINSC_11use_defaultEEESN_EEEEEPS7_SQ_SQ_NSC_11hip_rocprim7__merge17predicate_wrapperIjjNSC_4lessIjEEEEEE10hipError_tPvRmT0_T1_T2_T3_T4_T5_mmT6_P12ihipStream_tbEUlT_E_NS1_11comp_targetILNS1_3genE8ELNS1_11target_archE1030ELNS1_3gpuE2ELNS1_3repE0EEENS1_30default_config_static_selectorELNS0_4arch9wavefront6targetE0EEEvS11_.private_seg_size, 0
	.set _ZN7rocprim17ROCPRIM_400000_NS6detail17trampoline_kernelINS0_14default_configENS1_21merge_config_selectorINS0_5tupleIJjjEEENS0_10empty_typeEEEZNS1_10merge_implIS3_NS0_12zip_iteratorINS5_IJN6thrust23THRUST_200600_302600_NS6detail15normal_iteratorINSC_10device_ptrIKjEEEESI_EEEEESK_NSA_INS5_IJNSC_16discard_iteratorINSC_11use_defaultEEESN_EEEEEPS7_SQ_SQ_NSC_11hip_rocprim7__merge17predicate_wrapperIjjNSC_4lessIjEEEEEE10hipError_tPvRmT0_T1_T2_T3_T4_T5_mmT6_P12ihipStream_tbEUlT_E_NS1_11comp_targetILNS1_3genE8ELNS1_11target_archE1030ELNS1_3gpuE2ELNS1_3repE0EEENS1_30default_config_static_selectorELNS0_4arch9wavefront6targetE0EEEvS11_.uses_vcc, 0
	.set _ZN7rocprim17ROCPRIM_400000_NS6detail17trampoline_kernelINS0_14default_configENS1_21merge_config_selectorINS0_5tupleIJjjEEENS0_10empty_typeEEEZNS1_10merge_implIS3_NS0_12zip_iteratorINS5_IJN6thrust23THRUST_200600_302600_NS6detail15normal_iteratorINSC_10device_ptrIKjEEEESI_EEEEESK_NSA_INS5_IJNSC_16discard_iteratorINSC_11use_defaultEEESN_EEEEEPS7_SQ_SQ_NSC_11hip_rocprim7__merge17predicate_wrapperIjjNSC_4lessIjEEEEEE10hipError_tPvRmT0_T1_T2_T3_T4_T5_mmT6_P12ihipStream_tbEUlT_E_NS1_11comp_targetILNS1_3genE8ELNS1_11target_archE1030ELNS1_3gpuE2ELNS1_3repE0EEENS1_30default_config_static_selectorELNS0_4arch9wavefront6targetE0EEEvS11_.uses_flat_scratch, 0
	.set _ZN7rocprim17ROCPRIM_400000_NS6detail17trampoline_kernelINS0_14default_configENS1_21merge_config_selectorINS0_5tupleIJjjEEENS0_10empty_typeEEEZNS1_10merge_implIS3_NS0_12zip_iteratorINS5_IJN6thrust23THRUST_200600_302600_NS6detail15normal_iteratorINSC_10device_ptrIKjEEEESI_EEEEESK_NSA_INS5_IJNSC_16discard_iteratorINSC_11use_defaultEEESN_EEEEEPS7_SQ_SQ_NSC_11hip_rocprim7__merge17predicate_wrapperIjjNSC_4lessIjEEEEEE10hipError_tPvRmT0_T1_T2_T3_T4_T5_mmT6_P12ihipStream_tbEUlT_E_NS1_11comp_targetILNS1_3genE8ELNS1_11target_archE1030ELNS1_3gpuE2ELNS1_3repE0EEENS1_30default_config_static_selectorELNS0_4arch9wavefront6targetE0EEEvS11_.has_dyn_sized_stack, 0
	.set _ZN7rocprim17ROCPRIM_400000_NS6detail17trampoline_kernelINS0_14default_configENS1_21merge_config_selectorINS0_5tupleIJjjEEENS0_10empty_typeEEEZNS1_10merge_implIS3_NS0_12zip_iteratorINS5_IJN6thrust23THRUST_200600_302600_NS6detail15normal_iteratorINSC_10device_ptrIKjEEEESI_EEEEESK_NSA_INS5_IJNSC_16discard_iteratorINSC_11use_defaultEEESN_EEEEEPS7_SQ_SQ_NSC_11hip_rocprim7__merge17predicate_wrapperIjjNSC_4lessIjEEEEEE10hipError_tPvRmT0_T1_T2_T3_T4_T5_mmT6_P12ihipStream_tbEUlT_E_NS1_11comp_targetILNS1_3genE8ELNS1_11target_archE1030ELNS1_3gpuE2ELNS1_3repE0EEENS1_30default_config_static_selectorELNS0_4arch9wavefront6targetE0EEEvS11_.has_recursion, 0
	.set _ZN7rocprim17ROCPRIM_400000_NS6detail17trampoline_kernelINS0_14default_configENS1_21merge_config_selectorINS0_5tupleIJjjEEENS0_10empty_typeEEEZNS1_10merge_implIS3_NS0_12zip_iteratorINS5_IJN6thrust23THRUST_200600_302600_NS6detail15normal_iteratorINSC_10device_ptrIKjEEEESI_EEEEESK_NSA_INS5_IJNSC_16discard_iteratorINSC_11use_defaultEEESN_EEEEEPS7_SQ_SQ_NSC_11hip_rocprim7__merge17predicate_wrapperIjjNSC_4lessIjEEEEEE10hipError_tPvRmT0_T1_T2_T3_T4_T5_mmT6_P12ihipStream_tbEUlT_E_NS1_11comp_targetILNS1_3genE8ELNS1_11target_archE1030ELNS1_3gpuE2ELNS1_3repE0EEENS1_30default_config_static_selectorELNS0_4arch9wavefront6targetE0EEEvS11_.has_indirect_call, 0
	.section	.AMDGPU.csdata,"",@progbits
; Kernel info:
; codeLenInByte = 0
; TotalNumSgprs: 0
; NumVgprs: 0
; ScratchSize: 0
; MemoryBound: 0
; FloatMode: 240
; IeeeMode: 1
; LDSByteSize: 0 bytes/workgroup (compile time only)
; SGPRBlocks: 0
; VGPRBlocks: 0
; NumSGPRsForWavesPerEU: 1
; NumVGPRsForWavesPerEU: 1
; NamedBarCnt: 0
; Occupancy: 16
; WaveLimiterHint : 0
; COMPUTE_PGM_RSRC2:SCRATCH_EN: 0
; COMPUTE_PGM_RSRC2:USER_SGPR: 2
; COMPUTE_PGM_RSRC2:TRAP_HANDLER: 0
; COMPUTE_PGM_RSRC2:TGID_X_EN: 1
; COMPUTE_PGM_RSRC2:TGID_Y_EN: 0
; COMPUTE_PGM_RSRC2:TGID_Z_EN: 0
; COMPUTE_PGM_RSRC2:TIDIG_COMP_CNT: 0
	.section	.text._ZN7rocprim17ROCPRIM_400000_NS6detail17trampoline_kernelINS0_14default_configENS1_21merge_config_selectorINS0_5tupleIJjjEEENS0_10empty_typeEEEZNS1_10merge_implIS3_NS0_12zip_iteratorINS5_IJN6thrust23THRUST_200600_302600_NS6detail15normal_iteratorINSC_10device_ptrIKjEEEESI_EEEEESK_NSA_INS5_IJNSC_16discard_iteratorINSC_11use_defaultEEESN_EEEEEPS7_SQ_SQ_NSC_11hip_rocprim7__merge17predicate_wrapperIjjNSC_4lessIjEEEEEE10hipError_tPvRmT0_T1_T2_T3_T4_T5_mmT6_P12ihipStream_tbEUlT_E0_NS1_11comp_targetILNS1_3genE0ELNS1_11target_archE4294967295ELNS1_3gpuE0ELNS1_3repE0EEENS1_30default_config_static_selectorELNS0_4arch9wavefront6targetE0EEEvS11_,"axG",@progbits,_ZN7rocprim17ROCPRIM_400000_NS6detail17trampoline_kernelINS0_14default_configENS1_21merge_config_selectorINS0_5tupleIJjjEEENS0_10empty_typeEEEZNS1_10merge_implIS3_NS0_12zip_iteratorINS5_IJN6thrust23THRUST_200600_302600_NS6detail15normal_iteratorINSC_10device_ptrIKjEEEESI_EEEEESK_NSA_INS5_IJNSC_16discard_iteratorINSC_11use_defaultEEESN_EEEEEPS7_SQ_SQ_NSC_11hip_rocprim7__merge17predicate_wrapperIjjNSC_4lessIjEEEEEE10hipError_tPvRmT0_T1_T2_T3_T4_T5_mmT6_P12ihipStream_tbEUlT_E0_NS1_11comp_targetILNS1_3genE0ELNS1_11target_archE4294967295ELNS1_3gpuE0ELNS1_3repE0EEENS1_30default_config_static_selectorELNS0_4arch9wavefront6targetE0EEEvS11_,comdat
	.protected	_ZN7rocprim17ROCPRIM_400000_NS6detail17trampoline_kernelINS0_14default_configENS1_21merge_config_selectorINS0_5tupleIJjjEEENS0_10empty_typeEEEZNS1_10merge_implIS3_NS0_12zip_iteratorINS5_IJN6thrust23THRUST_200600_302600_NS6detail15normal_iteratorINSC_10device_ptrIKjEEEESI_EEEEESK_NSA_INS5_IJNSC_16discard_iteratorINSC_11use_defaultEEESN_EEEEEPS7_SQ_SQ_NSC_11hip_rocprim7__merge17predicate_wrapperIjjNSC_4lessIjEEEEEE10hipError_tPvRmT0_T1_T2_T3_T4_T5_mmT6_P12ihipStream_tbEUlT_E0_NS1_11comp_targetILNS1_3genE0ELNS1_11target_archE4294967295ELNS1_3gpuE0ELNS1_3repE0EEENS1_30default_config_static_selectorELNS0_4arch9wavefront6targetE0EEEvS11_ ; -- Begin function _ZN7rocprim17ROCPRIM_400000_NS6detail17trampoline_kernelINS0_14default_configENS1_21merge_config_selectorINS0_5tupleIJjjEEENS0_10empty_typeEEEZNS1_10merge_implIS3_NS0_12zip_iteratorINS5_IJN6thrust23THRUST_200600_302600_NS6detail15normal_iteratorINSC_10device_ptrIKjEEEESI_EEEEESK_NSA_INS5_IJNSC_16discard_iteratorINSC_11use_defaultEEESN_EEEEEPS7_SQ_SQ_NSC_11hip_rocprim7__merge17predicate_wrapperIjjNSC_4lessIjEEEEEE10hipError_tPvRmT0_T1_T2_T3_T4_T5_mmT6_P12ihipStream_tbEUlT_E0_NS1_11comp_targetILNS1_3genE0ELNS1_11target_archE4294967295ELNS1_3gpuE0ELNS1_3repE0EEENS1_30default_config_static_selectorELNS0_4arch9wavefront6targetE0EEEvS11_
	.globl	_ZN7rocprim17ROCPRIM_400000_NS6detail17trampoline_kernelINS0_14default_configENS1_21merge_config_selectorINS0_5tupleIJjjEEENS0_10empty_typeEEEZNS1_10merge_implIS3_NS0_12zip_iteratorINS5_IJN6thrust23THRUST_200600_302600_NS6detail15normal_iteratorINSC_10device_ptrIKjEEEESI_EEEEESK_NSA_INS5_IJNSC_16discard_iteratorINSC_11use_defaultEEESN_EEEEEPS7_SQ_SQ_NSC_11hip_rocprim7__merge17predicate_wrapperIjjNSC_4lessIjEEEEEE10hipError_tPvRmT0_T1_T2_T3_T4_T5_mmT6_P12ihipStream_tbEUlT_E0_NS1_11comp_targetILNS1_3genE0ELNS1_11target_archE4294967295ELNS1_3gpuE0ELNS1_3repE0EEENS1_30default_config_static_selectorELNS0_4arch9wavefront6targetE0EEEvS11_
	.p2align	8
	.type	_ZN7rocprim17ROCPRIM_400000_NS6detail17trampoline_kernelINS0_14default_configENS1_21merge_config_selectorINS0_5tupleIJjjEEENS0_10empty_typeEEEZNS1_10merge_implIS3_NS0_12zip_iteratorINS5_IJN6thrust23THRUST_200600_302600_NS6detail15normal_iteratorINSC_10device_ptrIKjEEEESI_EEEEESK_NSA_INS5_IJNSC_16discard_iteratorINSC_11use_defaultEEESN_EEEEEPS7_SQ_SQ_NSC_11hip_rocprim7__merge17predicate_wrapperIjjNSC_4lessIjEEEEEE10hipError_tPvRmT0_T1_T2_T3_T4_T5_mmT6_P12ihipStream_tbEUlT_E0_NS1_11comp_targetILNS1_3genE0ELNS1_11target_archE4294967295ELNS1_3gpuE0ELNS1_3repE0EEENS1_30default_config_static_selectorELNS0_4arch9wavefront6targetE0EEEvS11_,@function
_ZN7rocprim17ROCPRIM_400000_NS6detail17trampoline_kernelINS0_14default_configENS1_21merge_config_selectorINS0_5tupleIJjjEEENS0_10empty_typeEEEZNS1_10merge_implIS3_NS0_12zip_iteratorINS5_IJN6thrust23THRUST_200600_302600_NS6detail15normal_iteratorINSC_10device_ptrIKjEEEESI_EEEEESK_NSA_INS5_IJNSC_16discard_iteratorINSC_11use_defaultEEESN_EEEEEPS7_SQ_SQ_NSC_11hip_rocprim7__merge17predicate_wrapperIjjNSC_4lessIjEEEEEE10hipError_tPvRmT0_T1_T2_T3_T4_T5_mmT6_P12ihipStream_tbEUlT_E0_NS1_11comp_targetILNS1_3genE0ELNS1_11target_archE4294967295ELNS1_3gpuE0ELNS1_3repE0EEENS1_30default_config_static_selectorELNS0_4arch9wavefront6targetE0EEEvS11_: ; @_ZN7rocprim17ROCPRIM_400000_NS6detail17trampoline_kernelINS0_14default_configENS1_21merge_config_selectorINS0_5tupleIJjjEEENS0_10empty_typeEEEZNS1_10merge_implIS3_NS0_12zip_iteratorINS5_IJN6thrust23THRUST_200600_302600_NS6detail15normal_iteratorINSC_10device_ptrIKjEEEESI_EEEEESK_NSA_INS5_IJNSC_16discard_iteratorINSC_11use_defaultEEESN_EEEEEPS7_SQ_SQ_NSC_11hip_rocprim7__merge17predicate_wrapperIjjNSC_4lessIjEEEEEE10hipError_tPvRmT0_T1_T2_T3_T4_T5_mmT6_P12ihipStream_tbEUlT_E0_NS1_11comp_targetILNS1_3genE0ELNS1_11target_archE4294967295ELNS1_3gpuE0ELNS1_3repE0EEENS1_30default_config_static_selectorELNS0_4arch9wavefront6targetE0EEEvS11_
; %bb.0:
	s_clause 0x1
	s_load_b128 s[12:15], s[0:1], 0x68
	s_load_b256 s[4:11], s[0:1], 0x8
	s_bfe_u32 s2, ttmp6, 0x4000c
	s_and_b32 s3, ttmp6, 15
	s_add_co_i32 s2, s2, 1
	s_wait_kmcnt 0x0
	s_getreg_b32 s13, hwreg(HW_REG_IB_STS2, 6, 4)
	s_mul_i32 s2, ttmp9, s2
	v_mov_b32_e32 v1, 0
	s_add_co_i32 s3, s3, s2
	s_cmp_eq_u32 s13, 0
	s_cselect_b32 s2, ttmp9, s3
	s_delay_alu instid0(SALU_CYCLE_1) | instskip(SKIP_3) | instid1(SALU_CYCLE_1)
	s_mul_i32 s17, s2, 0x700
	s_add_co_i32 s16, s14, s12
	s_add_co_i32 s12, s2, 1
	;; [unrolled: 1-line block ×3, first 2 shown]
	s_lshr_b32 s3, s3, 8
	s_delay_alu instid0(SALU_CYCLE_1) | instskip(NEXT) | instid1(SALU_CYCLE_1)
	s_mul_hi_u32 s3, s3, 0x24924925
	s_min_u32 s13, s2, s3
	s_min_u32 s3, s12, s3
	s_clause 0x1
	s_load_b32 s12, s[4:5], s13 offset:0x0 scale_offset
	s_load_b32 s20, s[4:5], s3 offset:0x0 scale_offset
	s_load_b64 s[18:19], s[0:1], 0x28
	s_wait_xcnt 0x0
	s_mov_b32 s13, 0
	s_add_co_i32 s0, s17, 0x700
	s_mov_b32 s1, s13
	s_min_u32 s21, s16, s0
	s_wait_kmcnt 0x0
	s_sub_co_i32 s0, s17, s12
	s_lshl_b64 s[14:15], s[12:13], 2
	s_lshl_b64 s[4:5], s[0:1], 2
	s_add_co_i32 s0, s0, s20
	s_sub_co_i32 s12, s20, s12
	s_sub_co_i32 s0, s21, s0
	s_add_nc_u64 s[2:3], s[10:11], s[4:5]
	s_add_nc_u64 s[4:5], s[18:19], s[4:5]
	;; [unrolled: 1-line block ×3, first 2 shown]
	s_mov_b32 s1, exec_lo
	v_cmpx_le_u32_e64 s12, v0
	s_xor_b32 s1, exec_lo, s1
	s_cbranch_execz .LBB542_4
; %bb.1:
	s_mov_b32 s18, exec_lo
	v_cmpx_gt_u64_e64 s[10:11], v[0:1]
	s_cbranch_execz .LBB542_3
; %bb.2:
	v_subrev_nc_u32_e32 v4, s12, v0
	s_clause 0x1
	global_load_b32 v2, v4, s[2:3] scale_offset
	global_load_b32 v3, v4, s[4:5] scale_offset
	s_wait_xcnt 0x0
	v_lshlrev_b32_e32 v4, 3, v0
	s_wait_loadcnt 0x0
	ds_store_b64 v4, v[2:3]
.LBB542_3:
	s_or_b32 exec_lo, exec_lo, s18
.LBB542_4:
	s_or_saveexec_b32 s1, s1
	v_lshlrev_b32_e32 v4, 3, v0
	s_add_nc_u64 s[6:7], s[6:7], s[14:15]
	s_add_nc_u64 s[8:9], s[8:9], s[14:15]
	s_xor_b32 exec_lo, exec_lo, s1
	s_cbranch_execz .LBB542_6
; %bb.5:
	s_clause 0x1
	global_load_b32 v2, v0, s[6:7] scale_offset
	global_load_b32 v3, v0, s[8:9] scale_offset
	s_wait_loadcnt 0x0
	ds_store_b64 v4, v[2:3]
.LBB542_6:
	s_or_b32 exec_lo, exec_lo, s1
	v_or_b32_e32 v2, 0x100, v0
	s_mov_b32 s1, exec_lo
	s_delay_alu instid0(VALU_DEP_1)
	v_cmpx_le_u32_e64 s12, v2
	s_xor_b32 s1, exec_lo, s1
	s_cbranch_execz .LBB542_10
; %bb.7:
	v_mov_b32_e32 v3, 0
	s_mov_b32 s14, exec_lo
	s_delay_alu instid0(VALU_DEP_1)
	v_cmpx_gt_u64_e64 s[10:11], v[2:3]
	s_cbranch_execz .LBB542_9
; %bb.8:
	v_sub_nc_u64_e64 v[2:3], v[0:1], s[12:13]
	s_delay_alu instid0(VALU_DEP_1) | instskip(NEXT) | instid1(VALU_DEP_1)
	v_lshlrev_b64_e32 v[2:3], 2, v[2:3]
	v_add_nc_u64_e32 v[6:7], s[2:3], v[2:3]
	v_add_nc_u64_e32 v[2:3], s[4:5], v[2:3]
	global_load_b32 v8, v[6:7], off offset:1024
	global_load_b32 v9, v[2:3], off offset:1024
	s_wait_loadcnt 0x0
	ds_store_b64 v4, v[8:9] offset:2048
.LBB542_9:
	s_or_b32 exec_lo, exec_lo, s14
.LBB542_10:
	s_and_not1_saveexec_b32 s1, s1
	s_cbranch_execz .LBB542_12
; %bb.11:
	s_clause 0x1
	global_load_b32 v2, v0, s[6:7] offset:1024 scale_offset
	global_load_b32 v3, v0, s[8:9] offset:1024 scale_offset
	s_wait_loadcnt 0x0
	ds_store_b64 v4, v[2:3] offset:2048
.LBB542_12:
	s_or_b32 exec_lo, exec_lo, s1
	v_or_b32_e32 v2, 0x200, v0
	s_mov_b32 s1, exec_lo
	s_delay_alu instid0(VALU_DEP_1)
	v_cmpx_le_u32_e64 s12, v2
	s_xor_b32 s1, exec_lo, s1
	s_cbranch_execz .LBB542_16
; %bb.13:
	v_mov_b32_e32 v3, 0
	s_mov_b32 s14, exec_lo
	s_delay_alu instid0(VALU_DEP_1)
	v_cmpx_gt_u64_e64 s[10:11], v[2:3]
	s_cbranch_execz .LBB542_15
; %bb.14:
	v_sub_nc_u64_e64 v[2:3], v[0:1], s[12:13]
	s_delay_alu instid0(VALU_DEP_1) | instskip(NEXT) | instid1(VALU_DEP_1)
	v_lshlrev_b64_e32 v[2:3], 2, v[2:3]
	v_add_nc_u64_e32 v[6:7], s[2:3], v[2:3]
	v_add_nc_u64_e32 v[2:3], s[4:5], v[2:3]
	global_load_b32 v8, v[6:7], off offset:2048
	global_load_b32 v9, v[2:3], off offset:2048
	s_wait_loadcnt 0x0
	ds_store_b64 v4, v[8:9] offset:4096
.LBB542_15:
	s_or_b32 exec_lo, exec_lo, s14
.LBB542_16:
	s_and_not1_saveexec_b32 s1, s1
	s_cbranch_execz .LBB542_18
; %bb.17:
	s_clause 0x1
	global_load_b32 v2, v0, s[6:7] offset:2048 scale_offset
	global_load_b32 v3, v0, s[8:9] offset:2048 scale_offset
	s_wait_loadcnt 0x0
	ds_store_b64 v4, v[2:3] offset:4096
.LBB542_18:
	s_or_b32 exec_lo, exec_lo, s1
	v_or_b32_e32 v2, 0x300, v0
	s_mov_b32 s1, exec_lo
	s_delay_alu instid0(VALU_DEP_1)
	v_cmpx_le_u32_e64 s12, v2
	s_xor_b32 s1, exec_lo, s1
	s_cbranch_execz .LBB542_22
; %bb.19:
	v_mov_b32_e32 v3, 0
	s_mov_b32 s14, exec_lo
	s_delay_alu instid0(VALU_DEP_1)
	v_cmpx_gt_u64_e64 s[10:11], v[2:3]
	s_cbranch_execz .LBB542_21
; %bb.20:
	v_sub_nc_u64_e64 v[2:3], v[0:1], s[12:13]
	s_delay_alu instid0(VALU_DEP_1) | instskip(NEXT) | instid1(VALU_DEP_1)
	v_lshlrev_b64_e32 v[2:3], 2, v[2:3]
	v_add_nc_u64_e32 v[6:7], s[2:3], v[2:3]
	v_add_nc_u64_e32 v[2:3], s[4:5], v[2:3]
	global_load_b32 v8, v[6:7], off offset:3072
	global_load_b32 v9, v[2:3], off offset:3072
	s_wait_loadcnt 0x0
	ds_store_b64 v4, v[8:9] offset:6144
.LBB542_21:
	s_or_b32 exec_lo, exec_lo, s14
.LBB542_22:
	s_and_not1_saveexec_b32 s1, s1
	s_cbranch_execz .LBB542_24
; %bb.23:
	s_clause 0x1
	global_load_b32 v2, v0, s[6:7] offset:3072 scale_offset
	global_load_b32 v3, v0, s[8:9] offset:3072 scale_offset
	s_wait_loadcnt 0x0
	ds_store_b64 v4, v[2:3] offset:6144
.LBB542_24:
	s_or_b32 exec_lo, exec_lo, s1
	v_or_b32_e32 v2, 0x400, v0
	s_mov_b32 s1, exec_lo
	s_delay_alu instid0(VALU_DEP_1)
	v_cmpx_le_u32_e64 s12, v2
	s_xor_b32 s1, exec_lo, s1
	s_cbranch_execz .LBB542_28
; %bb.25:
	v_mov_b32_e32 v3, 0
	s_mov_b32 s14, exec_lo
	s_delay_alu instid0(VALU_DEP_1)
	v_cmpx_gt_u64_e64 s[10:11], v[2:3]
	s_cbranch_execz .LBB542_27
; %bb.26:
	v_sub_nc_u64_e64 v[2:3], v[0:1], s[12:13]
	s_delay_alu instid0(VALU_DEP_1) | instskip(NEXT) | instid1(VALU_DEP_1)
	v_lshlrev_b64_e32 v[2:3], 2, v[2:3]
	v_add_nc_u64_e32 v[6:7], s[2:3], v[2:3]
	v_add_nc_u64_e32 v[2:3], s[4:5], v[2:3]
	global_load_b32 v8, v[6:7], off offset:4096
	global_load_b32 v9, v[2:3], off offset:4096
	s_wait_loadcnt 0x0
	ds_store_b64 v4, v[8:9] offset:8192
.LBB542_27:
	s_or_b32 exec_lo, exec_lo, s14
.LBB542_28:
	s_and_not1_saveexec_b32 s1, s1
	s_cbranch_execz .LBB542_30
; %bb.29:
	s_clause 0x1
	global_load_b32 v2, v0, s[6:7] offset:4096 scale_offset
	global_load_b32 v3, v0, s[8:9] offset:4096 scale_offset
	s_wait_loadcnt 0x0
	ds_store_b64 v4, v[2:3] offset:8192
.LBB542_30:
	s_or_b32 exec_lo, exec_lo, s1
	v_or_b32_e32 v2, 0x500, v0
	s_mov_b32 s1, exec_lo
	s_delay_alu instid0(VALU_DEP_1)
	v_cmpx_le_u32_e64 s12, v2
	s_xor_b32 s1, exec_lo, s1
	s_cbranch_execz .LBB542_34
; %bb.31:
	v_mov_b32_e32 v3, 0
	s_mov_b32 s14, exec_lo
	s_delay_alu instid0(VALU_DEP_1)
	v_cmpx_gt_u64_e64 s[10:11], v[2:3]
	s_cbranch_execz .LBB542_33
; %bb.32:
	v_sub_nc_u64_e64 v[2:3], v[0:1], s[12:13]
	s_delay_alu instid0(VALU_DEP_1) | instskip(NEXT) | instid1(VALU_DEP_1)
	v_lshlrev_b64_e32 v[2:3], 2, v[2:3]
	v_add_nc_u64_e32 v[6:7], s[2:3], v[2:3]
	v_add_nc_u64_e32 v[2:3], s[4:5], v[2:3]
	global_load_b32 v8, v[6:7], off offset:5120
	global_load_b32 v9, v[2:3], off offset:5120
	s_wait_loadcnt 0x0
	ds_store_b64 v4, v[8:9] offset:10240
.LBB542_33:
	s_or_b32 exec_lo, exec_lo, s14
.LBB542_34:
	s_and_not1_saveexec_b32 s1, s1
	s_cbranch_execz .LBB542_36
; %bb.35:
	s_clause 0x1
	global_load_b32 v2, v0, s[6:7] offset:5120 scale_offset
	global_load_b32 v3, v0, s[8:9] offset:5120 scale_offset
	s_wait_loadcnt 0x0
	ds_store_b64 v4, v[2:3] offset:10240
.LBB542_36:
	s_or_b32 exec_lo, exec_lo, s1
	v_or_b32_e32 v2, 0x600, v0
	s_mov_b32 s1, exec_lo
	s_delay_alu instid0(VALU_DEP_1)
	v_cmpx_le_u32_e64 s12, v2
	s_xor_b32 s1, exec_lo, s1
	s_cbranch_execz .LBB542_40
; %bb.37:
	v_mov_b32_e32 v3, 0
	s_delay_alu instid0(VALU_DEP_1)
	v_cmp_gt_u64_e32 vcc_lo, s[10:11], v[2:3]
	s_and_saveexec_b32 s10, vcc_lo
	s_cbranch_execz .LBB542_39
; %bb.38:
	v_sub_nc_u64_e64 v[2:3], v[0:1], s[12:13]
	s_delay_alu instid0(VALU_DEP_1) | instskip(NEXT) | instid1(VALU_DEP_1)
	v_lshlrev_b64_e32 v[2:3], 2, v[2:3]
	v_add_nc_u64_e32 v[6:7], s[2:3], v[2:3]
	v_add_nc_u64_e32 v[2:3], s[4:5], v[2:3]
	global_load_b32 v8, v[6:7], off offset:6144
	global_load_b32 v9, v[2:3], off offset:6144
	s_wait_loadcnt 0x0
	ds_store_b64 v4, v[8:9] offset:12288
.LBB542_39:
	s_or_b32 exec_lo, exec_lo, s10
                                        ; implicit-def: $vgpr4
.LBB542_40:
	s_and_not1_saveexec_b32 s1, s1
	s_cbranch_execz .LBB542_42
; %bb.41:
	s_clause 0x1
	global_load_b32 v2, v0, s[6:7] offset:6144 scale_offset
	global_load_b32 v3, v0, s[8:9] offset:6144 scale_offset
	s_wait_loadcnt 0x0
	ds_store_b64 v4, v[2:3] offset:12288
.LBB542_42:
	s_or_b32 exec_lo, exec_lo, s1
	v_mul_u32_u24_e32 v0, 7, v0
	s_mov_b32 s1, exec_lo
	s_wait_dscnt 0x0
	s_barrier_signal -1
	s_barrier_wait -1
	v_sub_nc_u32_e64 v15, v0, s0 clamp
	v_min_u32_e32 v1, s12, v0
	v_lshlrev_b32_e32 v14, 3, v0
	s_delay_alu instid0(VALU_DEP_2)
	v_cmpx_lt_u32_e64 v15, v1
	s_cbranch_execz .LBB542_46
; %bb.43:
	s_delay_alu instid0(VALU_DEP_2)
	v_lshl_add_u32 v2, s12, 3, v14
	s_mov_b32 s2, 0
.LBB542_44:                             ; =>This Inner Loop Header: Depth=1
	v_add_nc_u32_e32 v3, v1, v15
	s_delay_alu instid0(VALU_DEP_1) | instskip(NEXT) | instid1(VALU_DEP_1)
	v_lshrrev_b32_e32 v3, 1, v3
	v_not_b32_e32 v4, v3
	v_dual_lshlrev_b32 v5, 3, v3 :: v_dual_add_nc_u32 v6, 1, v3
	s_delay_alu instid0(VALU_DEP_2)
	v_lshl_add_u32 v4, v4, 3, v2
	ds_load_b32 v5, v5
	ds_load_b32 v4, v4
	s_wait_dscnt 0x0
	v_cmp_lt_u32_e32 vcc_lo, v4, v5
	v_cndmask_b32_e32 v1, v1, v3, vcc_lo
	v_cndmask_b32_e32 v15, v6, v15, vcc_lo
	s_delay_alu instid0(VALU_DEP_1) | instskip(SKIP_1) | instid1(SALU_CYCLE_1)
	v_cmp_ge_u32_e32 vcc_lo, v15, v1
	s_or_b32 s2, vcc_lo, s2
	s_and_not1_b32 exec_lo, exec_lo, s2
	s_cbranch_execnz .LBB542_44
; %bb.45:
	s_or_b32 exec_lo, exec_lo, s2
.LBB542_46:
	s_delay_alu instid0(SALU_CYCLE_1)
	s_or_b32 exec_lo, exec_lo, s1
	v_add_nc_u32_e32 v4, s12, v0
	s_add_co_i32 s8, s0, s12
	v_cmp_ge_u32_e32 vcc_lo, s12, v15
	v_mov_b64_e32 v[0:1], 0
	v_mov_b64_e32 v[2:3], 0
	v_sub_nc_u32_e32 v16, v4, v15
	v_mov_b64_e32 v[4:5], 0
	v_mov_b64_e32 v[8:9], 0
	v_mov_b64_e32 v[6:7], 0
	v_mov_b64_e32 v[10:11], 0
	v_cmp_ge_u32_e64 s0, s8, v16
	v_mov_b64_e32 v[12:13], 0
	s_or_b32 s0, vcc_lo, s0
	s_delay_alu instid0(SALU_CYCLE_1)
	s_and_saveexec_b32 s7, s0
	s_cbranch_execz .LBB542_52
; %bb.47:
	v_cmp_gt_u32_e32 vcc_lo, s12, v15
	v_dual_mov_b32 v0, 0 :: v_dual_mov_b32 v2, 0
	v_mov_b32_e32 v3, 0
	s_and_saveexec_b32 s0, vcc_lo
; %bb.48:
	v_lshlrev_b32_e32 v1, 3, v15
	ds_load_b64 v[2:3], v1
; %bb.49:
	s_or_b32 exec_lo, exec_lo, s0
	v_cmp_le_u32_e64 s0, s8, v16
	v_mov_b32_e32 v1, 0
	s_mov_b32 s2, exec_lo
	v_cmpx_gt_u32_e64 s8, v16
; %bb.50:
	v_lshlrev_b32_e32 v0, 3, v16
	ds_load_b64 v[0:1], v0
; %bb.51:
	s_or_b32 exec_lo, exec_lo, s2
	s_wait_dscnt 0x0
	v_cmp_ge_u32_e64 s1, v0, v2
	s_and_b32 s1, vcc_lo, s1
	s_delay_alu instid0(SALU_CYCLE_1) | instskip(SKIP_1) | instid1(VALU_DEP_1)
	s_or_b32 vcc_lo, s0, s1
	v_dual_mov_b32 v17, s12 :: v_dual_cndmask_b32 v4, v16, v15
	v_dual_cndmask_b32 v5, s8, v17 :: v_dual_add_nc_u32 v6, 1, v4
	s_delay_alu instid0(VALU_DEP_1) | instskip(SKIP_1) | instid1(VALU_DEP_2)
	v_add_min_u32_e64 v4, v5, -1, v6
	v_dual_cndmask_b32 v8, v15, v6 :: v_dual_cndmask_b32 v9, v6, v16
	v_lshlrev_b32_e32 v4, 3, v4
	s_delay_alu instid0(VALU_DEP_2) | instskip(NEXT) | instid1(VALU_DEP_3)
	v_cmp_gt_u32_e64 s0, s12, v8
	v_cmp_le_u32_e64 s2, s8, v9
	ds_load_b64 v[4:5], v4
	s_wait_dscnt 0x0
	v_cndmask_b32_e32 v15, v4, v0, vcc_lo
	v_dual_cndmask_b32 v4, v2, v4 :: v_dual_cndmask_b32 v25, v5, v1
	v_dual_cndmask_b32 v5, v3, v5, vcc_lo :: v_dual_cndmask_b32 v1, v1, v3, vcc_lo
	s_delay_alu instid0(VALU_DEP_2) | instskip(SKIP_1) | instid1(SALU_CYCLE_1)
	v_cmp_ge_u32_e64 s1, v15, v4
	s_and_b32 s0, s0, s1
	s_or_b32 s0, s2, s0
	s_delay_alu instid0(SALU_CYCLE_1) | instskip(SKIP_1) | instid1(VALU_DEP_1)
	v_dual_cndmask_b32 v0, v0, v2, vcc_lo :: v_dual_cndmask_b32 v3, v25, v5, s0
	v_cndmask_b32_e64 v6, v9, v8, s0
	v_dual_cndmask_b32 v7, s8, v17, s0 :: v_dual_add_nc_u32 v10, 1, v6
	s_delay_alu instid0(VALU_DEP_1) | instskip(SKIP_1) | instid1(VALU_DEP_2)
	v_add_min_u32_e64 v6, v7, -1, v10
	v_dual_cndmask_b32 v11, v8, v10, s0 :: v_dual_cndmask_b32 v10, v10, v9, s0
	v_lshlrev_b32_e32 v6, 3, v6
	s_delay_alu instid0(VALU_DEP_2) | instskip(NEXT) | instid1(VALU_DEP_3)
	v_cmp_gt_u32_e64 s1, s12, v11
	v_cmp_le_u32_e64 s3, s8, v10
	ds_load_b64 v[6:7], v6
	s_wait_dscnt 0x0
	v_dual_cndmask_b32 v18, v6, v15, s0 :: v_dual_cndmask_b32 v6, v4, v6, s0
	v_dual_cndmask_b32 v26, v7, v25, s0 :: v_dual_cndmask_b32 v7, v5, v7, s0
	s_delay_alu instid0(VALU_DEP_2) | instskip(SKIP_1) | instid1(SALU_CYCLE_1)
	v_cmp_ge_u32_e64 s2, v18, v6
	s_and_b32 s1, s1, s2
	s_or_b32 s1, s3, s1
	s_delay_alu instid0(SALU_CYCLE_1) | instskip(NEXT) | instid1(VALU_DEP_1)
	v_cndmask_b32_e64 v8, v10, v11, s1
	v_dual_cndmask_b32 v9, s8, v17, s1 :: v_dual_add_nc_u32 v12, 1, v8
	s_delay_alu instid0(VALU_DEP_1) | instskip(SKIP_1) | instid1(VALU_DEP_2)
	v_add_min_u32_e64 v8, v9, -1, v12
	v_dual_cndmask_b32 v13, v11, v12, s1 :: v_dual_cndmask_b32 v12, v12, v10, s1
	v_lshlrev_b32_e32 v8, 3, v8
	s_delay_alu instid0(VALU_DEP_2) | instskip(NEXT) | instid1(VALU_DEP_3)
	v_cmp_gt_u32_e64 s2, s12, v13
	v_cmp_le_u32_e64 s4, s8, v12
	ds_load_b64 v[8:9], v8
	s_wait_dscnt 0x0
	v_dual_cndmask_b32 v19, v8, v18, s1 :: v_dual_cndmask_b32 v8, v6, v8, s1
	v_dual_cndmask_b32 v27, v9, v26, s1 :: v_dual_cndmask_b32 v9, v7, v9, s1
	s_delay_alu instid0(VALU_DEP_2) | instskip(SKIP_1) | instid1(SALU_CYCLE_1)
	v_cmp_ge_u32_e64 s3, v19, v8
	s_and_b32 s2, s2, s3
	s_or_b32 s2, s4, s2
	s_delay_alu instid0(SALU_CYCLE_1) | instskip(NEXT) | instid1(VALU_DEP_1)
	v_dual_cndmask_b32 v5, v26, v7, s1 :: v_dual_cndmask_b32 v10, v12, v13, s2
	v_dual_cndmask_b32 v11, s8, v17, s2 :: v_dual_add_nc_u32 v16, 1, v10
	s_delay_alu instid0(VALU_DEP_1) | instskip(SKIP_1) | instid1(VALU_DEP_2)
	v_add_min_u32_e64 v10, v11, -1, v16
	v_cndmask_b32_e64 v20, v13, v16, s2
	v_dual_cndmask_b32 v16, v16, v12, s2 :: v_dual_lshlrev_b32 v10, 3, v10
	s_delay_alu instid0(VALU_DEP_2) | instskip(NEXT) | instid1(VALU_DEP_2)
	v_cmp_gt_u32_e64 s3, s12, v20
	v_cmp_le_u32_e64 s5, s8, v16
	ds_load_b64 v[10:11], v10
	v_dual_cndmask_b32 v2, v15, v4, s0 :: v_dual_cndmask_b32 v4, v18, v6, s1
	s_wait_dscnt 0x0
	v_cndmask_b32_e64 v15, v11, v27, s2
	v_dual_cndmask_b32 v21, v10, v19, s2 :: v_dual_cndmask_b32 v10, v8, v10, s2
	v_dual_cndmask_b32 v11, v9, v11, s2 :: v_dual_cndmask_b32 v9, v27, v9, s2
	s_delay_alu instid0(VALU_DEP_2) | instskip(SKIP_1) | instid1(SALU_CYCLE_1)
	v_cmp_ge_u32_e64 s4, v21, v10
	s_and_b32 s3, s3, s4
	s_or_b32 s3, s5, s3
	s_delay_alu instid0(SALU_CYCLE_1) | instskip(SKIP_1) | instid1(VALU_DEP_1)
	v_dual_cndmask_b32 v8, v19, v8, s2 :: v_dual_cndmask_b32 v6, v21, v10, s3
	v_cndmask_b32_e64 v12, v16, v20, s3
	v_dual_cndmask_b32 v13, s8, v17, s3 :: v_dual_add_nc_u32 v22, 1, v12
	s_delay_alu instid0(VALU_DEP_1) | instskip(NEXT) | instid1(VALU_DEP_1)
	v_add_min_u32_e64 v12, v13, -1, v22
	v_lshlrev_b32_e32 v12, 3, v12
	ds_load_b64 v[12:13], v12
	v_dual_cndmask_b32 v20, v20, v22, s3 :: v_dual_cndmask_b32 v22, v22, v16, s3
	s_delay_alu instid0(VALU_DEP_1) | instskip(SKIP_2) | instid1(VALU_DEP_3)
	v_cmp_le_u32_e64 s6, s8, v22
	s_wait_dscnt 0x0
	v_dual_cndmask_b32 v23, v12, v21, s3 :: v_dual_cndmask_b32 v12, v10, v12, s3
	v_cmp_gt_u32_e64 s4, s12, v20
	s_delay_alu instid0(VALU_DEP_2) | instskip(SKIP_1) | instid1(SALU_CYCLE_1)
	v_cmp_ge_u32_e64 s5, v23, v12
	s_and_b32 s4, s4, s5
	s_or_b32 s4, s6, s4
	s_delay_alu instid0(SALU_CYCLE_1) | instskip(NEXT) | instid1(VALU_DEP_1)
	v_cndmask_b32_e64 v16, v22, v20, s4
	v_dual_cndmask_b32 v17, s8, v17, s4 :: v_dual_add_nc_u32 v24, 1, v16
	v_cndmask_b32_e64 v7, v15, v11, s3
	v_dual_cndmask_b32 v15, v13, v15, s3 :: v_dual_cndmask_b32 v11, v11, v13, s3
	s_delay_alu instid0(VALU_DEP_3) | instskip(SKIP_1) | instid1(VALU_DEP_2)
	v_add_min_u32_e64 v16, v17, -1, v24
	v_cndmask_b32_e64 v10, v20, v24, s4
	v_lshlrev_b32_e32 v16, 3, v16
	s_delay_alu instid0(VALU_DEP_2)
	v_cmp_gt_u32_e32 vcc_lo, s12, v10
	v_cndmask_b32_e64 v10, v23, v12, s4
	ds_load_b64 v[16:17], v16
	s_wait_dscnt 0x0
	v_dual_cndmask_b32 v19, v24, v22, s4 :: v_dual_cndmask_b32 v13, v17, v15, s4
	v_cndmask_b32_e64 v18, v16, v23, s4
	v_cndmask_b32_e64 v16, v12, v16, s4
	s_delay_alu instid0(VALU_DEP_3) | instskip(NEXT) | instid1(VALU_DEP_2)
	v_cmp_le_u32_e64 s1, s8, v19
	v_cmp_ge_u32_e64 s0, v18, v16
	s_and_b32 s0, vcc_lo, s0
	s_delay_alu instid0(SALU_CYCLE_1) | instskip(NEXT) | instid1(SALU_CYCLE_1)
	s_or_b32 vcc_lo, s1, s0
	v_dual_cndmask_b32 v17, v11, v17, s4 :: v_dual_cndmask_b32 v12, v18, v16, vcc_lo
	s_delay_alu instid0(VALU_DEP_1)
	v_dual_cndmask_b32 v11, v15, v11, s4 :: v_dual_cndmask_b32 v13, v13, v17, vcc_lo
.LBB542_52:
	s_or_b32 exec_lo, exec_lo, s7
	s_sub_co_i32 s0, s16, s17
	s_delay_alu instid0(SALU_CYCLE_1)
	s_cmp_gt_u32 s0, 0x6ff
	s_mov_b32 s0, -1
	s_barrier_signal -1
	s_barrier_wait -1
	ds_store_2addr_b64 v14, v[0:1], v[2:3] offset1:1
	ds_store_2addr_b64 v14, v[4:5], v[8:9] offset0:2 offset1:3
	ds_store_2addr_b64 v14, v[6:7], v[10:11] offset0:4 offset1:5
	ds_store_b64 v14, v[12:13] offset:48
	s_wait_dscnt 0x0
	s_cbranch_scc1 .LBB542_55
; %bb.53:
	s_and_not1_b32 vcc_lo, exec_lo, s0
	s_cbranch_vccz .LBB542_56
.LBB542_54:
	s_endpgm
.LBB542_55:
	s_barrier_signal -1
	s_barrier_wait -1
	s_cbranch_execnz .LBB542_54
.LBB542_56:
	s_barrier_signal -1
	s_barrier_wait -1
	s_endpgm
	.section	.rodata,"a",@progbits
	.p2align	6, 0x0
	.amdhsa_kernel _ZN7rocprim17ROCPRIM_400000_NS6detail17trampoline_kernelINS0_14default_configENS1_21merge_config_selectorINS0_5tupleIJjjEEENS0_10empty_typeEEEZNS1_10merge_implIS3_NS0_12zip_iteratorINS5_IJN6thrust23THRUST_200600_302600_NS6detail15normal_iteratorINSC_10device_ptrIKjEEEESI_EEEEESK_NSA_INS5_IJNSC_16discard_iteratorINSC_11use_defaultEEESN_EEEEEPS7_SQ_SQ_NSC_11hip_rocprim7__merge17predicate_wrapperIjjNSC_4lessIjEEEEEE10hipError_tPvRmT0_T1_T2_T3_T4_T5_mmT6_P12ihipStream_tbEUlT_E0_NS1_11comp_targetILNS1_3genE0ELNS1_11target_archE4294967295ELNS1_3gpuE0ELNS1_3repE0EEENS1_30default_config_static_selectorELNS0_4arch9wavefront6targetE0EEEvS11_
		.amdhsa_group_segment_fixed_size 14352
		.amdhsa_private_segment_fixed_size 0
		.amdhsa_kernarg_size 128
		.amdhsa_user_sgpr_count 2
		.amdhsa_user_sgpr_dispatch_ptr 0
		.amdhsa_user_sgpr_queue_ptr 0
		.amdhsa_user_sgpr_kernarg_segment_ptr 1
		.amdhsa_user_sgpr_dispatch_id 0
		.amdhsa_user_sgpr_kernarg_preload_length 0
		.amdhsa_user_sgpr_kernarg_preload_offset 0
		.amdhsa_user_sgpr_private_segment_size 0
		.amdhsa_wavefront_size32 1
		.amdhsa_uses_dynamic_stack 0
		.amdhsa_enable_private_segment 0
		.amdhsa_system_sgpr_workgroup_id_x 1
		.amdhsa_system_sgpr_workgroup_id_y 0
		.amdhsa_system_sgpr_workgroup_id_z 0
		.amdhsa_system_sgpr_workgroup_info 0
		.amdhsa_system_vgpr_workitem_id 0
		.amdhsa_next_free_vgpr 28
		.amdhsa_next_free_sgpr 22
		.amdhsa_named_barrier_count 0
		.amdhsa_reserve_vcc 1
		.amdhsa_float_round_mode_32 0
		.amdhsa_float_round_mode_16_64 0
		.amdhsa_float_denorm_mode_32 3
		.amdhsa_float_denorm_mode_16_64 3
		.amdhsa_fp16_overflow 0
		.amdhsa_memory_ordered 1
		.amdhsa_forward_progress 1
		.amdhsa_inst_pref_size 22
		.amdhsa_round_robin_scheduling 0
		.amdhsa_exception_fp_ieee_invalid_op 0
		.amdhsa_exception_fp_denorm_src 0
		.amdhsa_exception_fp_ieee_div_zero 0
		.amdhsa_exception_fp_ieee_overflow 0
		.amdhsa_exception_fp_ieee_underflow 0
		.amdhsa_exception_fp_ieee_inexact 0
		.amdhsa_exception_int_div_zero 0
	.end_amdhsa_kernel
	.section	.text._ZN7rocprim17ROCPRIM_400000_NS6detail17trampoline_kernelINS0_14default_configENS1_21merge_config_selectorINS0_5tupleIJjjEEENS0_10empty_typeEEEZNS1_10merge_implIS3_NS0_12zip_iteratorINS5_IJN6thrust23THRUST_200600_302600_NS6detail15normal_iteratorINSC_10device_ptrIKjEEEESI_EEEEESK_NSA_INS5_IJNSC_16discard_iteratorINSC_11use_defaultEEESN_EEEEEPS7_SQ_SQ_NSC_11hip_rocprim7__merge17predicate_wrapperIjjNSC_4lessIjEEEEEE10hipError_tPvRmT0_T1_T2_T3_T4_T5_mmT6_P12ihipStream_tbEUlT_E0_NS1_11comp_targetILNS1_3genE0ELNS1_11target_archE4294967295ELNS1_3gpuE0ELNS1_3repE0EEENS1_30default_config_static_selectorELNS0_4arch9wavefront6targetE0EEEvS11_,"axG",@progbits,_ZN7rocprim17ROCPRIM_400000_NS6detail17trampoline_kernelINS0_14default_configENS1_21merge_config_selectorINS0_5tupleIJjjEEENS0_10empty_typeEEEZNS1_10merge_implIS3_NS0_12zip_iteratorINS5_IJN6thrust23THRUST_200600_302600_NS6detail15normal_iteratorINSC_10device_ptrIKjEEEESI_EEEEESK_NSA_INS5_IJNSC_16discard_iteratorINSC_11use_defaultEEESN_EEEEEPS7_SQ_SQ_NSC_11hip_rocprim7__merge17predicate_wrapperIjjNSC_4lessIjEEEEEE10hipError_tPvRmT0_T1_T2_T3_T4_T5_mmT6_P12ihipStream_tbEUlT_E0_NS1_11comp_targetILNS1_3genE0ELNS1_11target_archE4294967295ELNS1_3gpuE0ELNS1_3repE0EEENS1_30default_config_static_selectorELNS0_4arch9wavefront6targetE0EEEvS11_,comdat
.Lfunc_end542:
	.size	_ZN7rocprim17ROCPRIM_400000_NS6detail17trampoline_kernelINS0_14default_configENS1_21merge_config_selectorINS0_5tupleIJjjEEENS0_10empty_typeEEEZNS1_10merge_implIS3_NS0_12zip_iteratorINS5_IJN6thrust23THRUST_200600_302600_NS6detail15normal_iteratorINSC_10device_ptrIKjEEEESI_EEEEESK_NSA_INS5_IJNSC_16discard_iteratorINSC_11use_defaultEEESN_EEEEEPS7_SQ_SQ_NSC_11hip_rocprim7__merge17predicate_wrapperIjjNSC_4lessIjEEEEEE10hipError_tPvRmT0_T1_T2_T3_T4_T5_mmT6_P12ihipStream_tbEUlT_E0_NS1_11comp_targetILNS1_3genE0ELNS1_11target_archE4294967295ELNS1_3gpuE0ELNS1_3repE0EEENS1_30default_config_static_selectorELNS0_4arch9wavefront6targetE0EEEvS11_, .Lfunc_end542-_ZN7rocprim17ROCPRIM_400000_NS6detail17trampoline_kernelINS0_14default_configENS1_21merge_config_selectorINS0_5tupleIJjjEEENS0_10empty_typeEEEZNS1_10merge_implIS3_NS0_12zip_iteratorINS5_IJN6thrust23THRUST_200600_302600_NS6detail15normal_iteratorINSC_10device_ptrIKjEEEESI_EEEEESK_NSA_INS5_IJNSC_16discard_iteratorINSC_11use_defaultEEESN_EEEEEPS7_SQ_SQ_NSC_11hip_rocprim7__merge17predicate_wrapperIjjNSC_4lessIjEEEEEE10hipError_tPvRmT0_T1_T2_T3_T4_T5_mmT6_P12ihipStream_tbEUlT_E0_NS1_11comp_targetILNS1_3genE0ELNS1_11target_archE4294967295ELNS1_3gpuE0ELNS1_3repE0EEENS1_30default_config_static_selectorELNS0_4arch9wavefront6targetE0EEEvS11_
                                        ; -- End function
	.set _ZN7rocprim17ROCPRIM_400000_NS6detail17trampoline_kernelINS0_14default_configENS1_21merge_config_selectorINS0_5tupleIJjjEEENS0_10empty_typeEEEZNS1_10merge_implIS3_NS0_12zip_iteratorINS5_IJN6thrust23THRUST_200600_302600_NS6detail15normal_iteratorINSC_10device_ptrIKjEEEESI_EEEEESK_NSA_INS5_IJNSC_16discard_iteratorINSC_11use_defaultEEESN_EEEEEPS7_SQ_SQ_NSC_11hip_rocprim7__merge17predicate_wrapperIjjNSC_4lessIjEEEEEE10hipError_tPvRmT0_T1_T2_T3_T4_T5_mmT6_P12ihipStream_tbEUlT_E0_NS1_11comp_targetILNS1_3genE0ELNS1_11target_archE4294967295ELNS1_3gpuE0ELNS1_3repE0EEENS1_30default_config_static_selectorELNS0_4arch9wavefront6targetE0EEEvS11_.num_vgpr, 28
	.set _ZN7rocprim17ROCPRIM_400000_NS6detail17trampoline_kernelINS0_14default_configENS1_21merge_config_selectorINS0_5tupleIJjjEEENS0_10empty_typeEEEZNS1_10merge_implIS3_NS0_12zip_iteratorINS5_IJN6thrust23THRUST_200600_302600_NS6detail15normal_iteratorINSC_10device_ptrIKjEEEESI_EEEEESK_NSA_INS5_IJNSC_16discard_iteratorINSC_11use_defaultEEESN_EEEEEPS7_SQ_SQ_NSC_11hip_rocprim7__merge17predicate_wrapperIjjNSC_4lessIjEEEEEE10hipError_tPvRmT0_T1_T2_T3_T4_T5_mmT6_P12ihipStream_tbEUlT_E0_NS1_11comp_targetILNS1_3genE0ELNS1_11target_archE4294967295ELNS1_3gpuE0ELNS1_3repE0EEENS1_30default_config_static_selectorELNS0_4arch9wavefront6targetE0EEEvS11_.num_agpr, 0
	.set _ZN7rocprim17ROCPRIM_400000_NS6detail17trampoline_kernelINS0_14default_configENS1_21merge_config_selectorINS0_5tupleIJjjEEENS0_10empty_typeEEEZNS1_10merge_implIS3_NS0_12zip_iteratorINS5_IJN6thrust23THRUST_200600_302600_NS6detail15normal_iteratorINSC_10device_ptrIKjEEEESI_EEEEESK_NSA_INS5_IJNSC_16discard_iteratorINSC_11use_defaultEEESN_EEEEEPS7_SQ_SQ_NSC_11hip_rocprim7__merge17predicate_wrapperIjjNSC_4lessIjEEEEEE10hipError_tPvRmT0_T1_T2_T3_T4_T5_mmT6_P12ihipStream_tbEUlT_E0_NS1_11comp_targetILNS1_3genE0ELNS1_11target_archE4294967295ELNS1_3gpuE0ELNS1_3repE0EEENS1_30default_config_static_selectorELNS0_4arch9wavefront6targetE0EEEvS11_.numbered_sgpr, 22
	.set _ZN7rocprim17ROCPRIM_400000_NS6detail17trampoline_kernelINS0_14default_configENS1_21merge_config_selectorINS0_5tupleIJjjEEENS0_10empty_typeEEEZNS1_10merge_implIS3_NS0_12zip_iteratorINS5_IJN6thrust23THRUST_200600_302600_NS6detail15normal_iteratorINSC_10device_ptrIKjEEEESI_EEEEESK_NSA_INS5_IJNSC_16discard_iteratorINSC_11use_defaultEEESN_EEEEEPS7_SQ_SQ_NSC_11hip_rocprim7__merge17predicate_wrapperIjjNSC_4lessIjEEEEEE10hipError_tPvRmT0_T1_T2_T3_T4_T5_mmT6_P12ihipStream_tbEUlT_E0_NS1_11comp_targetILNS1_3genE0ELNS1_11target_archE4294967295ELNS1_3gpuE0ELNS1_3repE0EEENS1_30default_config_static_selectorELNS0_4arch9wavefront6targetE0EEEvS11_.num_named_barrier, 0
	.set _ZN7rocprim17ROCPRIM_400000_NS6detail17trampoline_kernelINS0_14default_configENS1_21merge_config_selectorINS0_5tupleIJjjEEENS0_10empty_typeEEEZNS1_10merge_implIS3_NS0_12zip_iteratorINS5_IJN6thrust23THRUST_200600_302600_NS6detail15normal_iteratorINSC_10device_ptrIKjEEEESI_EEEEESK_NSA_INS5_IJNSC_16discard_iteratorINSC_11use_defaultEEESN_EEEEEPS7_SQ_SQ_NSC_11hip_rocprim7__merge17predicate_wrapperIjjNSC_4lessIjEEEEEE10hipError_tPvRmT0_T1_T2_T3_T4_T5_mmT6_P12ihipStream_tbEUlT_E0_NS1_11comp_targetILNS1_3genE0ELNS1_11target_archE4294967295ELNS1_3gpuE0ELNS1_3repE0EEENS1_30default_config_static_selectorELNS0_4arch9wavefront6targetE0EEEvS11_.private_seg_size, 0
	.set _ZN7rocprim17ROCPRIM_400000_NS6detail17trampoline_kernelINS0_14default_configENS1_21merge_config_selectorINS0_5tupleIJjjEEENS0_10empty_typeEEEZNS1_10merge_implIS3_NS0_12zip_iteratorINS5_IJN6thrust23THRUST_200600_302600_NS6detail15normal_iteratorINSC_10device_ptrIKjEEEESI_EEEEESK_NSA_INS5_IJNSC_16discard_iteratorINSC_11use_defaultEEESN_EEEEEPS7_SQ_SQ_NSC_11hip_rocprim7__merge17predicate_wrapperIjjNSC_4lessIjEEEEEE10hipError_tPvRmT0_T1_T2_T3_T4_T5_mmT6_P12ihipStream_tbEUlT_E0_NS1_11comp_targetILNS1_3genE0ELNS1_11target_archE4294967295ELNS1_3gpuE0ELNS1_3repE0EEENS1_30default_config_static_selectorELNS0_4arch9wavefront6targetE0EEEvS11_.uses_vcc, 1
	.set _ZN7rocprim17ROCPRIM_400000_NS6detail17trampoline_kernelINS0_14default_configENS1_21merge_config_selectorINS0_5tupleIJjjEEENS0_10empty_typeEEEZNS1_10merge_implIS3_NS0_12zip_iteratorINS5_IJN6thrust23THRUST_200600_302600_NS6detail15normal_iteratorINSC_10device_ptrIKjEEEESI_EEEEESK_NSA_INS5_IJNSC_16discard_iteratorINSC_11use_defaultEEESN_EEEEEPS7_SQ_SQ_NSC_11hip_rocprim7__merge17predicate_wrapperIjjNSC_4lessIjEEEEEE10hipError_tPvRmT0_T1_T2_T3_T4_T5_mmT6_P12ihipStream_tbEUlT_E0_NS1_11comp_targetILNS1_3genE0ELNS1_11target_archE4294967295ELNS1_3gpuE0ELNS1_3repE0EEENS1_30default_config_static_selectorELNS0_4arch9wavefront6targetE0EEEvS11_.uses_flat_scratch, 0
	.set _ZN7rocprim17ROCPRIM_400000_NS6detail17trampoline_kernelINS0_14default_configENS1_21merge_config_selectorINS0_5tupleIJjjEEENS0_10empty_typeEEEZNS1_10merge_implIS3_NS0_12zip_iteratorINS5_IJN6thrust23THRUST_200600_302600_NS6detail15normal_iteratorINSC_10device_ptrIKjEEEESI_EEEEESK_NSA_INS5_IJNSC_16discard_iteratorINSC_11use_defaultEEESN_EEEEEPS7_SQ_SQ_NSC_11hip_rocprim7__merge17predicate_wrapperIjjNSC_4lessIjEEEEEE10hipError_tPvRmT0_T1_T2_T3_T4_T5_mmT6_P12ihipStream_tbEUlT_E0_NS1_11comp_targetILNS1_3genE0ELNS1_11target_archE4294967295ELNS1_3gpuE0ELNS1_3repE0EEENS1_30default_config_static_selectorELNS0_4arch9wavefront6targetE0EEEvS11_.has_dyn_sized_stack, 0
	.set _ZN7rocprim17ROCPRIM_400000_NS6detail17trampoline_kernelINS0_14default_configENS1_21merge_config_selectorINS0_5tupleIJjjEEENS0_10empty_typeEEEZNS1_10merge_implIS3_NS0_12zip_iteratorINS5_IJN6thrust23THRUST_200600_302600_NS6detail15normal_iteratorINSC_10device_ptrIKjEEEESI_EEEEESK_NSA_INS5_IJNSC_16discard_iteratorINSC_11use_defaultEEESN_EEEEEPS7_SQ_SQ_NSC_11hip_rocprim7__merge17predicate_wrapperIjjNSC_4lessIjEEEEEE10hipError_tPvRmT0_T1_T2_T3_T4_T5_mmT6_P12ihipStream_tbEUlT_E0_NS1_11comp_targetILNS1_3genE0ELNS1_11target_archE4294967295ELNS1_3gpuE0ELNS1_3repE0EEENS1_30default_config_static_selectorELNS0_4arch9wavefront6targetE0EEEvS11_.has_recursion, 0
	.set _ZN7rocprim17ROCPRIM_400000_NS6detail17trampoline_kernelINS0_14default_configENS1_21merge_config_selectorINS0_5tupleIJjjEEENS0_10empty_typeEEEZNS1_10merge_implIS3_NS0_12zip_iteratorINS5_IJN6thrust23THRUST_200600_302600_NS6detail15normal_iteratorINSC_10device_ptrIKjEEEESI_EEEEESK_NSA_INS5_IJNSC_16discard_iteratorINSC_11use_defaultEEESN_EEEEEPS7_SQ_SQ_NSC_11hip_rocprim7__merge17predicate_wrapperIjjNSC_4lessIjEEEEEE10hipError_tPvRmT0_T1_T2_T3_T4_T5_mmT6_P12ihipStream_tbEUlT_E0_NS1_11comp_targetILNS1_3genE0ELNS1_11target_archE4294967295ELNS1_3gpuE0ELNS1_3repE0EEENS1_30default_config_static_selectorELNS0_4arch9wavefront6targetE0EEEvS11_.has_indirect_call, 0
	.section	.AMDGPU.csdata,"",@progbits
; Kernel info:
; codeLenInByte = 2700
; TotalNumSgprs: 24
; NumVgprs: 28
; ScratchSize: 0
; MemoryBound: 0
; FloatMode: 240
; IeeeMode: 1
; LDSByteSize: 14352 bytes/workgroup (compile time only)
; SGPRBlocks: 0
; VGPRBlocks: 1
; NumSGPRsForWavesPerEU: 24
; NumVGPRsForWavesPerEU: 28
; NamedBarCnt: 0
; Occupancy: 16
; WaveLimiterHint : 1
; COMPUTE_PGM_RSRC2:SCRATCH_EN: 0
; COMPUTE_PGM_RSRC2:USER_SGPR: 2
; COMPUTE_PGM_RSRC2:TRAP_HANDLER: 0
; COMPUTE_PGM_RSRC2:TGID_X_EN: 1
; COMPUTE_PGM_RSRC2:TGID_Y_EN: 0
; COMPUTE_PGM_RSRC2:TGID_Z_EN: 0
; COMPUTE_PGM_RSRC2:TIDIG_COMP_CNT: 0
	.section	.text._ZN7rocprim17ROCPRIM_400000_NS6detail17trampoline_kernelINS0_14default_configENS1_21merge_config_selectorINS0_5tupleIJjjEEENS0_10empty_typeEEEZNS1_10merge_implIS3_NS0_12zip_iteratorINS5_IJN6thrust23THRUST_200600_302600_NS6detail15normal_iteratorINSC_10device_ptrIKjEEEESI_EEEEESK_NSA_INS5_IJNSC_16discard_iteratorINSC_11use_defaultEEESN_EEEEEPS7_SQ_SQ_NSC_11hip_rocprim7__merge17predicate_wrapperIjjNSC_4lessIjEEEEEE10hipError_tPvRmT0_T1_T2_T3_T4_T5_mmT6_P12ihipStream_tbEUlT_E0_NS1_11comp_targetILNS1_3genE5ELNS1_11target_archE942ELNS1_3gpuE9ELNS1_3repE0EEENS1_30default_config_static_selectorELNS0_4arch9wavefront6targetE0EEEvS11_,"axG",@progbits,_ZN7rocprim17ROCPRIM_400000_NS6detail17trampoline_kernelINS0_14default_configENS1_21merge_config_selectorINS0_5tupleIJjjEEENS0_10empty_typeEEEZNS1_10merge_implIS3_NS0_12zip_iteratorINS5_IJN6thrust23THRUST_200600_302600_NS6detail15normal_iteratorINSC_10device_ptrIKjEEEESI_EEEEESK_NSA_INS5_IJNSC_16discard_iteratorINSC_11use_defaultEEESN_EEEEEPS7_SQ_SQ_NSC_11hip_rocprim7__merge17predicate_wrapperIjjNSC_4lessIjEEEEEE10hipError_tPvRmT0_T1_T2_T3_T4_T5_mmT6_P12ihipStream_tbEUlT_E0_NS1_11comp_targetILNS1_3genE5ELNS1_11target_archE942ELNS1_3gpuE9ELNS1_3repE0EEENS1_30default_config_static_selectorELNS0_4arch9wavefront6targetE0EEEvS11_,comdat
	.protected	_ZN7rocprim17ROCPRIM_400000_NS6detail17trampoline_kernelINS0_14default_configENS1_21merge_config_selectorINS0_5tupleIJjjEEENS0_10empty_typeEEEZNS1_10merge_implIS3_NS0_12zip_iteratorINS5_IJN6thrust23THRUST_200600_302600_NS6detail15normal_iteratorINSC_10device_ptrIKjEEEESI_EEEEESK_NSA_INS5_IJNSC_16discard_iteratorINSC_11use_defaultEEESN_EEEEEPS7_SQ_SQ_NSC_11hip_rocprim7__merge17predicate_wrapperIjjNSC_4lessIjEEEEEE10hipError_tPvRmT0_T1_T2_T3_T4_T5_mmT6_P12ihipStream_tbEUlT_E0_NS1_11comp_targetILNS1_3genE5ELNS1_11target_archE942ELNS1_3gpuE9ELNS1_3repE0EEENS1_30default_config_static_selectorELNS0_4arch9wavefront6targetE0EEEvS11_ ; -- Begin function _ZN7rocprim17ROCPRIM_400000_NS6detail17trampoline_kernelINS0_14default_configENS1_21merge_config_selectorINS0_5tupleIJjjEEENS0_10empty_typeEEEZNS1_10merge_implIS3_NS0_12zip_iteratorINS5_IJN6thrust23THRUST_200600_302600_NS6detail15normal_iteratorINSC_10device_ptrIKjEEEESI_EEEEESK_NSA_INS5_IJNSC_16discard_iteratorINSC_11use_defaultEEESN_EEEEEPS7_SQ_SQ_NSC_11hip_rocprim7__merge17predicate_wrapperIjjNSC_4lessIjEEEEEE10hipError_tPvRmT0_T1_T2_T3_T4_T5_mmT6_P12ihipStream_tbEUlT_E0_NS1_11comp_targetILNS1_3genE5ELNS1_11target_archE942ELNS1_3gpuE9ELNS1_3repE0EEENS1_30default_config_static_selectorELNS0_4arch9wavefront6targetE0EEEvS11_
	.globl	_ZN7rocprim17ROCPRIM_400000_NS6detail17trampoline_kernelINS0_14default_configENS1_21merge_config_selectorINS0_5tupleIJjjEEENS0_10empty_typeEEEZNS1_10merge_implIS3_NS0_12zip_iteratorINS5_IJN6thrust23THRUST_200600_302600_NS6detail15normal_iteratorINSC_10device_ptrIKjEEEESI_EEEEESK_NSA_INS5_IJNSC_16discard_iteratorINSC_11use_defaultEEESN_EEEEEPS7_SQ_SQ_NSC_11hip_rocprim7__merge17predicate_wrapperIjjNSC_4lessIjEEEEEE10hipError_tPvRmT0_T1_T2_T3_T4_T5_mmT6_P12ihipStream_tbEUlT_E0_NS1_11comp_targetILNS1_3genE5ELNS1_11target_archE942ELNS1_3gpuE9ELNS1_3repE0EEENS1_30default_config_static_selectorELNS0_4arch9wavefront6targetE0EEEvS11_
	.p2align	8
	.type	_ZN7rocprim17ROCPRIM_400000_NS6detail17trampoline_kernelINS0_14default_configENS1_21merge_config_selectorINS0_5tupleIJjjEEENS0_10empty_typeEEEZNS1_10merge_implIS3_NS0_12zip_iteratorINS5_IJN6thrust23THRUST_200600_302600_NS6detail15normal_iteratorINSC_10device_ptrIKjEEEESI_EEEEESK_NSA_INS5_IJNSC_16discard_iteratorINSC_11use_defaultEEESN_EEEEEPS7_SQ_SQ_NSC_11hip_rocprim7__merge17predicate_wrapperIjjNSC_4lessIjEEEEEE10hipError_tPvRmT0_T1_T2_T3_T4_T5_mmT6_P12ihipStream_tbEUlT_E0_NS1_11comp_targetILNS1_3genE5ELNS1_11target_archE942ELNS1_3gpuE9ELNS1_3repE0EEENS1_30default_config_static_selectorELNS0_4arch9wavefront6targetE0EEEvS11_,@function
_ZN7rocprim17ROCPRIM_400000_NS6detail17trampoline_kernelINS0_14default_configENS1_21merge_config_selectorINS0_5tupleIJjjEEENS0_10empty_typeEEEZNS1_10merge_implIS3_NS0_12zip_iteratorINS5_IJN6thrust23THRUST_200600_302600_NS6detail15normal_iteratorINSC_10device_ptrIKjEEEESI_EEEEESK_NSA_INS5_IJNSC_16discard_iteratorINSC_11use_defaultEEESN_EEEEEPS7_SQ_SQ_NSC_11hip_rocprim7__merge17predicate_wrapperIjjNSC_4lessIjEEEEEE10hipError_tPvRmT0_T1_T2_T3_T4_T5_mmT6_P12ihipStream_tbEUlT_E0_NS1_11comp_targetILNS1_3genE5ELNS1_11target_archE942ELNS1_3gpuE9ELNS1_3repE0EEENS1_30default_config_static_selectorELNS0_4arch9wavefront6targetE0EEEvS11_: ; @_ZN7rocprim17ROCPRIM_400000_NS6detail17trampoline_kernelINS0_14default_configENS1_21merge_config_selectorINS0_5tupleIJjjEEENS0_10empty_typeEEEZNS1_10merge_implIS3_NS0_12zip_iteratorINS5_IJN6thrust23THRUST_200600_302600_NS6detail15normal_iteratorINSC_10device_ptrIKjEEEESI_EEEEESK_NSA_INS5_IJNSC_16discard_iteratorINSC_11use_defaultEEESN_EEEEEPS7_SQ_SQ_NSC_11hip_rocprim7__merge17predicate_wrapperIjjNSC_4lessIjEEEEEE10hipError_tPvRmT0_T1_T2_T3_T4_T5_mmT6_P12ihipStream_tbEUlT_E0_NS1_11comp_targetILNS1_3genE5ELNS1_11target_archE942ELNS1_3gpuE9ELNS1_3repE0EEENS1_30default_config_static_selectorELNS0_4arch9wavefront6targetE0EEEvS11_
; %bb.0:
	.section	.rodata,"a",@progbits
	.p2align	6, 0x0
	.amdhsa_kernel _ZN7rocprim17ROCPRIM_400000_NS6detail17trampoline_kernelINS0_14default_configENS1_21merge_config_selectorINS0_5tupleIJjjEEENS0_10empty_typeEEEZNS1_10merge_implIS3_NS0_12zip_iteratorINS5_IJN6thrust23THRUST_200600_302600_NS6detail15normal_iteratorINSC_10device_ptrIKjEEEESI_EEEEESK_NSA_INS5_IJNSC_16discard_iteratorINSC_11use_defaultEEESN_EEEEEPS7_SQ_SQ_NSC_11hip_rocprim7__merge17predicate_wrapperIjjNSC_4lessIjEEEEEE10hipError_tPvRmT0_T1_T2_T3_T4_T5_mmT6_P12ihipStream_tbEUlT_E0_NS1_11comp_targetILNS1_3genE5ELNS1_11target_archE942ELNS1_3gpuE9ELNS1_3repE0EEENS1_30default_config_static_selectorELNS0_4arch9wavefront6targetE0EEEvS11_
		.amdhsa_group_segment_fixed_size 0
		.amdhsa_private_segment_fixed_size 0
		.amdhsa_kernarg_size 128
		.amdhsa_user_sgpr_count 2
		.amdhsa_user_sgpr_dispatch_ptr 0
		.amdhsa_user_sgpr_queue_ptr 0
		.amdhsa_user_sgpr_kernarg_segment_ptr 1
		.amdhsa_user_sgpr_dispatch_id 0
		.amdhsa_user_sgpr_kernarg_preload_length 0
		.amdhsa_user_sgpr_kernarg_preload_offset 0
		.amdhsa_user_sgpr_private_segment_size 0
		.amdhsa_wavefront_size32 1
		.amdhsa_uses_dynamic_stack 0
		.amdhsa_enable_private_segment 0
		.amdhsa_system_sgpr_workgroup_id_x 1
		.amdhsa_system_sgpr_workgroup_id_y 0
		.amdhsa_system_sgpr_workgroup_id_z 0
		.amdhsa_system_sgpr_workgroup_info 0
		.amdhsa_system_vgpr_workitem_id 0
		.amdhsa_next_free_vgpr 1
		.amdhsa_next_free_sgpr 1
		.amdhsa_named_barrier_count 0
		.amdhsa_reserve_vcc 0
		.amdhsa_float_round_mode_32 0
		.amdhsa_float_round_mode_16_64 0
		.amdhsa_float_denorm_mode_32 3
		.amdhsa_float_denorm_mode_16_64 3
		.amdhsa_fp16_overflow 0
		.amdhsa_memory_ordered 1
		.amdhsa_forward_progress 1
		.amdhsa_inst_pref_size 0
		.amdhsa_round_robin_scheduling 0
		.amdhsa_exception_fp_ieee_invalid_op 0
		.amdhsa_exception_fp_denorm_src 0
		.amdhsa_exception_fp_ieee_div_zero 0
		.amdhsa_exception_fp_ieee_overflow 0
		.amdhsa_exception_fp_ieee_underflow 0
		.amdhsa_exception_fp_ieee_inexact 0
		.amdhsa_exception_int_div_zero 0
	.end_amdhsa_kernel
	.section	.text._ZN7rocprim17ROCPRIM_400000_NS6detail17trampoline_kernelINS0_14default_configENS1_21merge_config_selectorINS0_5tupleIJjjEEENS0_10empty_typeEEEZNS1_10merge_implIS3_NS0_12zip_iteratorINS5_IJN6thrust23THRUST_200600_302600_NS6detail15normal_iteratorINSC_10device_ptrIKjEEEESI_EEEEESK_NSA_INS5_IJNSC_16discard_iteratorINSC_11use_defaultEEESN_EEEEEPS7_SQ_SQ_NSC_11hip_rocprim7__merge17predicate_wrapperIjjNSC_4lessIjEEEEEE10hipError_tPvRmT0_T1_T2_T3_T4_T5_mmT6_P12ihipStream_tbEUlT_E0_NS1_11comp_targetILNS1_3genE5ELNS1_11target_archE942ELNS1_3gpuE9ELNS1_3repE0EEENS1_30default_config_static_selectorELNS0_4arch9wavefront6targetE0EEEvS11_,"axG",@progbits,_ZN7rocprim17ROCPRIM_400000_NS6detail17trampoline_kernelINS0_14default_configENS1_21merge_config_selectorINS0_5tupleIJjjEEENS0_10empty_typeEEEZNS1_10merge_implIS3_NS0_12zip_iteratorINS5_IJN6thrust23THRUST_200600_302600_NS6detail15normal_iteratorINSC_10device_ptrIKjEEEESI_EEEEESK_NSA_INS5_IJNSC_16discard_iteratorINSC_11use_defaultEEESN_EEEEEPS7_SQ_SQ_NSC_11hip_rocprim7__merge17predicate_wrapperIjjNSC_4lessIjEEEEEE10hipError_tPvRmT0_T1_T2_T3_T4_T5_mmT6_P12ihipStream_tbEUlT_E0_NS1_11comp_targetILNS1_3genE5ELNS1_11target_archE942ELNS1_3gpuE9ELNS1_3repE0EEENS1_30default_config_static_selectorELNS0_4arch9wavefront6targetE0EEEvS11_,comdat
.Lfunc_end543:
	.size	_ZN7rocprim17ROCPRIM_400000_NS6detail17trampoline_kernelINS0_14default_configENS1_21merge_config_selectorINS0_5tupleIJjjEEENS0_10empty_typeEEEZNS1_10merge_implIS3_NS0_12zip_iteratorINS5_IJN6thrust23THRUST_200600_302600_NS6detail15normal_iteratorINSC_10device_ptrIKjEEEESI_EEEEESK_NSA_INS5_IJNSC_16discard_iteratorINSC_11use_defaultEEESN_EEEEEPS7_SQ_SQ_NSC_11hip_rocprim7__merge17predicate_wrapperIjjNSC_4lessIjEEEEEE10hipError_tPvRmT0_T1_T2_T3_T4_T5_mmT6_P12ihipStream_tbEUlT_E0_NS1_11comp_targetILNS1_3genE5ELNS1_11target_archE942ELNS1_3gpuE9ELNS1_3repE0EEENS1_30default_config_static_selectorELNS0_4arch9wavefront6targetE0EEEvS11_, .Lfunc_end543-_ZN7rocprim17ROCPRIM_400000_NS6detail17trampoline_kernelINS0_14default_configENS1_21merge_config_selectorINS0_5tupleIJjjEEENS0_10empty_typeEEEZNS1_10merge_implIS3_NS0_12zip_iteratorINS5_IJN6thrust23THRUST_200600_302600_NS6detail15normal_iteratorINSC_10device_ptrIKjEEEESI_EEEEESK_NSA_INS5_IJNSC_16discard_iteratorINSC_11use_defaultEEESN_EEEEEPS7_SQ_SQ_NSC_11hip_rocprim7__merge17predicate_wrapperIjjNSC_4lessIjEEEEEE10hipError_tPvRmT0_T1_T2_T3_T4_T5_mmT6_P12ihipStream_tbEUlT_E0_NS1_11comp_targetILNS1_3genE5ELNS1_11target_archE942ELNS1_3gpuE9ELNS1_3repE0EEENS1_30default_config_static_selectorELNS0_4arch9wavefront6targetE0EEEvS11_
                                        ; -- End function
	.set _ZN7rocprim17ROCPRIM_400000_NS6detail17trampoline_kernelINS0_14default_configENS1_21merge_config_selectorINS0_5tupleIJjjEEENS0_10empty_typeEEEZNS1_10merge_implIS3_NS0_12zip_iteratorINS5_IJN6thrust23THRUST_200600_302600_NS6detail15normal_iteratorINSC_10device_ptrIKjEEEESI_EEEEESK_NSA_INS5_IJNSC_16discard_iteratorINSC_11use_defaultEEESN_EEEEEPS7_SQ_SQ_NSC_11hip_rocprim7__merge17predicate_wrapperIjjNSC_4lessIjEEEEEE10hipError_tPvRmT0_T1_T2_T3_T4_T5_mmT6_P12ihipStream_tbEUlT_E0_NS1_11comp_targetILNS1_3genE5ELNS1_11target_archE942ELNS1_3gpuE9ELNS1_3repE0EEENS1_30default_config_static_selectorELNS0_4arch9wavefront6targetE0EEEvS11_.num_vgpr, 0
	.set _ZN7rocprim17ROCPRIM_400000_NS6detail17trampoline_kernelINS0_14default_configENS1_21merge_config_selectorINS0_5tupleIJjjEEENS0_10empty_typeEEEZNS1_10merge_implIS3_NS0_12zip_iteratorINS5_IJN6thrust23THRUST_200600_302600_NS6detail15normal_iteratorINSC_10device_ptrIKjEEEESI_EEEEESK_NSA_INS5_IJNSC_16discard_iteratorINSC_11use_defaultEEESN_EEEEEPS7_SQ_SQ_NSC_11hip_rocprim7__merge17predicate_wrapperIjjNSC_4lessIjEEEEEE10hipError_tPvRmT0_T1_T2_T3_T4_T5_mmT6_P12ihipStream_tbEUlT_E0_NS1_11comp_targetILNS1_3genE5ELNS1_11target_archE942ELNS1_3gpuE9ELNS1_3repE0EEENS1_30default_config_static_selectorELNS0_4arch9wavefront6targetE0EEEvS11_.num_agpr, 0
	.set _ZN7rocprim17ROCPRIM_400000_NS6detail17trampoline_kernelINS0_14default_configENS1_21merge_config_selectorINS0_5tupleIJjjEEENS0_10empty_typeEEEZNS1_10merge_implIS3_NS0_12zip_iteratorINS5_IJN6thrust23THRUST_200600_302600_NS6detail15normal_iteratorINSC_10device_ptrIKjEEEESI_EEEEESK_NSA_INS5_IJNSC_16discard_iteratorINSC_11use_defaultEEESN_EEEEEPS7_SQ_SQ_NSC_11hip_rocprim7__merge17predicate_wrapperIjjNSC_4lessIjEEEEEE10hipError_tPvRmT0_T1_T2_T3_T4_T5_mmT6_P12ihipStream_tbEUlT_E0_NS1_11comp_targetILNS1_3genE5ELNS1_11target_archE942ELNS1_3gpuE9ELNS1_3repE0EEENS1_30default_config_static_selectorELNS0_4arch9wavefront6targetE0EEEvS11_.numbered_sgpr, 0
	.set _ZN7rocprim17ROCPRIM_400000_NS6detail17trampoline_kernelINS0_14default_configENS1_21merge_config_selectorINS0_5tupleIJjjEEENS0_10empty_typeEEEZNS1_10merge_implIS3_NS0_12zip_iteratorINS5_IJN6thrust23THRUST_200600_302600_NS6detail15normal_iteratorINSC_10device_ptrIKjEEEESI_EEEEESK_NSA_INS5_IJNSC_16discard_iteratorINSC_11use_defaultEEESN_EEEEEPS7_SQ_SQ_NSC_11hip_rocprim7__merge17predicate_wrapperIjjNSC_4lessIjEEEEEE10hipError_tPvRmT0_T1_T2_T3_T4_T5_mmT6_P12ihipStream_tbEUlT_E0_NS1_11comp_targetILNS1_3genE5ELNS1_11target_archE942ELNS1_3gpuE9ELNS1_3repE0EEENS1_30default_config_static_selectorELNS0_4arch9wavefront6targetE0EEEvS11_.num_named_barrier, 0
	.set _ZN7rocprim17ROCPRIM_400000_NS6detail17trampoline_kernelINS0_14default_configENS1_21merge_config_selectorINS0_5tupleIJjjEEENS0_10empty_typeEEEZNS1_10merge_implIS3_NS0_12zip_iteratorINS5_IJN6thrust23THRUST_200600_302600_NS6detail15normal_iteratorINSC_10device_ptrIKjEEEESI_EEEEESK_NSA_INS5_IJNSC_16discard_iteratorINSC_11use_defaultEEESN_EEEEEPS7_SQ_SQ_NSC_11hip_rocprim7__merge17predicate_wrapperIjjNSC_4lessIjEEEEEE10hipError_tPvRmT0_T1_T2_T3_T4_T5_mmT6_P12ihipStream_tbEUlT_E0_NS1_11comp_targetILNS1_3genE5ELNS1_11target_archE942ELNS1_3gpuE9ELNS1_3repE0EEENS1_30default_config_static_selectorELNS0_4arch9wavefront6targetE0EEEvS11_.private_seg_size, 0
	.set _ZN7rocprim17ROCPRIM_400000_NS6detail17trampoline_kernelINS0_14default_configENS1_21merge_config_selectorINS0_5tupleIJjjEEENS0_10empty_typeEEEZNS1_10merge_implIS3_NS0_12zip_iteratorINS5_IJN6thrust23THRUST_200600_302600_NS6detail15normal_iteratorINSC_10device_ptrIKjEEEESI_EEEEESK_NSA_INS5_IJNSC_16discard_iteratorINSC_11use_defaultEEESN_EEEEEPS7_SQ_SQ_NSC_11hip_rocprim7__merge17predicate_wrapperIjjNSC_4lessIjEEEEEE10hipError_tPvRmT0_T1_T2_T3_T4_T5_mmT6_P12ihipStream_tbEUlT_E0_NS1_11comp_targetILNS1_3genE5ELNS1_11target_archE942ELNS1_3gpuE9ELNS1_3repE0EEENS1_30default_config_static_selectorELNS0_4arch9wavefront6targetE0EEEvS11_.uses_vcc, 0
	.set _ZN7rocprim17ROCPRIM_400000_NS6detail17trampoline_kernelINS0_14default_configENS1_21merge_config_selectorINS0_5tupleIJjjEEENS0_10empty_typeEEEZNS1_10merge_implIS3_NS0_12zip_iteratorINS5_IJN6thrust23THRUST_200600_302600_NS6detail15normal_iteratorINSC_10device_ptrIKjEEEESI_EEEEESK_NSA_INS5_IJNSC_16discard_iteratorINSC_11use_defaultEEESN_EEEEEPS7_SQ_SQ_NSC_11hip_rocprim7__merge17predicate_wrapperIjjNSC_4lessIjEEEEEE10hipError_tPvRmT0_T1_T2_T3_T4_T5_mmT6_P12ihipStream_tbEUlT_E0_NS1_11comp_targetILNS1_3genE5ELNS1_11target_archE942ELNS1_3gpuE9ELNS1_3repE0EEENS1_30default_config_static_selectorELNS0_4arch9wavefront6targetE0EEEvS11_.uses_flat_scratch, 0
	.set _ZN7rocprim17ROCPRIM_400000_NS6detail17trampoline_kernelINS0_14default_configENS1_21merge_config_selectorINS0_5tupleIJjjEEENS0_10empty_typeEEEZNS1_10merge_implIS3_NS0_12zip_iteratorINS5_IJN6thrust23THRUST_200600_302600_NS6detail15normal_iteratorINSC_10device_ptrIKjEEEESI_EEEEESK_NSA_INS5_IJNSC_16discard_iteratorINSC_11use_defaultEEESN_EEEEEPS7_SQ_SQ_NSC_11hip_rocprim7__merge17predicate_wrapperIjjNSC_4lessIjEEEEEE10hipError_tPvRmT0_T1_T2_T3_T4_T5_mmT6_P12ihipStream_tbEUlT_E0_NS1_11comp_targetILNS1_3genE5ELNS1_11target_archE942ELNS1_3gpuE9ELNS1_3repE0EEENS1_30default_config_static_selectorELNS0_4arch9wavefront6targetE0EEEvS11_.has_dyn_sized_stack, 0
	.set _ZN7rocprim17ROCPRIM_400000_NS6detail17trampoline_kernelINS0_14default_configENS1_21merge_config_selectorINS0_5tupleIJjjEEENS0_10empty_typeEEEZNS1_10merge_implIS3_NS0_12zip_iteratorINS5_IJN6thrust23THRUST_200600_302600_NS6detail15normal_iteratorINSC_10device_ptrIKjEEEESI_EEEEESK_NSA_INS5_IJNSC_16discard_iteratorINSC_11use_defaultEEESN_EEEEEPS7_SQ_SQ_NSC_11hip_rocprim7__merge17predicate_wrapperIjjNSC_4lessIjEEEEEE10hipError_tPvRmT0_T1_T2_T3_T4_T5_mmT6_P12ihipStream_tbEUlT_E0_NS1_11comp_targetILNS1_3genE5ELNS1_11target_archE942ELNS1_3gpuE9ELNS1_3repE0EEENS1_30default_config_static_selectorELNS0_4arch9wavefront6targetE0EEEvS11_.has_recursion, 0
	.set _ZN7rocprim17ROCPRIM_400000_NS6detail17trampoline_kernelINS0_14default_configENS1_21merge_config_selectorINS0_5tupleIJjjEEENS0_10empty_typeEEEZNS1_10merge_implIS3_NS0_12zip_iteratorINS5_IJN6thrust23THRUST_200600_302600_NS6detail15normal_iteratorINSC_10device_ptrIKjEEEESI_EEEEESK_NSA_INS5_IJNSC_16discard_iteratorINSC_11use_defaultEEESN_EEEEEPS7_SQ_SQ_NSC_11hip_rocprim7__merge17predicate_wrapperIjjNSC_4lessIjEEEEEE10hipError_tPvRmT0_T1_T2_T3_T4_T5_mmT6_P12ihipStream_tbEUlT_E0_NS1_11comp_targetILNS1_3genE5ELNS1_11target_archE942ELNS1_3gpuE9ELNS1_3repE0EEENS1_30default_config_static_selectorELNS0_4arch9wavefront6targetE0EEEvS11_.has_indirect_call, 0
	.section	.AMDGPU.csdata,"",@progbits
; Kernel info:
; codeLenInByte = 0
; TotalNumSgprs: 0
; NumVgprs: 0
; ScratchSize: 0
; MemoryBound: 0
; FloatMode: 240
; IeeeMode: 1
; LDSByteSize: 0 bytes/workgroup (compile time only)
; SGPRBlocks: 0
; VGPRBlocks: 0
; NumSGPRsForWavesPerEU: 1
; NumVGPRsForWavesPerEU: 1
; NamedBarCnt: 0
; Occupancy: 16
; WaveLimiterHint : 0
; COMPUTE_PGM_RSRC2:SCRATCH_EN: 0
; COMPUTE_PGM_RSRC2:USER_SGPR: 2
; COMPUTE_PGM_RSRC2:TRAP_HANDLER: 0
; COMPUTE_PGM_RSRC2:TGID_X_EN: 1
; COMPUTE_PGM_RSRC2:TGID_Y_EN: 0
; COMPUTE_PGM_RSRC2:TGID_Z_EN: 0
; COMPUTE_PGM_RSRC2:TIDIG_COMP_CNT: 0
	.section	.text._ZN7rocprim17ROCPRIM_400000_NS6detail17trampoline_kernelINS0_14default_configENS1_21merge_config_selectorINS0_5tupleIJjjEEENS0_10empty_typeEEEZNS1_10merge_implIS3_NS0_12zip_iteratorINS5_IJN6thrust23THRUST_200600_302600_NS6detail15normal_iteratorINSC_10device_ptrIKjEEEESI_EEEEESK_NSA_INS5_IJNSC_16discard_iteratorINSC_11use_defaultEEESN_EEEEEPS7_SQ_SQ_NSC_11hip_rocprim7__merge17predicate_wrapperIjjNSC_4lessIjEEEEEE10hipError_tPvRmT0_T1_T2_T3_T4_T5_mmT6_P12ihipStream_tbEUlT_E0_NS1_11comp_targetILNS1_3genE4ELNS1_11target_archE910ELNS1_3gpuE8ELNS1_3repE0EEENS1_30default_config_static_selectorELNS0_4arch9wavefront6targetE0EEEvS11_,"axG",@progbits,_ZN7rocprim17ROCPRIM_400000_NS6detail17trampoline_kernelINS0_14default_configENS1_21merge_config_selectorINS0_5tupleIJjjEEENS0_10empty_typeEEEZNS1_10merge_implIS3_NS0_12zip_iteratorINS5_IJN6thrust23THRUST_200600_302600_NS6detail15normal_iteratorINSC_10device_ptrIKjEEEESI_EEEEESK_NSA_INS5_IJNSC_16discard_iteratorINSC_11use_defaultEEESN_EEEEEPS7_SQ_SQ_NSC_11hip_rocprim7__merge17predicate_wrapperIjjNSC_4lessIjEEEEEE10hipError_tPvRmT0_T1_T2_T3_T4_T5_mmT6_P12ihipStream_tbEUlT_E0_NS1_11comp_targetILNS1_3genE4ELNS1_11target_archE910ELNS1_3gpuE8ELNS1_3repE0EEENS1_30default_config_static_selectorELNS0_4arch9wavefront6targetE0EEEvS11_,comdat
	.protected	_ZN7rocprim17ROCPRIM_400000_NS6detail17trampoline_kernelINS0_14default_configENS1_21merge_config_selectorINS0_5tupleIJjjEEENS0_10empty_typeEEEZNS1_10merge_implIS3_NS0_12zip_iteratorINS5_IJN6thrust23THRUST_200600_302600_NS6detail15normal_iteratorINSC_10device_ptrIKjEEEESI_EEEEESK_NSA_INS5_IJNSC_16discard_iteratorINSC_11use_defaultEEESN_EEEEEPS7_SQ_SQ_NSC_11hip_rocprim7__merge17predicate_wrapperIjjNSC_4lessIjEEEEEE10hipError_tPvRmT0_T1_T2_T3_T4_T5_mmT6_P12ihipStream_tbEUlT_E0_NS1_11comp_targetILNS1_3genE4ELNS1_11target_archE910ELNS1_3gpuE8ELNS1_3repE0EEENS1_30default_config_static_selectorELNS0_4arch9wavefront6targetE0EEEvS11_ ; -- Begin function _ZN7rocprim17ROCPRIM_400000_NS6detail17trampoline_kernelINS0_14default_configENS1_21merge_config_selectorINS0_5tupleIJjjEEENS0_10empty_typeEEEZNS1_10merge_implIS3_NS0_12zip_iteratorINS5_IJN6thrust23THRUST_200600_302600_NS6detail15normal_iteratorINSC_10device_ptrIKjEEEESI_EEEEESK_NSA_INS5_IJNSC_16discard_iteratorINSC_11use_defaultEEESN_EEEEEPS7_SQ_SQ_NSC_11hip_rocprim7__merge17predicate_wrapperIjjNSC_4lessIjEEEEEE10hipError_tPvRmT0_T1_T2_T3_T4_T5_mmT6_P12ihipStream_tbEUlT_E0_NS1_11comp_targetILNS1_3genE4ELNS1_11target_archE910ELNS1_3gpuE8ELNS1_3repE0EEENS1_30default_config_static_selectorELNS0_4arch9wavefront6targetE0EEEvS11_
	.globl	_ZN7rocprim17ROCPRIM_400000_NS6detail17trampoline_kernelINS0_14default_configENS1_21merge_config_selectorINS0_5tupleIJjjEEENS0_10empty_typeEEEZNS1_10merge_implIS3_NS0_12zip_iteratorINS5_IJN6thrust23THRUST_200600_302600_NS6detail15normal_iteratorINSC_10device_ptrIKjEEEESI_EEEEESK_NSA_INS5_IJNSC_16discard_iteratorINSC_11use_defaultEEESN_EEEEEPS7_SQ_SQ_NSC_11hip_rocprim7__merge17predicate_wrapperIjjNSC_4lessIjEEEEEE10hipError_tPvRmT0_T1_T2_T3_T4_T5_mmT6_P12ihipStream_tbEUlT_E0_NS1_11comp_targetILNS1_3genE4ELNS1_11target_archE910ELNS1_3gpuE8ELNS1_3repE0EEENS1_30default_config_static_selectorELNS0_4arch9wavefront6targetE0EEEvS11_
	.p2align	8
	.type	_ZN7rocprim17ROCPRIM_400000_NS6detail17trampoline_kernelINS0_14default_configENS1_21merge_config_selectorINS0_5tupleIJjjEEENS0_10empty_typeEEEZNS1_10merge_implIS3_NS0_12zip_iteratorINS5_IJN6thrust23THRUST_200600_302600_NS6detail15normal_iteratorINSC_10device_ptrIKjEEEESI_EEEEESK_NSA_INS5_IJNSC_16discard_iteratorINSC_11use_defaultEEESN_EEEEEPS7_SQ_SQ_NSC_11hip_rocprim7__merge17predicate_wrapperIjjNSC_4lessIjEEEEEE10hipError_tPvRmT0_T1_T2_T3_T4_T5_mmT6_P12ihipStream_tbEUlT_E0_NS1_11comp_targetILNS1_3genE4ELNS1_11target_archE910ELNS1_3gpuE8ELNS1_3repE0EEENS1_30default_config_static_selectorELNS0_4arch9wavefront6targetE0EEEvS11_,@function
_ZN7rocprim17ROCPRIM_400000_NS6detail17trampoline_kernelINS0_14default_configENS1_21merge_config_selectorINS0_5tupleIJjjEEENS0_10empty_typeEEEZNS1_10merge_implIS3_NS0_12zip_iteratorINS5_IJN6thrust23THRUST_200600_302600_NS6detail15normal_iteratorINSC_10device_ptrIKjEEEESI_EEEEESK_NSA_INS5_IJNSC_16discard_iteratorINSC_11use_defaultEEESN_EEEEEPS7_SQ_SQ_NSC_11hip_rocprim7__merge17predicate_wrapperIjjNSC_4lessIjEEEEEE10hipError_tPvRmT0_T1_T2_T3_T4_T5_mmT6_P12ihipStream_tbEUlT_E0_NS1_11comp_targetILNS1_3genE4ELNS1_11target_archE910ELNS1_3gpuE8ELNS1_3repE0EEENS1_30default_config_static_selectorELNS0_4arch9wavefront6targetE0EEEvS11_: ; @_ZN7rocprim17ROCPRIM_400000_NS6detail17trampoline_kernelINS0_14default_configENS1_21merge_config_selectorINS0_5tupleIJjjEEENS0_10empty_typeEEEZNS1_10merge_implIS3_NS0_12zip_iteratorINS5_IJN6thrust23THRUST_200600_302600_NS6detail15normal_iteratorINSC_10device_ptrIKjEEEESI_EEEEESK_NSA_INS5_IJNSC_16discard_iteratorINSC_11use_defaultEEESN_EEEEEPS7_SQ_SQ_NSC_11hip_rocprim7__merge17predicate_wrapperIjjNSC_4lessIjEEEEEE10hipError_tPvRmT0_T1_T2_T3_T4_T5_mmT6_P12ihipStream_tbEUlT_E0_NS1_11comp_targetILNS1_3genE4ELNS1_11target_archE910ELNS1_3gpuE8ELNS1_3repE0EEENS1_30default_config_static_selectorELNS0_4arch9wavefront6targetE0EEEvS11_
; %bb.0:
	.section	.rodata,"a",@progbits
	.p2align	6, 0x0
	.amdhsa_kernel _ZN7rocprim17ROCPRIM_400000_NS6detail17trampoline_kernelINS0_14default_configENS1_21merge_config_selectorINS0_5tupleIJjjEEENS0_10empty_typeEEEZNS1_10merge_implIS3_NS0_12zip_iteratorINS5_IJN6thrust23THRUST_200600_302600_NS6detail15normal_iteratorINSC_10device_ptrIKjEEEESI_EEEEESK_NSA_INS5_IJNSC_16discard_iteratorINSC_11use_defaultEEESN_EEEEEPS7_SQ_SQ_NSC_11hip_rocprim7__merge17predicate_wrapperIjjNSC_4lessIjEEEEEE10hipError_tPvRmT0_T1_T2_T3_T4_T5_mmT6_P12ihipStream_tbEUlT_E0_NS1_11comp_targetILNS1_3genE4ELNS1_11target_archE910ELNS1_3gpuE8ELNS1_3repE0EEENS1_30default_config_static_selectorELNS0_4arch9wavefront6targetE0EEEvS11_
		.amdhsa_group_segment_fixed_size 0
		.amdhsa_private_segment_fixed_size 0
		.amdhsa_kernarg_size 128
		.amdhsa_user_sgpr_count 2
		.amdhsa_user_sgpr_dispatch_ptr 0
		.amdhsa_user_sgpr_queue_ptr 0
		.amdhsa_user_sgpr_kernarg_segment_ptr 1
		.amdhsa_user_sgpr_dispatch_id 0
		.amdhsa_user_sgpr_kernarg_preload_length 0
		.amdhsa_user_sgpr_kernarg_preload_offset 0
		.amdhsa_user_sgpr_private_segment_size 0
		.amdhsa_wavefront_size32 1
		.amdhsa_uses_dynamic_stack 0
		.amdhsa_enable_private_segment 0
		.amdhsa_system_sgpr_workgroup_id_x 1
		.amdhsa_system_sgpr_workgroup_id_y 0
		.amdhsa_system_sgpr_workgroup_id_z 0
		.amdhsa_system_sgpr_workgroup_info 0
		.amdhsa_system_vgpr_workitem_id 0
		.amdhsa_next_free_vgpr 1
		.amdhsa_next_free_sgpr 1
		.amdhsa_named_barrier_count 0
		.amdhsa_reserve_vcc 0
		.amdhsa_float_round_mode_32 0
		.amdhsa_float_round_mode_16_64 0
		.amdhsa_float_denorm_mode_32 3
		.amdhsa_float_denorm_mode_16_64 3
		.amdhsa_fp16_overflow 0
		.amdhsa_memory_ordered 1
		.amdhsa_forward_progress 1
		.amdhsa_inst_pref_size 0
		.amdhsa_round_robin_scheduling 0
		.amdhsa_exception_fp_ieee_invalid_op 0
		.amdhsa_exception_fp_denorm_src 0
		.amdhsa_exception_fp_ieee_div_zero 0
		.amdhsa_exception_fp_ieee_overflow 0
		.amdhsa_exception_fp_ieee_underflow 0
		.amdhsa_exception_fp_ieee_inexact 0
		.amdhsa_exception_int_div_zero 0
	.end_amdhsa_kernel
	.section	.text._ZN7rocprim17ROCPRIM_400000_NS6detail17trampoline_kernelINS0_14default_configENS1_21merge_config_selectorINS0_5tupleIJjjEEENS0_10empty_typeEEEZNS1_10merge_implIS3_NS0_12zip_iteratorINS5_IJN6thrust23THRUST_200600_302600_NS6detail15normal_iteratorINSC_10device_ptrIKjEEEESI_EEEEESK_NSA_INS5_IJNSC_16discard_iteratorINSC_11use_defaultEEESN_EEEEEPS7_SQ_SQ_NSC_11hip_rocprim7__merge17predicate_wrapperIjjNSC_4lessIjEEEEEE10hipError_tPvRmT0_T1_T2_T3_T4_T5_mmT6_P12ihipStream_tbEUlT_E0_NS1_11comp_targetILNS1_3genE4ELNS1_11target_archE910ELNS1_3gpuE8ELNS1_3repE0EEENS1_30default_config_static_selectorELNS0_4arch9wavefront6targetE0EEEvS11_,"axG",@progbits,_ZN7rocprim17ROCPRIM_400000_NS6detail17trampoline_kernelINS0_14default_configENS1_21merge_config_selectorINS0_5tupleIJjjEEENS0_10empty_typeEEEZNS1_10merge_implIS3_NS0_12zip_iteratorINS5_IJN6thrust23THRUST_200600_302600_NS6detail15normal_iteratorINSC_10device_ptrIKjEEEESI_EEEEESK_NSA_INS5_IJNSC_16discard_iteratorINSC_11use_defaultEEESN_EEEEEPS7_SQ_SQ_NSC_11hip_rocprim7__merge17predicate_wrapperIjjNSC_4lessIjEEEEEE10hipError_tPvRmT0_T1_T2_T3_T4_T5_mmT6_P12ihipStream_tbEUlT_E0_NS1_11comp_targetILNS1_3genE4ELNS1_11target_archE910ELNS1_3gpuE8ELNS1_3repE0EEENS1_30default_config_static_selectorELNS0_4arch9wavefront6targetE0EEEvS11_,comdat
.Lfunc_end544:
	.size	_ZN7rocprim17ROCPRIM_400000_NS6detail17trampoline_kernelINS0_14default_configENS1_21merge_config_selectorINS0_5tupleIJjjEEENS0_10empty_typeEEEZNS1_10merge_implIS3_NS0_12zip_iteratorINS5_IJN6thrust23THRUST_200600_302600_NS6detail15normal_iteratorINSC_10device_ptrIKjEEEESI_EEEEESK_NSA_INS5_IJNSC_16discard_iteratorINSC_11use_defaultEEESN_EEEEEPS7_SQ_SQ_NSC_11hip_rocprim7__merge17predicate_wrapperIjjNSC_4lessIjEEEEEE10hipError_tPvRmT0_T1_T2_T3_T4_T5_mmT6_P12ihipStream_tbEUlT_E0_NS1_11comp_targetILNS1_3genE4ELNS1_11target_archE910ELNS1_3gpuE8ELNS1_3repE0EEENS1_30default_config_static_selectorELNS0_4arch9wavefront6targetE0EEEvS11_, .Lfunc_end544-_ZN7rocprim17ROCPRIM_400000_NS6detail17trampoline_kernelINS0_14default_configENS1_21merge_config_selectorINS0_5tupleIJjjEEENS0_10empty_typeEEEZNS1_10merge_implIS3_NS0_12zip_iteratorINS5_IJN6thrust23THRUST_200600_302600_NS6detail15normal_iteratorINSC_10device_ptrIKjEEEESI_EEEEESK_NSA_INS5_IJNSC_16discard_iteratorINSC_11use_defaultEEESN_EEEEEPS7_SQ_SQ_NSC_11hip_rocprim7__merge17predicate_wrapperIjjNSC_4lessIjEEEEEE10hipError_tPvRmT0_T1_T2_T3_T4_T5_mmT6_P12ihipStream_tbEUlT_E0_NS1_11comp_targetILNS1_3genE4ELNS1_11target_archE910ELNS1_3gpuE8ELNS1_3repE0EEENS1_30default_config_static_selectorELNS0_4arch9wavefront6targetE0EEEvS11_
                                        ; -- End function
	.set _ZN7rocprim17ROCPRIM_400000_NS6detail17trampoline_kernelINS0_14default_configENS1_21merge_config_selectorINS0_5tupleIJjjEEENS0_10empty_typeEEEZNS1_10merge_implIS3_NS0_12zip_iteratorINS5_IJN6thrust23THRUST_200600_302600_NS6detail15normal_iteratorINSC_10device_ptrIKjEEEESI_EEEEESK_NSA_INS5_IJNSC_16discard_iteratorINSC_11use_defaultEEESN_EEEEEPS7_SQ_SQ_NSC_11hip_rocprim7__merge17predicate_wrapperIjjNSC_4lessIjEEEEEE10hipError_tPvRmT0_T1_T2_T3_T4_T5_mmT6_P12ihipStream_tbEUlT_E0_NS1_11comp_targetILNS1_3genE4ELNS1_11target_archE910ELNS1_3gpuE8ELNS1_3repE0EEENS1_30default_config_static_selectorELNS0_4arch9wavefront6targetE0EEEvS11_.num_vgpr, 0
	.set _ZN7rocprim17ROCPRIM_400000_NS6detail17trampoline_kernelINS0_14default_configENS1_21merge_config_selectorINS0_5tupleIJjjEEENS0_10empty_typeEEEZNS1_10merge_implIS3_NS0_12zip_iteratorINS5_IJN6thrust23THRUST_200600_302600_NS6detail15normal_iteratorINSC_10device_ptrIKjEEEESI_EEEEESK_NSA_INS5_IJNSC_16discard_iteratorINSC_11use_defaultEEESN_EEEEEPS7_SQ_SQ_NSC_11hip_rocprim7__merge17predicate_wrapperIjjNSC_4lessIjEEEEEE10hipError_tPvRmT0_T1_T2_T3_T4_T5_mmT6_P12ihipStream_tbEUlT_E0_NS1_11comp_targetILNS1_3genE4ELNS1_11target_archE910ELNS1_3gpuE8ELNS1_3repE0EEENS1_30default_config_static_selectorELNS0_4arch9wavefront6targetE0EEEvS11_.num_agpr, 0
	.set _ZN7rocprim17ROCPRIM_400000_NS6detail17trampoline_kernelINS0_14default_configENS1_21merge_config_selectorINS0_5tupleIJjjEEENS0_10empty_typeEEEZNS1_10merge_implIS3_NS0_12zip_iteratorINS5_IJN6thrust23THRUST_200600_302600_NS6detail15normal_iteratorINSC_10device_ptrIKjEEEESI_EEEEESK_NSA_INS5_IJNSC_16discard_iteratorINSC_11use_defaultEEESN_EEEEEPS7_SQ_SQ_NSC_11hip_rocprim7__merge17predicate_wrapperIjjNSC_4lessIjEEEEEE10hipError_tPvRmT0_T1_T2_T3_T4_T5_mmT6_P12ihipStream_tbEUlT_E0_NS1_11comp_targetILNS1_3genE4ELNS1_11target_archE910ELNS1_3gpuE8ELNS1_3repE0EEENS1_30default_config_static_selectorELNS0_4arch9wavefront6targetE0EEEvS11_.numbered_sgpr, 0
	.set _ZN7rocprim17ROCPRIM_400000_NS6detail17trampoline_kernelINS0_14default_configENS1_21merge_config_selectorINS0_5tupleIJjjEEENS0_10empty_typeEEEZNS1_10merge_implIS3_NS0_12zip_iteratorINS5_IJN6thrust23THRUST_200600_302600_NS6detail15normal_iteratorINSC_10device_ptrIKjEEEESI_EEEEESK_NSA_INS5_IJNSC_16discard_iteratorINSC_11use_defaultEEESN_EEEEEPS7_SQ_SQ_NSC_11hip_rocprim7__merge17predicate_wrapperIjjNSC_4lessIjEEEEEE10hipError_tPvRmT0_T1_T2_T3_T4_T5_mmT6_P12ihipStream_tbEUlT_E0_NS1_11comp_targetILNS1_3genE4ELNS1_11target_archE910ELNS1_3gpuE8ELNS1_3repE0EEENS1_30default_config_static_selectorELNS0_4arch9wavefront6targetE0EEEvS11_.num_named_barrier, 0
	.set _ZN7rocprim17ROCPRIM_400000_NS6detail17trampoline_kernelINS0_14default_configENS1_21merge_config_selectorINS0_5tupleIJjjEEENS0_10empty_typeEEEZNS1_10merge_implIS3_NS0_12zip_iteratorINS5_IJN6thrust23THRUST_200600_302600_NS6detail15normal_iteratorINSC_10device_ptrIKjEEEESI_EEEEESK_NSA_INS5_IJNSC_16discard_iteratorINSC_11use_defaultEEESN_EEEEEPS7_SQ_SQ_NSC_11hip_rocprim7__merge17predicate_wrapperIjjNSC_4lessIjEEEEEE10hipError_tPvRmT0_T1_T2_T3_T4_T5_mmT6_P12ihipStream_tbEUlT_E0_NS1_11comp_targetILNS1_3genE4ELNS1_11target_archE910ELNS1_3gpuE8ELNS1_3repE0EEENS1_30default_config_static_selectorELNS0_4arch9wavefront6targetE0EEEvS11_.private_seg_size, 0
	.set _ZN7rocprim17ROCPRIM_400000_NS6detail17trampoline_kernelINS0_14default_configENS1_21merge_config_selectorINS0_5tupleIJjjEEENS0_10empty_typeEEEZNS1_10merge_implIS3_NS0_12zip_iteratorINS5_IJN6thrust23THRUST_200600_302600_NS6detail15normal_iteratorINSC_10device_ptrIKjEEEESI_EEEEESK_NSA_INS5_IJNSC_16discard_iteratorINSC_11use_defaultEEESN_EEEEEPS7_SQ_SQ_NSC_11hip_rocprim7__merge17predicate_wrapperIjjNSC_4lessIjEEEEEE10hipError_tPvRmT0_T1_T2_T3_T4_T5_mmT6_P12ihipStream_tbEUlT_E0_NS1_11comp_targetILNS1_3genE4ELNS1_11target_archE910ELNS1_3gpuE8ELNS1_3repE0EEENS1_30default_config_static_selectorELNS0_4arch9wavefront6targetE0EEEvS11_.uses_vcc, 0
	.set _ZN7rocprim17ROCPRIM_400000_NS6detail17trampoline_kernelINS0_14default_configENS1_21merge_config_selectorINS0_5tupleIJjjEEENS0_10empty_typeEEEZNS1_10merge_implIS3_NS0_12zip_iteratorINS5_IJN6thrust23THRUST_200600_302600_NS6detail15normal_iteratorINSC_10device_ptrIKjEEEESI_EEEEESK_NSA_INS5_IJNSC_16discard_iteratorINSC_11use_defaultEEESN_EEEEEPS7_SQ_SQ_NSC_11hip_rocprim7__merge17predicate_wrapperIjjNSC_4lessIjEEEEEE10hipError_tPvRmT0_T1_T2_T3_T4_T5_mmT6_P12ihipStream_tbEUlT_E0_NS1_11comp_targetILNS1_3genE4ELNS1_11target_archE910ELNS1_3gpuE8ELNS1_3repE0EEENS1_30default_config_static_selectorELNS0_4arch9wavefront6targetE0EEEvS11_.uses_flat_scratch, 0
	.set _ZN7rocprim17ROCPRIM_400000_NS6detail17trampoline_kernelINS0_14default_configENS1_21merge_config_selectorINS0_5tupleIJjjEEENS0_10empty_typeEEEZNS1_10merge_implIS3_NS0_12zip_iteratorINS5_IJN6thrust23THRUST_200600_302600_NS6detail15normal_iteratorINSC_10device_ptrIKjEEEESI_EEEEESK_NSA_INS5_IJNSC_16discard_iteratorINSC_11use_defaultEEESN_EEEEEPS7_SQ_SQ_NSC_11hip_rocprim7__merge17predicate_wrapperIjjNSC_4lessIjEEEEEE10hipError_tPvRmT0_T1_T2_T3_T4_T5_mmT6_P12ihipStream_tbEUlT_E0_NS1_11comp_targetILNS1_3genE4ELNS1_11target_archE910ELNS1_3gpuE8ELNS1_3repE0EEENS1_30default_config_static_selectorELNS0_4arch9wavefront6targetE0EEEvS11_.has_dyn_sized_stack, 0
	.set _ZN7rocprim17ROCPRIM_400000_NS6detail17trampoline_kernelINS0_14default_configENS1_21merge_config_selectorINS0_5tupleIJjjEEENS0_10empty_typeEEEZNS1_10merge_implIS3_NS0_12zip_iteratorINS5_IJN6thrust23THRUST_200600_302600_NS6detail15normal_iteratorINSC_10device_ptrIKjEEEESI_EEEEESK_NSA_INS5_IJNSC_16discard_iteratorINSC_11use_defaultEEESN_EEEEEPS7_SQ_SQ_NSC_11hip_rocprim7__merge17predicate_wrapperIjjNSC_4lessIjEEEEEE10hipError_tPvRmT0_T1_T2_T3_T4_T5_mmT6_P12ihipStream_tbEUlT_E0_NS1_11comp_targetILNS1_3genE4ELNS1_11target_archE910ELNS1_3gpuE8ELNS1_3repE0EEENS1_30default_config_static_selectorELNS0_4arch9wavefront6targetE0EEEvS11_.has_recursion, 0
	.set _ZN7rocprim17ROCPRIM_400000_NS6detail17trampoline_kernelINS0_14default_configENS1_21merge_config_selectorINS0_5tupleIJjjEEENS0_10empty_typeEEEZNS1_10merge_implIS3_NS0_12zip_iteratorINS5_IJN6thrust23THRUST_200600_302600_NS6detail15normal_iteratorINSC_10device_ptrIKjEEEESI_EEEEESK_NSA_INS5_IJNSC_16discard_iteratorINSC_11use_defaultEEESN_EEEEEPS7_SQ_SQ_NSC_11hip_rocprim7__merge17predicate_wrapperIjjNSC_4lessIjEEEEEE10hipError_tPvRmT0_T1_T2_T3_T4_T5_mmT6_P12ihipStream_tbEUlT_E0_NS1_11comp_targetILNS1_3genE4ELNS1_11target_archE910ELNS1_3gpuE8ELNS1_3repE0EEENS1_30default_config_static_selectorELNS0_4arch9wavefront6targetE0EEEvS11_.has_indirect_call, 0
	.section	.AMDGPU.csdata,"",@progbits
; Kernel info:
; codeLenInByte = 0
; TotalNumSgprs: 0
; NumVgprs: 0
; ScratchSize: 0
; MemoryBound: 0
; FloatMode: 240
; IeeeMode: 1
; LDSByteSize: 0 bytes/workgroup (compile time only)
; SGPRBlocks: 0
; VGPRBlocks: 0
; NumSGPRsForWavesPerEU: 1
; NumVGPRsForWavesPerEU: 1
; NamedBarCnt: 0
; Occupancy: 16
; WaveLimiterHint : 0
; COMPUTE_PGM_RSRC2:SCRATCH_EN: 0
; COMPUTE_PGM_RSRC2:USER_SGPR: 2
; COMPUTE_PGM_RSRC2:TRAP_HANDLER: 0
; COMPUTE_PGM_RSRC2:TGID_X_EN: 1
; COMPUTE_PGM_RSRC2:TGID_Y_EN: 0
; COMPUTE_PGM_RSRC2:TGID_Z_EN: 0
; COMPUTE_PGM_RSRC2:TIDIG_COMP_CNT: 0
	.section	.text._ZN7rocprim17ROCPRIM_400000_NS6detail17trampoline_kernelINS0_14default_configENS1_21merge_config_selectorINS0_5tupleIJjjEEENS0_10empty_typeEEEZNS1_10merge_implIS3_NS0_12zip_iteratorINS5_IJN6thrust23THRUST_200600_302600_NS6detail15normal_iteratorINSC_10device_ptrIKjEEEESI_EEEEESK_NSA_INS5_IJNSC_16discard_iteratorINSC_11use_defaultEEESN_EEEEEPS7_SQ_SQ_NSC_11hip_rocprim7__merge17predicate_wrapperIjjNSC_4lessIjEEEEEE10hipError_tPvRmT0_T1_T2_T3_T4_T5_mmT6_P12ihipStream_tbEUlT_E0_NS1_11comp_targetILNS1_3genE3ELNS1_11target_archE908ELNS1_3gpuE7ELNS1_3repE0EEENS1_30default_config_static_selectorELNS0_4arch9wavefront6targetE0EEEvS11_,"axG",@progbits,_ZN7rocprim17ROCPRIM_400000_NS6detail17trampoline_kernelINS0_14default_configENS1_21merge_config_selectorINS0_5tupleIJjjEEENS0_10empty_typeEEEZNS1_10merge_implIS3_NS0_12zip_iteratorINS5_IJN6thrust23THRUST_200600_302600_NS6detail15normal_iteratorINSC_10device_ptrIKjEEEESI_EEEEESK_NSA_INS5_IJNSC_16discard_iteratorINSC_11use_defaultEEESN_EEEEEPS7_SQ_SQ_NSC_11hip_rocprim7__merge17predicate_wrapperIjjNSC_4lessIjEEEEEE10hipError_tPvRmT0_T1_T2_T3_T4_T5_mmT6_P12ihipStream_tbEUlT_E0_NS1_11comp_targetILNS1_3genE3ELNS1_11target_archE908ELNS1_3gpuE7ELNS1_3repE0EEENS1_30default_config_static_selectorELNS0_4arch9wavefront6targetE0EEEvS11_,comdat
	.protected	_ZN7rocprim17ROCPRIM_400000_NS6detail17trampoline_kernelINS0_14default_configENS1_21merge_config_selectorINS0_5tupleIJjjEEENS0_10empty_typeEEEZNS1_10merge_implIS3_NS0_12zip_iteratorINS5_IJN6thrust23THRUST_200600_302600_NS6detail15normal_iteratorINSC_10device_ptrIKjEEEESI_EEEEESK_NSA_INS5_IJNSC_16discard_iteratorINSC_11use_defaultEEESN_EEEEEPS7_SQ_SQ_NSC_11hip_rocprim7__merge17predicate_wrapperIjjNSC_4lessIjEEEEEE10hipError_tPvRmT0_T1_T2_T3_T4_T5_mmT6_P12ihipStream_tbEUlT_E0_NS1_11comp_targetILNS1_3genE3ELNS1_11target_archE908ELNS1_3gpuE7ELNS1_3repE0EEENS1_30default_config_static_selectorELNS0_4arch9wavefront6targetE0EEEvS11_ ; -- Begin function _ZN7rocprim17ROCPRIM_400000_NS6detail17trampoline_kernelINS0_14default_configENS1_21merge_config_selectorINS0_5tupleIJjjEEENS0_10empty_typeEEEZNS1_10merge_implIS3_NS0_12zip_iteratorINS5_IJN6thrust23THRUST_200600_302600_NS6detail15normal_iteratorINSC_10device_ptrIKjEEEESI_EEEEESK_NSA_INS5_IJNSC_16discard_iteratorINSC_11use_defaultEEESN_EEEEEPS7_SQ_SQ_NSC_11hip_rocprim7__merge17predicate_wrapperIjjNSC_4lessIjEEEEEE10hipError_tPvRmT0_T1_T2_T3_T4_T5_mmT6_P12ihipStream_tbEUlT_E0_NS1_11comp_targetILNS1_3genE3ELNS1_11target_archE908ELNS1_3gpuE7ELNS1_3repE0EEENS1_30default_config_static_selectorELNS0_4arch9wavefront6targetE0EEEvS11_
	.globl	_ZN7rocprim17ROCPRIM_400000_NS6detail17trampoline_kernelINS0_14default_configENS1_21merge_config_selectorINS0_5tupleIJjjEEENS0_10empty_typeEEEZNS1_10merge_implIS3_NS0_12zip_iteratorINS5_IJN6thrust23THRUST_200600_302600_NS6detail15normal_iteratorINSC_10device_ptrIKjEEEESI_EEEEESK_NSA_INS5_IJNSC_16discard_iteratorINSC_11use_defaultEEESN_EEEEEPS7_SQ_SQ_NSC_11hip_rocprim7__merge17predicate_wrapperIjjNSC_4lessIjEEEEEE10hipError_tPvRmT0_T1_T2_T3_T4_T5_mmT6_P12ihipStream_tbEUlT_E0_NS1_11comp_targetILNS1_3genE3ELNS1_11target_archE908ELNS1_3gpuE7ELNS1_3repE0EEENS1_30default_config_static_selectorELNS0_4arch9wavefront6targetE0EEEvS11_
	.p2align	8
	.type	_ZN7rocprim17ROCPRIM_400000_NS6detail17trampoline_kernelINS0_14default_configENS1_21merge_config_selectorINS0_5tupleIJjjEEENS0_10empty_typeEEEZNS1_10merge_implIS3_NS0_12zip_iteratorINS5_IJN6thrust23THRUST_200600_302600_NS6detail15normal_iteratorINSC_10device_ptrIKjEEEESI_EEEEESK_NSA_INS5_IJNSC_16discard_iteratorINSC_11use_defaultEEESN_EEEEEPS7_SQ_SQ_NSC_11hip_rocprim7__merge17predicate_wrapperIjjNSC_4lessIjEEEEEE10hipError_tPvRmT0_T1_T2_T3_T4_T5_mmT6_P12ihipStream_tbEUlT_E0_NS1_11comp_targetILNS1_3genE3ELNS1_11target_archE908ELNS1_3gpuE7ELNS1_3repE0EEENS1_30default_config_static_selectorELNS0_4arch9wavefront6targetE0EEEvS11_,@function
_ZN7rocprim17ROCPRIM_400000_NS6detail17trampoline_kernelINS0_14default_configENS1_21merge_config_selectorINS0_5tupleIJjjEEENS0_10empty_typeEEEZNS1_10merge_implIS3_NS0_12zip_iteratorINS5_IJN6thrust23THRUST_200600_302600_NS6detail15normal_iteratorINSC_10device_ptrIKjEEEESI_EEEEESK_NSA_INS5_IJNSC_16discard_iteratorINSC_11use_defaultEEESN_EEEEEPS7_SQ_SQ_NSC_11hip_rocprim7__merge17predicate_wrapperIjjNSC_4lessIjEEEEEE10hipError_tPvRmT0_T1_T2_T3_T4_T5_mmT6_P12ihipStream_tbEUlT_E0_NS1_11comp_targetILNS1_3genE3ELNS1_11target_archE908ELNS1_3gpuE7ELNS1_3repE0EEENS1_30default_config_static_selectorELNS0_4arch9wavefront6targetE0EEEvS11_: ; @_ZN7rocprim17ROCPRIM_400000_NS6detail17trampoline_kernelINS0_14default_configENS1_21merge_config_selectorINS0_5tupleIJjjEEENS0_10empty_typeEEEZNS1_10merge_implIS3_NS0_12zip_iteratorINS5_IJN6thrust23THRUST_200600_302600_NS6detail15normal_iteratorINSC_10device_ptrIKjEEEESI_EEEEESK_NSA_INS5_IJNSC_16discard_iteratorINSC_11use_defaultEEESN_EEEEEPS7_SQ_SQ_NSC_11hip_rocprim7__merge17predicate_wrapperIjjNSC_4lessIjEEEEEE10hipError_tPvRmT0_T1_T2_T3_T4_T5_mmT6_P12ihipStream_tbEUlT_E0_NS1_11comp_targetILNS1_3genE3ELNS1_11target_archE908ELNS1_3gpuE7ELNS1_3repE0EEENS1_30default_config_static_selectorELNS0_4arch9wavefront6targetE0EEEvS11_
; %bb.0:
	.section	.rodata,"a",@progbits
	.p2align	6, 0x0
	.amdhsa_kernel _ZN7rocprim17ROCPRIM_400000_NS6detail17trampoline_kernelINS0_14default_configENS1_21merge_config_selectorINS0_5tupleIJjjEEENS0_10empty_typeEEEZNS1_10merge_implIS3_NS0_12zip_iteratorINS5_IJN6thrust23THRUST_200600_302600_NS6detail15normal_iteratorINSC_10device_ptrIKjEEEESI_EEEEESK_NSA_INS5_IJNSC_16discard_iteratorINSC_11use_defaultEEESN_EEEEEPS7_SQ_SQ_NSC_11hip_rocprim7__merge17predicate_wrapperIjjNSC_4lessIjEEEEEE10hipError_tPvRmT0_T1_T2_T3_T4_T5_mmT6_P12ihipStream_tbEUlT_E0_NS1_11comp_targetILNS1_3genE3ELNS1_11target_archE908ELNS1_3gpuE7ELNS1_3repE0EEENS1_30default_config_static_selectorELNS0_4arch9wavefront6targetE0EEEvS11_
		.amdhsa_group_segment_fixed_size 0
		.amdhsa_private_segment_fixed_size 0
		.amdhsa_kernarg_size 128
		.amdhsa_user_sgpr_count 2
		.amdhsa_user_sgpr_dispatch_ptr 0
		.amdhsa_user_sgpr_queue_ptr 0
		.amdhsa_user_sgpr_kernarg_segment_ptr 1
		.amdhsa_user_sgpr_dispatch_id 0
		.amdhsa_user_sgpr_kernarg_preload_length 0
		.amdhsa_user_sgpr_kernarg_preload_offset 0
		.amdhsa_user_sgpr_private_segment_size 0
		.amdhsa_wavefront_size32 1
		.amdhsa_uses_dynamic_stack 0
		.amdhsa_enable_private_segment 0
		.amdhsa_system_sgpr_workgroup_id_x 1
		.amdhsa_system_sgpr_workgroup_id_y 0
		.amdhsa_system_sgpr_workgroup_id_z 0
		.amdhsa_system_sgpr_workgroup_info 0
		.amdhsa_system_vgpr_workitem_id 0
		.amdhsa_next_free_vgpr 1
		.amdhsa_next_free_sgpr 1
		.amdhsa_named_barrier_count 0
		.amdhsa_reserve_vcc 0
		.amdhsa_float_round_mode_32 0
		.amdhsa_float_round_mode_16_64 0
		.amdhsa_float_denorm_mode_32 3
		.amdhsa_float_denorm_mode_16_64 3
		.amdhsa_fp16_overflow 0
		.amdhsa_memory_ordered 1
		.amdhsa_forward_progress 1
		.amdhsa_inst_pref_size 0
		.amdhsa_round_robin_scheduling 0
		.amdhsa_exception_fp_ieee_invalid_op 0
		.amdhsa_exception_fp_denorm_src 0
		.amdhsa_exception_fp_ieee_div_zero 0
		.amdhsa_exception_fp_ieee_overflow 0
		.amdhsa_exception_fp_ieee_underflow 0
		.amdhsa_exception_fp_ieee_inexact 0
		.amdhsa_exception_int_div_zero 0
	.end_amdhsa_kernel
	.section	.text._ZN7rocprim17ROCPRIM_400000_NS6detail17trampoline_kernelINS0_14default_configENS1_21merge_config_selectorINS0_5tupleIJjjEEENS0_10empty_typeEEEZNS1_10merge_implIS3_NS0_12zip_iteratorINS5_IJN6thrust23THRUST_200600_302600_NS6detail15normal_iteratorINSC_10device_ptrIKjEEEESI_EEEEESK_NSA_INS5_IJNSC_16discard_iteratorINSC_11use_defaultEEESN_EEEEEPS7_SQ_SQ_NSC_11hip_rocprim7__merge17predicate_wrapperIjjNSC_4lessIjEEEEEE10hipError_tPvRmT0_T1_T2_T3_T4_T5_mmT6_P12ihipStream_tbEUlT_E0_NS1_11comp_targetILNS1_3genE3ELNS1_11target_archE908ELNS1_3gpuE7ELNS1_3repE0EEENS1_30default_config_static_selectorELNS0_4arch9wavefront6targetE0EEEvS11_,"axG",@progbits,_ZN7rocprim17ROCPRIM_400000_NS6detail17trampoline_kernelINS0_14default_configENS1_21merge_config_selectorINS0_5tupleIJjjEEENS0_10empty_typeEEEZNS1_10merge_implIS3_NS0_12zip_iteratorINS5_IJN6thrust23THRUST_200600_302600_NS6detail15normal_iteratorINSC_10device_ptrIKjEEEESI_EEEEESK_NSA_INS5_IJNSC_16discard_iteratorINSC_11use_defaultEEESN_EEEEEPS7_SQ_SQ_NSC_11hip_rocprim7__merge17predicate_wrapperIjjNSC_4lessIjEEEEEE10hipError_tPvRmT0_T1_T2_T3_T4_T5_mmT6_P12ihipStream_tbEUlT_E0_NS1_11comp_targetILNS1_3genE3ELNS1_11target_archE908ELNS1_3gpuE7ELNS1_3repE0EEENS1_30default_config_static_selectorELNS0_4arch9wavefront6targetE0EEEvS11_,comdat
.Lfunc_end545:
	.size	_ZN7rocprim17ROCPRIM_400000_NS6detail17trampoline_kernelINS0_14default_configENS1_21merge_config_selectorINS0_5tupleIJjjEEENS0_10empty_typeEEEZNS1_10merge_implIS3_NS0_12zip_iteratorINS5_IJN6thrust23THRUST_200600_302600_NS6detail15normal_iteratorINSC_10device_ptrIKjEEEESI_EEEEESK_NSA_INS5_IJNSC_16discard_iteratorINSC_11use_defaultEEESN_EEEEEPS7_SQ_SQ_NSC_11hip_rocprim7__merge17predicate_wrapperIjjNSC_4lessIjEEEEEE10hipError_tPvRmT0_T1_T2_T3_T4_T5_mmT6_P12ihipStream_tbEUlT_E0_NS1_11comp_targetILNS1_3genE3ELNS1_11target_archE908ELNS1_3gpuE7ELNS1_3repE0EEENS1_30default_config_static_selectorELNS0_4arch9wavefront6targetE0EEEvS11_, .Lfunc_end545-_ZN7rocprim17ROCPRIM_400000_NS6detail17trampoline_kernelINS0_14default_configENS1_21merge_config_selectorINS0_5tupleIJjjEEENS0_10empty_typeEEEZNS1_10merge_implIS3_NS0_12zip_iteratorINS5_IJN6thrust23THRUST_200600_302600_NS6detail15normal_iteratorINSC_10device_ptrIKjEEEESI_EEEEESK_NSA_INS5_IJNSC_16discard_iteratorINSC_11use_defaultEEESN_EEEEEPS7_SQ_SQ_NSC_11hip_rocprim7__merge17predicate_wrapperIjjNSC_4lessIjEEEEEE10hipError_tPvRmT0_T1_T2_T3_T4_T5_mmT6_P12ihipStream_tbEUlT_E0_NS1_11comp_targetILNS1_3genE3ELNS1_11target_archE908ELNS1_3gpuE7ELNS1_3repE0EEENS1_30default_config_static_selectorELNS0_4arch9wavefront6targetE0EEEvS11_
                                        ; -- End function
	.set _ZN7rocprim17ROCPRIM_400000_NS6detail17trampoline_kernelINS0_14default_configENS1_21merge_config_selectorINS0_5tupleIJjjEEENS0_10empty_typeEEEZNS1_10merge_implIS3_NS0_12zip_iteratorINS5_IJN6thrust23THRUST_200600_302600_NS6detail15normal_iteratorINSC_10device_ptrIKjEEEESI_EEEEESK_NSA_INS5_IJNSC_16discard_iteratorINSC_11use_defaultEEESN_EEEEEPS7_SQ_SQ_NSC_11hip_rocprim7__merge17predicate_wrapperIjjNSC_4lessIjEEEEEE10hipError_tPvRmT0_T1_T2_T3_T4_T5_mmT6_P12ihipStream_tbEUlT_E0_NS1_11comp_targetILNS1_3genE3ELNS1_11target_archE908ELNS1_3gpuE7ELNS1_3repE0EEENS1_30default_config_static_selectorELNS0_4arch9wavefront6targetE0EEEvS11_.num_vgpr, 0
	.set _ZN7rocprim17ROCPRIM_400000_NS6detail17trampoline_kernelINS0_14default_configENS1_21merge_config_selectorINS0_5tupleIJjjEEENS0_10empty_typeEEEZNS1_10merge_implIS3_NS0_12zip_iteratorINS5_IJN6thrust23THRUST_200600_302600_NS6detail15normal_iteratorINSC_10device_ptrIKjEEEESI_EEEEESK_NSA_INS5_IJNSC_16discard_iteratorINSC_11use_defaultEEESN_EEEEEPS7_SQ_SQ_NSC_11hip_rocprim7__merge17predicate_wrapperIjjNSC_4lessIjEEEEEE10hipError_tPvRmT0_T1_T2_T3_T4_T5_mmT6_P12ihipStream_tbEUlT_E0_NS1_11comp_targetILNS1_3genE3ELNS1_11target_archE908ELNS1_3gpuE7ELNS1_3repE0EEENS1_30default_config_static_selectorELNS0_4arch9wavefront6targetE0EEEvS11_.num_agpr, 0
	.set _ZN7rocprim17ROCPRIM_400000_NS6detail17trampoline_kernelINS0_14default_configENS1_21merge_config_selectorINS0_5tupleIJjjEEENS0_10empty_typeEEEZNS1_10merge_implIS3_NS0_12zip_iteratorINS5_IJN6thrust23THRUST_200600_302600_NS6detail15normal_iteratorINSC_10device_ptrIKjEEEESI_EEEEESK_NSA_INS5_IJNSC_16discard_iteratorINSC_11use_defaultEEESN_EEEEEPS7_SQ_SQ_NSC_11hip_rocprim7__merge17predicate_wrapperIjjNSC_4lessIjEEEEEE10hipError_tPvRmT0_T1_T2_T3_T4_T5_mmT6_P12ihipStream_tbEUlT_E0_NS1_11comp_targetILNS1_3genE3ELNS1_11target_archE908ELNS1_3gpuE7ELNS1_3repE0EEENS1_30default_config_static_selectorELNS0_4arch9wavefront6targetE0EEEvS11_.numbered_sgpr, 0
	.set _ZN7rocprim17ROCPRIM_400000_NS6detail17trampoline_kernelINS0_14default_configENS1_21merge_config_selectorINS0_5tupleIJjjEEENS0_10empty_typeEEEZNS1_10merge_implIS3_NS0_12zip_iteratorINS5_IJN6thrust23THRUST_200600_302600_NS6detail15normal_iteratorINSC_10device_ptrIKjEEEESI_EEEEESK_NSA_INS5_IJNSC_16discard_iteratorINSC_11use_defaultEEESN_EEEEEPS7_SQ_SQ_NSC_11hip_rocprim7__merge17predicate_wrapperIjjNSC_4lessIjEEEEEE10hipError_tPvRmT0_T1_T2_T3_T4_T5_mmT6_P12ihipStream_tbEUlT_E0_NS1_11comp_targetILNS1_3genE3ELNS1_11target_archE908ELNS1_3gpuE7ELNS1_3repE0EEENS1_30default_config_static_selectorELNS0_4arch9wavefront6targetE0EEEvS11_.num_named_barrier, 0
	.set _ZN7rocprim17ROCPRIM_400000_NS6detail17trampoline_kernelINS0_14default_configENS1_21merge_config_selectorINS0_5tupleIJjjEEENS0_10empty_typeEEEZNS1_10merge_implIS3_NS0_12zip_iteratorINS5_IJN6thrust23THRUST_200600_302600_NS6detail15normal_iteratorINSC_10device_ptrIKjEEEESI_EEEEESK_NSA_INS5_IJNSC_16discard_iteratorINSC_11use_defaultEEESN_EEEEEPS7_SQ_SQ_NSC_11hip_rocprim7__merge17predicate_wrapperIjjNSC_4lessIjEEEEEE10hipError_tPvRmT0_T1_T2_T3_T4_T5_mmT6_P12ihipStream_tbEUlT_E0_NS1_11comp_targetILNS1_3genE3ELNS1_11target_archE908ELNS1_3gpuE7ELNS1_3repE0EEENS1_30default_config_static_selectorELNS0_4arch9wavefront6targetE0EEEvS11_.private_seg_size, 0
	.set _ZN7rocprim17ROCPRIM_400000_NS6detail17trampoline_kernelINS0_14default_configENS1_21merge_config_selectorINS0_5tupleIJjjEEENS0_10empty_typeEEEZNS1_10merge_implIS3_NS0_12zip_iteratorINS5_IJN6thrust23THRUST_200600_302600_NS6detail15normal_iteratorINSC_10device_ptrIKjEEEESI_EEEEESK_NSA_INS5_IJNSC_16discard_iteratorINSC_11use_defaultEEESN_EEEEEPS7_SQ_SQ_NSC_11hip_rocprim7__merge17predicate_wrapperIjjNSC_4lessIjEEEEEE10hipError_tPvRmT0_T1_T2_T3_T4_T5_mmT6_P12ihipStream_tbEUlT_E0_NS1_11comp_targetILNS1_3genE3ELNS1_11target_archE908ELNS1_3gpuE7ELNS1_3repE0EEENS1_30default_config_static_selectorELNS0_4arch9wavefront6targetE0EEEvS11_.uses_vcc, 0
	.set _ZN7rocprim17ROCPRIM_400000_NS6detail17trampoline_kernelINS0_14default_configENS1_21merge_config_selectorINS0_5tupleIJjjEEENS0_10empty_typeEEEZNS1_10merge_implIS3_NS0_12zip_iteratorINS5_IJN6thrust23THRUST_200600_302600_NS6detail15normal_iteratorINSC_10device_ptrIKjEEEESI_EEEEESK_NSA_INS5_IJNSC_16discard_iteratorINSC_11use_defaultEEESN_EEEEEPS7_SQ_SQ_NSC_11hip_rocprim7__merge17predicate_wrapperIjjNSC_4lessIjEEEEEE10hipError_tPvRmT0_T1_T2_T3_T4_T5_mmT6_P12ihipStream_tbEUlT_E0_NS1_11comp_targetILNS1_3genE3ELNS1_11target_archE908ELNS1_3gpuE7ELNS1_3repE0EEENS1_30default_config_static_selectorELNS0_4arch9wavefront6targetE0EEEvS11_.uses_flat_scratch, 0
	.set _ZN7rocprim17ROCPRIM_400000_NS6detail17trampoline_kernelINS0_14default_configENS1_21merge_config_selectorINS0_5tupleIJjjEEENS0_10empty_typeEEEZNS1_10merge_implIS3_NS0_12zip_iteratorINS5_IJN6thrust23THRUST_200600_302600_NS6detail15normal_iteratorINSC_10device_ptrIKjEEEESI_EEEEESK_NSA_INS5_IJNSC_16discard_iteratorINSC_11use_defaultEEESN_EEEEEPS7_SQ_SQ_NSC_11hip_rocprim7__merge17predicate_wrapperIjjNSC_4lessIjEEEEEE10hipError_tPvRmT0_T1_T2_T3_T4_T5_mmT6_P12ihipStream_tbEUlT_E0_NS1_11comp_targetILNS1_3genE3ELNS1_11target_archE908ELNS1_3gpuE7ELNS1_3repE0EEENS1_30default_config_static_selectorELNS0_4arch9wavefront6targetE0EEEvS11_.has_dyn_sized_stack, 0
	.set _ZN7rocprim17ROCPRIM_400000_NS6detail17trampoline_kernelINS0_14default_configENS1_21merge_config_selectorINS0_5tupleIJjjEEENS0_10empty_typeEEEZNS1_10merge_implIS3_NS0_12zip_iteratorINS5_IJN6thrust23THRUST_200600_302600_NS6detail15normal_iteratorINSC_10device_ptrIKjEEEESI_EEEEESK_NSA_INS5_IJNSC_16discard_iteratorINSC_11use_defaultEEESN_EEEEEPS7_SQ_SQ_NSC_11hip_rocprim7__merge17predicate_wrapperIjjNSC_4lessIjEEEEEE10hipError_tPvRmT0_T1_T2_T3_T4_T5_mmT6_P12ihipStream_tbEUlT_E0_NS1_11comp_targetILNS1_3genE3ELNS1_11target_archE908ELNS1_3gpuE7ELNS1_3repE0EEENS1_30default_config_static_selectorELNS0_4arch9wavefront6targetE0EEEvS11_.has_recursion, 0
	.set _ZN7rocprim17ROCPRIM_400000_NS6detail17trampoline_kernelINS0_14default_configENS1_21merge_config_selectorINS0_5tupleIJjjEEENS0_10empty_typeEEEZNS1_10merge_implIS3_NS0_12zip_iteratorINS5_IJN6thrust23THRUST_200600_302600_NS6detail15normal_iteratorINSC_10device_ptrIKjEEEESI_EEEEESK_NSA_INS5_IJNSC_16discard_iteratorINSC_11use_defaultEEESN_EEEEEPS7_SQ_SQ_NSC_11hip_rocprim7__merge17predicate_wrapperIjjNSC_4lessIjEEEEEE10hipError_tPvRmT0_T1_T2_T3_T4_T5_mmT6_P12ihipStream_tbEUlT_E0_NS1_11comp_targetILNS1_3genE3ELNS1_11target_archE908ELNS1_3gpuE7ELNS1_3repE0EEENS1_30default_config_static_selectorELNS0_4arch9wavefront6targetE0EEEvS11_.has_indirect_call, 0
	.section	.AMDGPU.csdata,"",@progbits
; Kernel info:
; codeLenInByte = 0
; TotalNumSgprs: 0
; NumVgprs: 0
; ScratchSize: 0
; MemoryBound: 0
; FloatMode: 240
; IeeeMode: 1
; LDSByteSize: 0 bytes/workgroup (compile time only)
; SGPRBlocks: 0
; VGPRBlocks: 0
; NumSGPRsForWavesPerEU: 1
; NumVGPRsForWavesPerEU: 1
; NamedBarCnt: 0
; Occupancy: 16
; WaveLimiterHint : 0
; COMPUTE_PGM_RSRC2:SCRATCH_EN: 0
; COMPUTE_PGM_RSRC2:USER_SGPR: 2
; COMPUTE_PGM_RSRC2:TRAP_HANDLER: 0
; COMPUTE_PGM_RSRC2:TGID_X_EN: 1
; COMPUTE_PGM_RSRC2:TGID_Y_EN: 0
; COMPUTE_PGM_RSRC2:TGID_Z_EN: 0
; COMPUTE_PGM_RSRC2:TIDIG_COMP_CNT: 0
	.section	.text._ZN7rocprim17ROCPRIM_400000_NS6detail17trampoline_kernelINS0_14default_configENS1_21merge_config_selectorINS0_5tupleIJjjEEENS0_10empty_typeEEEZNS1_10merge_implIS3_NS0_12zip_iteratorINS5_IJN6thrust23THRUST_200600_302600_NS6detail15normal_iteratorINSC_10device_ptrIKjEEEESI_EEEEESK_NSA_INS5_IJNSC_16discard_iteratorINSC_11use_defaultEEESN_EEEEEPS7_SQ_SQ_NSC_11hip_rocprim7__merge17predicate_wrapperIjjNSC_4lessIjEEEEEE10hipError_tPvRmT0_T1_T2_T3_T4_T5_mmT6_P12ihipStream_tbEUlT_E0_NS1_11comp_targetILNS1_3genE2ELNS1_11target_archE906ELNS1_3gpuE6ELNS1_3repE0EEENS1_30default_config_static_selectorELNS0_4arch9wavefront6targetE0EEEvS11_,"axG",@progbits,_ZN7rocprim17ROCPRIM_400000_NS6detail17trampoline_kernelINS0_14default_configENS1_21merge_config_selectorINS0_5tupleIJjjEEENS0_10empty_typeEEEZNS1_10merge_implIS3_NS0_12zip_iteratorINS5_IJN6thrust23THRUST_200600_302600_NS6detail15normal_iteratorINSC_10device_ptrIKjEEEESI_EEEEESK_NSA_INS5_IJNSC_16discard_iteratorINSC_11use_defaultEEESN_EEEEEPS7_SQ_SQ_NSC_11hip_rocprim7__merge17predicate_wrapperIjjNSC_4lessIjEEEEEE10hipError_tPvRmT0_T1_T2_T3_T4_T5_mmT6_P12ihipStream_tbEUlT_E0_NS1_11comp_targetILNS1_3genE2ELNS1_11target_archE906ELNS1_3gpuE6ELNS1_3repE0EEENS1_30default_config_static_selectorELNS0_4arch9wavefront6targetE0EEEvS11_,comdat
	.protected	_ZN7rocprim17ROCPRIM_400000_NS6detail17trampoline_kernelINS0_14default_configENS1_21merge_config_selectorINS0_5tupleIJjjEEENS0_10empty_typeEEEZNS1_10merge_implIS3_NS0_12zip_iteratorINS5_IJN6thrust23THRUST_200600_302600_NS6detail15normal_iteratorINSC_10device_ptrIKjEEEESI_EEEEESK_NSA_INS5_IJNSC_16discard_iteratorINSC_11use_defaultEEESN_EEEEEPS7_SQ_SQ_NSC_11hip_rocprim7__merge17predicate_wrapperIjjNSC_4lessIjEEEEEE10hipError_tPvRmT0_T1_T2_T3_T4_T5_mmT6_P12ihipStream_tbEUlT_E0_NS1_11comp_targetILNS1_3genE2ELNS1_11target_archE906ELNS1_3gpuE6ELNS1_3repE0EEENS1_30default_config_static_selectorELNS0_4arch9wavefront6targetE0EEEvS11_ ; -- Begin function _ZN7rocprim17ROCPRIM_400000_NS6detail17trampoline_kernelINS0_14default_configENS1_21merge_config_selectorINS0_5tupleIJjjEEENS0_10empty_typeEEEZNS1_10merge_implIS3_NS0_12zip_iteratorINS5_IJN6thrust23THRUST_200600_302600_NS6detail15normal_iteratorINSC_10device_ptrIKjEEEESI_EEEEESK_NSA_INS5_IJNSC_16discard_iteratorINSC_11use_defaultEEESN_EEEEEPS7_SQ_SQ_NSC_11hip_rocprim7__merge17predicate_wrapperIjjNSC_4lessIjEEEEEE10hipError_tPvRmT0_T1_T2_T3_T4_T5_mmT6_P12ihipStream_tbEUlT_E0_NS1_11comp_targetILNS1_3genE2ELNS1_11target_archE906ELNS1_3gpuE6ELNS1_3repE0EEENS1_30default_config_static_selectorELNS0_4arch9wavefront6targetE0EEEvS11_
	.globl	_ZN7rocprim17ROCPRIM_400000_NS6detail17trampoline_kernelINS0_14default_configENS1_21merge_config_selectorINS0_5tupleIJjjEEENS0_10empty_typeEEEZNS1_10merge_implIS3_NS0_12zip_iteratorINS5_IJN6thrust23THRUST_200600_302600_NS6detail15normal_iteratorINSC_10device_ptrIKjEEEESI_EEEEESK_NSA_INS5_IJNSC_16discard_iteratorINSC_11use_defaultEEESN_EEEEEPS7_SQ_SQ_NSC_11hip_rocprim7__merge17predicate_wrapperIjjNSC_4lessIjEEEEEE10hipError_tPvRmT0_T1_T2_T3_T4_T5_mmT6_P12ihipStream_tbEUlT_E0_NS1_11comp_targetILNS1_3genE2ELNS1_11target_archE906ELNS1_3gpuE6ELNS1_3repE0EEENS1_30default_config_static_selectorELNS0_4arch9wavefront6targetE0EEEvS11_
	.p2align	8
	.type	_ZN7rocprim17ROCPRIM_400000_NS6detail17trampoline_kernelINS0_14default_configENS1_21merge_config_selectorINS0_5tupleIJjjEEENS0_10empty_typeEEEZNS1_10merge_implIS3_NS0_12zip_iteratorINS5_IJN6thrust23THRUST_200600_302600_NS6detail15normal_iteratorINSC_10device_ptrIKjEEEESI_EEEEESK_NSA_INS5_IJNSC_16discard_iteratorINSC_11use_defaultEEESN_EEEEEPS7_SQ_SQ_NSC_11hip_rocprim7__merge17predicate_wrapperIjjNSC_4lessIjEEEEEE10hipError_tPvRmT0_T1_T2_T3_T4_T5_mmT6_P12ihipStream_tbEUlT_E0_NS1_11comp_targetILNS1_3genE2ELNS1_11target_archE906ELNS1_3gpuE6ELNS1_3repE0EEENS1_30default_config_static_selectorELNS0_4arch9wavefront6targetE0EEEvS11_,@function
_ZN7rocprim17ROCPRIM_400000_NS6detail17trampoline_kernelINS0_14default_configENS1_21merge_config_selectorINS0_5tupleIJjjEEENS0_10empty_typeEEEZNS1_10merge_implIS3_NS0_12zip_iteratorINS5_IJN6thrust23THRUST_200600_302600_NS6detail15normal_iteratorINSC_10device_ptrIKjEEEESI_EEEEESK_NSA_INS5_IJNSC_16discard_iteratorINSC_11use_defaultEEESN_EEEEEPS7_SQ_SQ_NSC_11hip_rocprim7__merge17predicate_wrapperIjjNSC_4lessIjEEEEEE10hipError_tPvRmT0_T1_T2_T3_T4_T5_mmT6_P12ihipStream_tbEUlT_E0_NS1_11comp_targetILNS1_3genE2ELNS1_11target_archE906ELNS1_3gpuE6ELNS1_3repE0EEENS1_30default_config_static_selectorELNS0_4arch9wavefront6targetE0EEEvS11_: ; @_ZN7rocprim17ROCPRIM_400000_NS6detail17trampoline_kernelINS0_14default_configENS1_21merge_config_selectorINS0_5tupleIJjjEEENS0_10empty_typeEEEZNS1_10merge_implIS3_NS0_12zip_iteratorINS5_IJN6thrust23THRUST_200600_302600_NS6detail15normal_iteratorINSC_10device_ptrIKjEEEESI_EEEEESK_NSA_INS5_IJNSC_16discard_iteratorINSC_11use_defaultEEESN_EEEEEPS7_SQ_SQ_NSC_11hip_rocprim7__merge17predicate_wrapperIjjNSC_4lessIjEEEEEE10hipError_tPvRmT0_T1_T2_T3_T4_T5_mmT6_P12ihipStream_tbEUlT_E0_NS1_11comp_targetILNS1_3genE2ELNS1_11target_archE906ELNS1_3gpuE6ELNS1_3repE0EEENS1_30default_config_static_selectorELNS0_4arch9wavefront6targetE0EEEvS11_
; %bb.0:
	.section	.rodata,"a",@progbits
	.p2align	6, 0x0
	.amdhsa_kernel _ZN7rocprim17ROCPRIM_400000_NS6detail17trampoline_kernelINS0_14default_configENS1_21merge_config_selectorINS0_5tupleIJjjEEENS0_10empty_typeEEEZNS1_10merge_implIS3_NS0_12zip_iteratorINS5_IJN6thrust23THRUST_200600_302600_NS6detail15normal_iteratorINSC_10device_ptrIKjEEEESI_EEEEESK_NSA_INS5_IJNSC_16discard_iteratorINSC_11use_defaultEEESN_EEEEEPS7_SQ_SQ_NSC_11hip_rocprim7__merge17predicate_wrapperIjjNSC_4lessIjEEEEEE10hipError_tPvRmT0_T1_T2_T3_T4_T5_mmT6_P12ihipStream_tbEUlT_E0_NS1_11comp_targetILNS1_3genE2ELNS1_11target_archE906ELNS1_3gpuE6ELNS1_3repE0EEENS1_30default_config_static_selectorELNS0_4arch9wavefront6targetE0EEEvS11_
		.amdhsa_group_segment_fixed_size 0
		.amdhsa_private_segment_fixed_size 0
		.amdhsa_kernarg_size 128
		.amdhsa_user_sgpr_count 2
		.amdhsa_user_sgpr_dispatch_ptr 0
		.amdhsa_user_sgpr_queue_ptr 0
		.amdhsa_user_sgpr_kernarg_segment_ptr 1
		.amdhsa_user_sgpr_dispatch_id 0
		.amdhsa_user_sgpr_kernarg_preload_length 0
		.amdhsa_user_sgpr_kernarg_preload_offset 0
		.amdhsa_user_sgpr_private_segment_size 0
		.amdhsa_wavefront_size32 1
		.amdhsa_uses_dynamic_stack 0
		.amdhsa_enable_private_segment 0
		.amdhsa_system_sgpr_workgroup_id_x 1
		.amdhsa_system_sgpr_workgroup_id_y 0
		.amdhsa_system_sgpr_workgroup_id_z 0
		.amdhsa_system_sgpr_workgroup_info 0
		.amdhsa_system_vgpr_workitem_id 0
		.amdhsa_next_free_vgpr 1
		.amdhsa_next_free_sgpr 1
		.amdhsa_named_barrier_count 0
		.amdhsa_reserve_vcc 0
		.amdhsa_float_round_mode_32 0
		.amdhsa_float_round_mode_16_64 0
		.amdhsa_float_denorm_mode_32 3
		.amdhsa_float_denorm_mode_16_64 3
		.amdhsa_fp16_overflow 0
		.amdhsa_memory_ordered 1
		.amdhsa_forward_progress 1
		.amdhsa_inst_pref_size 0
		.amdhsa_round_robin_scheduling 0
		.amdhsa_exception_fp_ieee_invalid_op 0
		.amdhsa_exception_fp_denorm_src 0
		.amdhsa_exception_fp_ieee_div_zero 0
		.amdhsa_exception_fp_ieee_overflow 0
		.amdhsa_exception_fp_ieee_underflow 0
		.amdhsa_exception_fp_ieee_inexact 0
		.amdhsa_exception_int_div_zero 0
	.end_amdhsa_kernel
	.section	.text._ZN7rocprim17ROCPRIM_400000_NS6detail17trampoline_kernelINS0_14default_configENS1_21merge_config_selectorINS0_5tupleIJjjEEENS0_10empty_typeEEEZNS1_10merge_implIS3_NS0_12zip_iteratorINS5_IJN6thrust23THRUST_200600_302600_NS6detail15normal_iteratorINSC_10device_ptrIKjEEEESI_EEEEESK_NSA_INS5_IJNSC_16discard_iteratorINSC_11use_defaultEEESN_EEEEEPS7_SQ_SQ_NSC_11hip_rocprim7__merge17predicate_wrapperIjjNSC_4lessIjEEEEEE10hipError_tPvRmT0_T1_T2_T3_T4_T5_mmT6_P12ihipStream_tbEUlT_E0_NS1_11comp_targetILNS1_3genE2ELNS1_11target_archE906ELNS1_3gpuE6ELNS1_3repE0EEENS1_30default_config_static_selectorELNS0_4arch9wavefront6targetE0EEEvS11_,"axG",@progbits,_ZN7rocprim17ROCPRIM_400000_NS6detail17trampoline_kernelINS0_14default_configENS1_21merge_config_selectorINS0_5tupleIJjjEEENS0_10empty_typeEEEZNS1_10merge_implIS3_NS0_12zip_iteratorINS5_IJN6thrust23THRUST_200600_302600_NS6detail15normal_iteratorINSC_10device_ptrIKjEEEESI_EEEEESK_NSA_INS5_IJNSC_16discard_iteratorINSC_11use_defaultEEESN_EEEEEPS7_SQ_SQ_NSC_11hip_rocprim7__merge17predicate_wrapperIjjNSC_4lessIjEEEEEE10hipError_tPvRmT0_T1_T2_T3_T4_T5_mmT6_P12ihipStream_tbEUlT_E0_NS1_11comp_targetILNS1_3genE2ELNS1_11target_archE906ELNS1_3gpuE6ELNS1_3repE0EEENS1_30default_config_static_selectorELNS0_4arch9wavefront6targetE0EEEvS11_,comdat
.Lfunc_end546:
	.size	_ZN7rocprim17ROCPRIM_400000_NS6detail17trampoline_kernelINS0_14default_configENS1_21merge_config_selectorINS0_5tupleIJjjEEENS0_10empty_typeEEEZNS1_10merge_implIS3_NS0_12zip_iteratorINS5_IJN6thrust23THRUST_200600_302600_NS6detail15normal_iteratorINSC_10device_ptrIKjEEEESI_EEEEESK_NSA_INS5_IJNSC_16discard_iteratorINSC_11use_defaultEEESN_EEEEEPS7_SQ_SQ_NSC_11hip_rocprim7__merge17predicate_wrapperIjjNSC_4lessIjEEEEEE10hipError_tPvRmT0_T1_T2_T3_T4_T5_mmT6_P12ihipStream_tbEUlT_E0_NS1_11comp_targetILNS1_3genE2ELNS1_11target_archE906ELNS1_3gpuE6ELNS1_3repE0EEENS1_30default_config_static_selectorELNS0_4arch9wavefront6targetE0EEEvS11_, .Lfunc_end546-_ZN7rocprim17ROCPRIM_400000_NS6detail17trampoline_kernelINS0_14default_configENS1_21merge_config_selectorINS0_5tupleIJjjEEENS0_10empty_typeEEEZNS1_10merge_implIS3_NS0_12zip_iteratorINS5_IJN6thrust23THRUST_200600_302600_NS6detail15normal_iteratorINSC_10device_ptrIKjEEEESI_EEEEESK_NSA_INS5_IJNSC_16discard_iteratorINSC_11use_defaultEEESN_EEEEEPS7_SQ_SQ_NSC_11hip_rocprim7__merge17predicate_wrapperIjjNSC_4lessIjEEEEEE10hipError_tPvRmT0_T1_T2_T3_T4_T5_mmT6_P12ihipStream_tbEUlT_E0_NS1_11comp_targetILNS1_3genE2ELNS1_11target_archE906ELNS1_3gpuE6ELNS1_3repE0EEENS1_30default_config_static_selectorELNS0_4arch9wavefront6targetE0EEEvS11_
                                        ; -- End function
	.set _ZN7rocprim17ROCPRIM_400000_NS6detail17trampoline_kernelINS0_14default_configENS1_21merge_config_selectorINS0_5tupleIJjjEEENS0_10empty_typeEEEZNS1_10merge_implIS3_NS0_12zip_iteratorINS5_IJN6thrust23THRUST_200600_302600_NS6detail15normal_iteratorINSC_10device_ptrIKjEEEESI_EEEEESK_NSA_INS5_IJNSC_16discard_iteratorINSC_11use_defaultEEESN_EEEEEPS7_SQ_SQ_NSC_11hip_rocprim7__merge17predicate_wrapperIjjNSC_4lessIjEEEEEE10hipError_tPvRmT0_T1_T2_T3_T4_T5_mmT6_P12ihipStream_tbEUlT_E0_NS1_11comp_targetILNS1_3genE2ELNS1_11target_archE906ELNS1_3gpuE6ELNS1_3repE0EEENS1_30default_config_static_selectorELNS0_4arch9wavefront6targetE0EEEvS11_.num_vgpr, 0
	.set _ZN7rocprim17ROCPRIM_400000_NS6detail17trampoline_kernelINS0_14default_configENS1_21merge_config_selectorINS0_5tupleIJjjEEENS0_10empty_typeEEEZNS1_10merge_implIS3_NS0_12zip_iteratorINS5_IJN6thrust23THRUST_200600_302600_NS6detail15normal_iteratorINSC_10device_ptrIKjEEEESI_EEEEESK_NSA_INS5_IJNSC_16discard_iteratorINSC_11use_defaultEEESN_EEEEEPS7_SQ_SQ_NSC_11hip_rocprim7__merge17predicate_wrapperIjjNSC_4lessIjEEEEEE10hipError_tPvRmT0_T1_T2_T3_T4_T5_mmT6_P12ihipStream_tbEUlT_E0_NS1_11comp_targetILNS1_3genE2ELNS1_11target_archE906ELNS1_3gpuE6ELNS1_3repE0EEENS1_30default_config_static_selectorELNS0_4arch9wavefront6targetE0EEEvS11_.num_agpr, 0
	.set _ZN7rocprim17ROCPRIM_400000_NS6detail17trampoline_kernelINS0_14default_configENS1_21merge_config_selectorINS0_5tupleIJjjEEENS0_10empty_typeEEEZNS1_10merge_implIS3_NS0_12zip_iteratorINS5_IJN6thrust23THRUST_200600_302600_NS6detail15normal_iteratorINSC_10device_ptrIKjEEEESI_EEEEESK_NSA_INS5_IJNSC_16discard_iteratorINSC_11use_defaultEEESN_EEEEEPS7_SQ_SQ_NSC_11hip_rocprim7__merge17predicate_wrapperIjjNSC_4lessIjEEEEEE10hipError_tPvRmT0_T1_T2_T3_T4_T5_mmT6_P12ihipStream_tbEUlT_E0_NS1_11comp_targetILNS1_3genE2ELNS1_11target_archE906ELNS1_3gpuE6ELNS1_3repE0EEENS1_30default_config_static_selectorELNS0_4arch9wavefront6targetE0EEEvS11_.numbered_sgpr, 0
	.set _ZN7rocprim17ROCPRIM_400000_NS6detail17trampoline_kernelINS0_14default_configENS1_21merge_config_selectorINS0_5tupleIJjjEEENS0_10empty_typeEEEZNS1_10merge_implIS3_NS0_12zip_iteratorINS5_IJN6thrust23THRUST_200600_302600_NS6detail15normal_iteratorINSC_10device_ptrIKjEEEESI_EEEEESK_NSA_INS5_IJNSC_16discard_iteratorINSC_11use_defaultEEESN_EEEEEPS7_SQ_SQ_NSC_11hip_rocprim7__merge17predicate_wrapperIjjNSC_4lessIjEEEEEE10hipError_tPvRmT0_T1_T2_T3_T4_T5_mmT6_P12ihipStream_tbEUlT_E0_NS1_11comp_targetILNS1_3genE2ELNS1_11target_archE906ELNS1_3gpuE6ELNS1_3repE0EEENS1_30default_config_static_selectorELNS0_4arch9wavefront6targetE0EEEvS11_.num_named_barrier, 0
	.set _ZN7rocprim17ROCPRIM_400000_NS6detail17trampoline_kernelINS0_14default_configENS1_21merge_config_selectorINS0_5tupleIJjjEEENS0_10empty_typeEEEZNS1_10merge_implIS3_NS0_12zip_iteratorINS5_IJN6thrust23THRUST_200600_302600_NS6detail15normal_iteratorINSC_10device_ptrIKjEEEESI_EEEEESK_NSA_INS5_IJNSC_16discard_iteratorINSC_11use_defaultEEESN_EEEEEPS7_SQ_SQ_NSC_11hip_rocprim7__merge17predicate_wrapperIjjNSC_4lessIjEEEEEE10hipError_tPvRmT0_T1_T2_T3_T4_T5_mmT6_P12ihipStream_tbEUlT_E0_NS1_11comp_targetILNS1_3genE2ELNS1_11target_archE906ELNS1_3gpuE6ELNS1_3repE0EEENS1_30default_config_static_selectorELNS0_4arch9wavefront6targetE0EEEvS11_.private_seg_size, 0
	.set _ZN7rocprim17ROCPRIM_400000_NS6detail17trampoline_kernelINS0_14default_configENS1_21merge_config_selectorINS0_5tupleIJjjEEENS0_10empty_typeEEEZNS1_10merge_implIS3_NS0_12zip_iteratorINS5_IJN6thrust23THRUST_200600_302600_NS6detail15normal_iteratorINSC_10device_ptrIKjEEEESI_EEEEESK_NSA_INS5_IJNSC_16discard_iteratorINSC_11use_defaultEEESN_EEEEEPS7_SQ_SQ_NSC_11hip_rocprim7__merge17predicate_wrapperIjjNSC_4lessIjEEEEEE10hipError_tPvRmT0_T1_T2_T3_T4_T5_mmT6_P12ihipStream_tbEUlT_E0_NS1_11comp_targetILNS1_3genE2ELNS1_11target_archE906ELNS1_3gpuE6ELNS1_3repE0EEENS1_30default_config_static_selectorELNS0_4arch9wavefront6targetE0EEEvS11_.uses_vcc, 0
	.set _ZN7rocprim17ROCPRIM_400000_NS6detail17trampoline_kernelINS0_14default_configENS1_21merge_config_selectorINS0_5tupleIJjjEEENS0_10empty_typeEEEZNS1_10merge_implIS3_NS0_12zip_iteratorINS5_IJN6thrust23THRUST_200600_302600_NS6detail15normal_iteratorINSC_10device_ptrIKjEEEESI_EEEEESK_NSA_INS5_IJNSC_16discard_iteratorINSC_11use_defaultEEESN_EEEEEPS7_SQ_SQ_NSC_11hip_rocprim7__merge17predicate_wrapperIjjNSC_4lessIjEEEEEE10hipError_tPvRmT0_T1_T2_T3_T4_T5_mmT6_P12ihipStream_tbEUlT_E0_NS1_11comp_targetILNS1_3genE2ELNS1_11target_archE906ELNS1_3gpuE6ELNS1_3repE0EEENS1_30default_config_static_selectorELNS0_4arch9wavefront6targetE0EEEvS11_.uses_flat_scratch, 0
	.set _ZN7rocprim17ROCPRIM_400000_NS6detail17trampoline_kernelINS0_14default_configENS1_21merge_config_selectorINS0_5tupleIJjjEEENS0_10empty_typeEEEZNS1_10merge_implIS3_NS0_12zip_iteratorINS5_IJN6thrust23THRUST_200600_302600_NS6detail15normal_iteratorINSC_10device_ptrIKjEEEESI_EEEEESK_NSA_INS5_IJNSC_16discard_iteratorINSC_11use_defaultEEESN_EEEEEPS7_SQ_SQ_NSC_11hip_rocprim7__merge17predicate_wrapperIjjNSC_4lessIjEEEEEE10hipError_tPvRmT0_T1_T2_T3_T4_T5_mmT6_P12ihipStream_tbEUlT_E0_NS1_11comp_targetILNS1_3genE2ELNS1_11target_archE906ELNS1_3gpuE6ELNS1_3repE0EEENS1_30default_config_static_selectorELNS0_4arch9wavefront6targetE0EEEvS11_.has_dyn_sized_stack, 0
	.set _ZN7rocprim17ROCPRIM_400000_NS6detail17trampoline_kernelINS0_14default_configENS1_21merge_config_selectorINS0_5tupleIJjjEEENS0_10empty_typeEEEZNS1_10merge_implIS3_NS0_12zip_iteratorINS5_IJN6thrust23THRUST_200600_302600_NS6detail15normal_iteratorINSC_10device_ptrIKjEEEESI_EEEEESK_NSA_INS5_IJNSC_16discard_iteratorINSC_11use_defaultEEESN_EEEEEPS7_SQ_SQ_NSC_11hip_rocprim7__merge17predicate_wrapperIjjNSC_4lessIjEEEEEE10hipError_tPvRmT0_T1_T2_T3_T4_T5_mmT6_P12ihipStream_tbEUlT_E0_NS1_11comp_targetILNS1_3genE2ELNS1_11target_archE906ELNS1_3gpuE6ELNS1_3repE0EEENS1_30default_config_static_selectorELNS0_4arch9wavefront6targetE0EEEvS11_.has_recursion, 0
	.set _ZN7rocprim17ROCPRIM_400000_NS6detail17trampoline_kernelINS0_14default_configENS1_21merge_config_selectorINS0_5tupleIJjjEEENS0_10empty_typeEEEZNS1_10merge_implIS3_NS0_12zip_iteratorINS5_IJN6thrust23THRUST_200600_302600_NS6detail15normal_iteratorINSC_10device_ptrIKjEEEESI_EEEEESK_NSA_INS5_IJNSC_16discard_iteratorINSC_11use_defaultEEESN_EEEEEPS7_SQ_SQ_NSC_11hip_rocprim7__merge17predicate_wrapperIjjNSC_4lessIjEEEEEE10hipError_tPvRmT0_T1_T2_T3_T4_T5_mmT6_P12ihipStream_tbEUlT_E0_NS1_11comp_targetILNS1_3genE2ELNS1_11target_archE906ELNS1_3gpuE6ELNS1_3repE0EEENS1_30default_config_static_selectorELNS0_4arch9wavefront6targetE0EEEvS11_.has_indirect_call, 0
	.section	.AMDGPU.csdata,"",@progbits
; Kernel info:
; codeLenInByte = 0
; TotalNumSgprs: 0
; NumVgprs: 0
; ScratchSize: 0
; MemoryBound: 0
; FloatMode: 240
; IeeeMode: 1
; LDSByteSize: 0 bytes/workgroup (compile time only)
; SGPRBlocks: 0
; VGPRBlocks: 0
; NumSGPRsForWavesPerEU: 1
; NumVGPRsForWavesPerEU: 1
; NamedBarCnt: 0
; Occupancy: 16
; WaveLimiterHint : 0
; COMPUTE_PGM_RSRC2:SCRATCH_EN: 0
; COMPUTE_PGM_RSRC2:USER_SGPR: 2
; COMPUTE_PGM_RSRC2:TRAP_HANDLER: 0
; COMPUTE_PGM_RSRC2:TGID_X_EN: 1
; COMPUTE_PGM_RSRC2:TGID_Y_EN: 0
; COMPUTE_PGM_RSRC2:TGID_Z_EN: 0
; COMPUTE_PGM_RSRC2:TIDIG_COMP_CNT: 0
	.section	.text._ZN7rocprim17ROCPRIM_400000_NS6detail17trampoline_kernelINS0_14default_configENS1_21merge_config_selectorINS0_5tupleIJjjEEENS0_10empty_typeEEEZNS1_10merge_implIS3_NS0_12zip_iteratorINS5_IJN6thrust23THRUST_200600_302600_NS6detail15normal_iteratorINSC_10device_ptrIKjEEEESI_EEEEESK_NSA_INS5_IJNSC_16discard_iteratorINSC_11use_defaultEEESN_EEEEEPS7_SQ_SQ_NSC_11hip_rocprim7__merge17predicate_wrapperIjjNSC_4lessIjEEEEEE10hipError_tPvRmT0_T1_T2_T3_T4_T5_mmT6_P12ihipStream_tbEUlT_E0_NS1_11comp_targetILNS1_3genE10ELNS1_11target_archE1201ELNS1_3gpuE5ELNS1_3repE0EEENS1_30default_config_static_selectorELNS0_4arch9wavefront6targetE0EEEvS11_,"axG",@progbits,_ZN7rocprim17ROCPRIM_400000_NS6detail17trampoline_kernelINS0_14default_configENS1_21merge_config_selectorINS0_5tupleIJjjEEENS0_10empty_typeEEEZNS1_10merge_implIS3_NS0_12zip_iteratorINS5_IJN6thrust23THRUST_200600_302600_NS6detail15normal_iteratorINSC_10device_ptrIKjEEEESI_EEEEESK_NSA_INS5_IJNSC_16discard_iteratorINSC_11use_defaultEEESN_EEEEEPS7_SQ_SQ_NSC_11hip_rocprim7__merge17predicate_wrapperIjjNSC_4lessIjEEEEEE10hipError_tPvRmT0_T1_T2_T3_T4_T5_mmT6_P12ihipStream_tbEUlT_E0_NS1_11comp_targetILNS1_3genE10ELNS1_11target_archE1201ELNS1_3gpuE5ELNS1_3repE0EEENS1_30default_config_static_selectorELNS0_4arch9wavefront6targetE0EEEvS11_,comdat
	.protected	_ZN7rocprim17ROCPRIM_400000_NS6detail17trampoline_kernelINS0_14default_configENS1_21merge_config_selectorINS0_5tupleIJjjEEENS0_10empty_typeEEEZNS1_10merge_implIS3_NS0_12zip_iteratorINS5_IJN6thrust23THRUST_200600_302600_NS6detail15normal_iteratorINSC_10device_ptrIKjEEEESI_EEEEESK_NSA_INS5_IJNSC_16discard_iteratorINSC_11use_defaultEEESN_EEEEEPS7_SQ_SQ_NSC_11hip_rocprim7__merge17predicate_wrapperIjjNSC_4lessIjEEEEEE10hipError_tPvRmT0_T1_T2_T3_T4_T5_mmT6_P12ihipStream_tbEUlT_E0_NS1_11comp_targetILNS1_3genE10ELNS1_11target_archE1201ELNS1_3gpuE5ELNS1_3repE0EEENS1_30default_config_static_selectorELNS0_4arch9wavefront6targetE0EEEvS11_ ; -- Begin function _ZN7rocprim17ROCPRIM_400000_NS6detail17trampoline_kernelINS0_14default_configENS1_21merge_config_selectorINS0_5tupleIJjjEEENS0_10empty_typeEEEZNS1_10merge_implIS3_NS0_12zip_iteratorINS5_IJN6thrust23THRUST_200600_302600_NS6detail15normal_iteratorINSC_10device_ptrIKjEEEESI_EEEEESK_NSA_INS5_IJNSC_16discard_iteratorINSC_11use_defaultEEESN_EEEEEPS7_SQ_SQ_NSC_11hip_rocprim7__merge17predicate_wrapperIjjNSC_4lessIjEEEEEE10hipError_tPvRmT0_T1_T2_T3_T4_T5_mmT6_P12ihipStream_tbEUlT_E0_NS1_11comp_targetILNS1_3genE10ELNS1_11target_archE1201ELNS1_3gpuE5ELNS1_3repE0EEENS1_30default_config_static_selectorELNS0_4arch9wavefront6targetE0EEEvS11_
	.globl	_ZN7rocprim17ROCPRIM_400000_NS6detail17trampoline_kernelINS0_14default_configENS1_21merge_config_selectorINS0_5tupleIJjjEEENS0_10empty_typeEEEZNS1_10merge_implIS3_NS0_12zip_iteratorINS5_IJN6thrust23THRUST_200600_302600_NS6detail15normal_iteratorINSC_10device_ptrIKjEEEESI_EEEEESK_NSA_INS5_IJNSC_16discard_iteratorINSC_11use_defaultEEESN_EEEEEPS7_SQ_SQ_NSC_11hip_rocprim7__merge17predicate_wrapperIjjNSC_4lessIjEEEEEE10hipError_tPvRmT0_T1_T2_T3_T4_T5_mmT6_P12ihipStream_tbEUlT_E0_NS1_11comp_targetILNS1_3genE10ELNS1_11target_archE1201ELNS1_3gpuE5ELNS1_3repE0EEENS1_30default_config_static_selectorELNS0_4arch9wavefront6targetE0EEEvS11_
	.p2align	8
	.type	_ZN7rocprim17ROCPRIM_400000_NS6detail17trampoline_kernelINS0_14default_configENS1_21merge_config_selectorINS0_5tupleIJjjEEENS0_10empty_typeEEEZNS1_10merge_implIS3_NS0_12zip_iteratorINS5_IJN6thrust23THRUST_200600_302600_NS6detail15normal_iteratorINSC_10device_ptrIKjEEEESI_EEEEESK_NSA_INS5_IJNSC_16discard_iteratorINSC_11use_defaultEEESN_EEEEEPS7_SQ_SQ_NSC_11hip_rocprim7__merge17predicate_wrapperIjjNSC_4lessIjEEEEEE10hipError_tPvRmT0_T1_T2_T3_T4_T5_mmT6_P12ihipStream_tbEUlT_E0_NS1_11comp_targetILNS1_3genE10ELNS1_11target_archE1201ELNS1_3gpuE5ELNS1_3repE0EEENS1_30default_config_static_selectorELNS0_4arch9wavefront6targetE0EEEvS11_,@function
_ZN7rocprim17ROCPRIM_400000_NS6detail17trampoline_kernelINS0_14default_configENS1_21merge_config_selectorINS0_5tupleIJjjEEENS0_10empty_typeEEEZNS1_10merge_implIS3_NS0_12zip_iteratorINS5_IJN6thrust23THRUST_200600_302600_NS6detail15normal_iteratorINSC_10device_ptrIKjEEEESI_EEEEESK_NSA_INS5_IJNSC_16discard_iteratorINSC_11use_defaultEEESN_EEEEEPS7_SQ_SQ_NSC_11hip_rocprim7__merge17predicate_wrapperIjjNSC_4lessIjEEEEEE10hipError_tPvRmT0_T1_T2_T3_T4_T5_mmT6_P12ihipStream_tbEUlT_E0_NS1_11comp_targetILNS1_3genE10ELNS1_11target_archE1201ELNS1_3gpuE5ELNS1_3repE0EEENS1_30default_config_static_selectorELNS0_4arch9wavefront6targetE0EEEvS11_: ; @_ZN7rocprim17ROCPRIM_400000_NS6detail17trampoline_kernelINS0_14default_configENS1_21merge_config_selectorINS0_5tupleIJjjEEENS0_10empty_typeEEEZNS1_10merge_implIS3_NS0_12zip_iteratorINS5_IJN6thrust23THRUST_200600_302600_NS6detail15normal_iteratorINSC_10device_ptrIKjEEEESI_EEEEESK_NSA_INS5_IJNSC_16discard_iteratorINSC_11use_defaultEEESN_EEEEEPS7_SQ_SQ_NSC_11hip_rocprim7__merge17predicate_wrapperIjjNSC_4lessIjEEEEEE10hipError_tPvRmT0_T1_T2_T3_T4_T5_mmT6_P12ihipStream_tbEUlT_E0_NS1_11comp_targetILNS1_3genE10ELNS1_11target_archE1201ELNS1_3gpuE5ELNS1_3repE0EEENS1_30default_config_static_selectorELNS0_4arch9wavefront6targetE0EEEvS11_
; %bb.0:
	.section	.rodata,"a",@progbits
	.p2align	6, 0x0
	.amdhsa_kernel _ZN7rocprim17ROCPRIM_400000_NS6detail17trampoline_kernelINS0_14default_configENS1_21merge_config_selectorINS0_5tupleIJjjEEENS0_10empty_typeEEEZNS1_10merge_implIS3_NS0_12zip_iteratorINS5_IJN6thrust23THRUST_200600_302600_NS6detail15normal_iteratorINSC_10device_ptrIKjEEEESI_EEEEESK_NSA_INS5_IJNSC_16discard_iteratorINSC_11use_defaultEEESN_EEEEEPS7_SQ_SQ_NSC_11hip_rocprim7__merge17predicate_wrapperIjjNSC_4lessIjEEEEEE10hipError_tPvRmT0_T1_T2_T3_T4_T5_mmT6_P12ihipStream_tbEUlT_E0_NS1_11comp_targetILNS1_3genE10ELNS1_11target_archE1201ELNS1_3gpuE5ELNS1_3repE0EEENS1_30default_config_static_selectorELNS0_4arch9wavefront6targetE0EEEvS11_
		.amdhsa_group_segment_fixed_size 0
		.amdhsa_private_segment_fixed_size 0
		.amdhsa_kernarg_size 128
		.amdhsa_user_sgpr_count 2
		.amdhsa_user_sgpr_dispatch_ptr 0
		.amdhsa_user_sgpr_queue_ptr 0
		.amdhsa_user_sgpr_kernarg_segment_ptr 1
		.amdhsa_user_sgpr_dispatch_id 0
		.amdhsa_user_sgpr_kernarg_preload_length 0
		.amdhsa_user_sgpr_kernarg_preload_offset 0
		.amdhsa_user_sgpr_private_segment_size 0
		.amdhsa_wavefront_size32 1
		.amdhsa_uses_dynamic_stack 0
		.amdhsa_enable_private_segment 0
		.amdhsa_system_sgpr_workgroup_id_x 1
		.amdhsa_system_sgpr_workgroup_id_y 0
		.amdhsa_system_sgpr_workgroup_id_z 0
		.amdhsa_system_sgpr_workgroup_info 0
		.amdhsa_system_vgpr_workitem_id 0
		.amdhsa_next_free_vgpr 1
		.amdhsa_next_free_sgpr 1
		.amdhsa_named_barrier_count 0
		.amdhsa_reserve_vcc 0
		.amdhsa_float_round_mode_32 0
		.amdhsa_float_round_mode_16_64 0
		.amdhsa_float_denorm_mode_32 3
		.amdhsa_float_denorm_mode_16_64 3
		.amdhsa_fp16_overflow 0
		.amdhsa_memory_ordered 1
		.amdhsa_forward_progress 1
		.amdhsa_inst_pref_size 0
		.amdhsa_round_robin_scheduling 0
		.amdhsa_exception_fp_ieee_invalid_op 0
		.amdhsa_exception_fp_denorm_src 0
		.amdhsa_exception_fp_ieee_div_zero 0
		.amdhsa_exception_fp_ieee_overflow 0
		.amdhsa_exception_fp_ieee_underflow 0
		.amdhsa_exception_fp_ieee_inexact 0
		.amdhsa_exception_int_div_zero 0
	.end_amdhsa_kernel
	.section	.text._ZN7rocprim17ROCPRIM_400000_NS6detail17trampoline_kernelINS0_14default_configENS1_21merge_config_selectorINS0_5tupleIJjjEEENS0_10empty_typeEEEZNS1_10merge_implIS3_NS0_12zip_iteratorINS5_IJN6thrust23THRUST_200600_302600_NS6detail15normal_iteratorINSC_10device_ptrIKjEEEESI_EEEEESK_NSA_INS5_IJNSC_16discard_iteratorINSC_11use_defaultEEESN_EEEEEPS7_SQ_SQ_NSC_11hip_rocprim7__merge17predicate_wrapperIjjNSC_4lessIjEEEEEE10hipError_tPvRmT0_T1_T2_T3_T4_T5_mmT6_P12ihipStream_tbEUlT_E0_NS1_11comp_targetILNS1_3genE10ELNS1_11target_archE1201ELNS1_3gpuE5ELNS1_3repE0EEENS1_30default_config_static_selectorELNS0_4arch9wavefront6targetE0EEEvS11_,"axG",@progbits,_ZN7rocprim17ROCPRIM_400000_NS6detail17trampoline_kernelINS0_14default_configENS1_21merge_config_selectorINS0_5tupleIJjjEEENS0_10empty_typeEEEZNS1_10merge_implIS3_NS0_12zip_iteratorINS5_IJN6thrust23THRUST_200600_302600_NS6detail15normal_iteratorINSC_10device_ptrIKjEEEESI_EEEEESK_NSA_INS5_IJNSC_16discard_iteratorINSC_11use_defaultEEESN_EEEEEPS7_SQ_SQ_NSC_11hip_rocprim7__merge17predicate_wrapperIjjNSC_4lessIjEEEEEE10hipError_tPvRmT0_T1_T2_T3_T4_T5_mmT6_P12ihipStream_tbEUlT_E0_NS1_11comp_targetILNS1_3genE10ELNS1_11target_archE1201ELNS1_3gpuE5ELNS1_3repE0EEENS1_30default_config_static_selectorELNS0_4arch9wavefront6targetE0EEEvS11_,comdat
.Lfunc_end547:
	.size	_ZN7rocprim17ROCPRIM_400000_NS6detail17trampoline_kernelINS0_14default_configENS1_21merge_config_selectorINS0_5tupleIJjjEEENS0_10empty_typeEEEZNS1_10merge_implIS3_NS0_12zip_iteratorINS5_IJN6thrust23THRUST_200600_302600_NS6detail15normal_iteratorINSC_10device_ptrIKjEEEESI_EEEEESK_NSA_INS5_IJNSC_16discard_iteratorINSC_11use_defaultEEESN_EEEEEPS7_SQ_SQ_NSC_11hip_rocprim7__merge17predicate_wrapperIjjNSC_4lessIjEEEEEE10hipError_tPvRmT0_T1_T2_T3_T4_T5_mmT6_P12ihipStream_tbEUlT_E0_NS1_11comp_targetILNS1_3genE10ELNS1_11target_archE1201ELNS1_3gpuE5ELNS1_3repE0EEENS1_30default_config_static_selectorELNS0_4arch9wavefront6targetE0EEEvS11_, .Lfunc_end547-_ZN7rocprim17ROCPRIM_400000_NS6detail17trampoline_kernelINS0_14default_configENS1_21merge_config_selectorINS0_5tupleIJjjEEENS0_10empty_typeEEEZNS1_10merge_implIS3_NS0_12zip_iteratorINS5_IJN6thrust23THRUST_200600_302600_NS6detail15normal_iteratorINSC_10device_ptrIKjEEEESI_EEEEESK_NSA_INS5_IJNSC_16discard_iteratorINSC_11use_defaultEEESN_EEEEEPS7_SQ_SQ_NSC_11hip_rocprim7__merge17predicate_wrapperIjjNSC_4lessIjEEEEEE10hipError_tPvRmT0_T1_T2_T3_T4_T5_mmT6_P12ihipStream_tbEUlT_E0_NS1_11comp_targetILNS1_3genE10ELNS1_11target_archE1201ELNS1_3gpuE5ELNS1_3repE0EEENS1_30default_config_static_selectorELNS0_4arch9wavefront6targetE0EEEvS11_
                                        ; -- End function
	.set _ZN7rocprim17ROCPRIM_400000_NS6detail17trampoline_kernelINS0_14default_configENS1_21merge_config_selectorINS0_5tupleIJjjEEENS0_10empty_typeEEEZNS1_10merge_implIS3_NS0_12zip_iteratorINS5_IJN6thrust23THRUST_200600_302600_NS6detail15normal_iteratorINSC_10device_ptrIKjEEEESI_EEEEESK_NSA_INS5_IJNSC_16discard_iteratorINSC_11use_defaultEEESN_EEEEEPS7_SQ_SQ_NSC_11hip_rocprim7__merge17predicate_wrapperIjjNSC_4lessIjEEEEEE10hipError_tPvRmT0_T1_T2_T3_T4_T5_mmT6_P12ihipStream_tbEUlT_E0_NS1_11comp_targetILNS1_3genE10ELNS1_11target_archE1201ELNS1_3gpuE5ELNS1_3repE0EEENS1_30default_config_static_selectorELNS0_4arch9wavefront6targetE0EEEvS11_.num_vgpr, 0
	.set _ZN7rocprim17ROCPRIM_400000_NS6detail17trampoline_kernelINS0_14default_configENS1_21merge_config_selectorINS0_5tupleIJjjEEENS0_10empty_typeEEEZNS1_10merge_implIS3_NS0_12zip_iteratorINS5_IJN6thrust23THRUST_200600_302600_NS6detail15normal_iteratorINSC_10device_ptrIKjEEEESI_EEEEESK_NSA_INS5_IJNSC_16discard_iteratorINSC_11use_defaultEEESN_EEEEEPS7_SQ_SQ_NSC_11hip_rocprim7__merge17predicate_wrapperIjjNSC_4lessIjEEEEEE10hipError_tPvRmT0_T1_T2_T3_T4_T5_mmT6_P12ihipStream_tbEUlT_E0_NS1_11comp_targetILNS1_3genE10ELNS1_11target_archE1201ELNS1_3gpuE5ELNS1_3repE0EEENS1_30default_config_static_selectorELNS0_4arch9wavefront6targetE0EEEvS11_.num_agpr, 0
	.set _ZN7rocprim17ROCPRIM_400000_NS6detail17trampoline_kernelINS0_14default_configENS1_21merge_config_selectorINS0_5tupleIJjjEEENS0_10empty_typeEEEZNS1_10merge_implIS3_NS0_12zip_iteratorINS5_IJN6thrust23THRUST_200600_302600_NS6detail15normal_iteratorINSC_10device_ptrIKjEEEESI_EEEEESK_NSA_INS5_IJNSC_16discard_iteratorINSC_11use_defaultEEESN_EEEEEPS7_SQ_SQ_NSC_11hip_rocprim7__merge17predicate_wrapperIjjNSC_4lessIjEEEEEE10hipError_tPvRmT0_T1_T2_T3_T4_T5_mmT6_P12ihipStream_tbEUlT_E0_NS1_11comp_targetILNS1_3genE10ELNS1_11target_archE1201ELNS1_3gpuE5ELNS1_3repE0EEENS1_30default_config_static_selectorELNS0_4arch9wavefront6targetE0EEEvS11_.numbered_sgpr, 0
	.set _ZN7rocprim17ROCPRIM_400000_NS6detail17trampoline_kernelINS0_14default_configENS1_21merge_config_selectorINS0_5tupleIJjjEEENS0_10empty_typeEEEZNS1_10merge_implIS3_NS0_12zip_iteratorINS5_IJN6thrust23THRUST_200600_302600_NS6detail15normal_iteratorINSC_10device_ptrIKjEEEESI_EEEEESK_NSA_INS5_IJNSC_16discard_iteratorINSC_11use_defaultEEESN_EEEEEPS7_SQ_SQ_NSC_11hip_rocprim7__merge17predicate_wrapperIjjNSC_4lessIjEEEEEE10hipError_tPvRmT0_T1_T2_T3_T4_T5_mmT6_P12ihipStream_tbEUlT_E0_NS1_11comp_targetILNS1_3genE10ELNS1_11target_archE1201ELNS1_3gpuE5ELNS1_3repE0EEENS1_30default_config_static_selectorELNS0_4arch9wavefront6targetE0EEEvS11_.num_named_barrier, 0
	.set _ZN7rocprim17ROCPRIM_400000_NS6detail17trampoline_kernelINS0_14default_configENS1_21merge_config_selectorINS0_5tupleIJjjEEENS0_10empty_typeEEEZNS1_10merge_implIS3_NS0_12zip_iteratorINS5_IJN6thrust23THRUST_200600_302600_NS6detail15normal_iteratorINSC_10device_ptrIKjEEEESI_EEEEESK_NSA_INS5_IJNSC_16discard_iteratorINSC_11use_defaultEEESN_EEEEEPS7_SQ_SQ_NSC_11hip_rocprim7__merge17predicate_wrapperIjjNSC_4lessIjEEEEEE10hipError_tPvRmT0_T1_T2_T3_T4_T5_mmT6_P12ihipStream_tbEUlT_E0_NS1_11comp_targetILNS1_3genE10ELNS1_11target_archE1201ELNS1_3gpuE5ELNS1_3repE0EEENS1_30default_config_static_selectorELNS0_4arch9wavefront6targetE0EEEvS11_.private_seg_size, 0
	.set _ZN7rocprim17ROCPRIM_400000_NS6detail17trampoline_kernelINS0_14default_configENS1_21merge_config_selectorINS0_5tupleIJjjEEENS0_10empty_typeEEEZNS1_10merge_implIS3_NS0_12zip_iteratorINS5_IJN6thrust23THRUST_200600_302600_NS6detail15normal_iteratorINSC_10device_ptrIKjEEEESI_EEEEESK_NSA_INS5_IJNSC_16discard_iteratorINSC_11use_defaultEEESN_EEEEEPS7_SQ_SQ_NSC_11hip_rocprim7__merge17predicate_wrapperIjjNSC_4lessIjEEEEEE10hipError_tPvRmT0_T1_T2_T3_T4_T5_mmT6_P12ihipStream_tbEUlT_E0_NS1_11comp_targetILNS1_3genE10ELNS1_11target_archE1201ELNS1_3gpuE5ELNS1_3repE0EEENS1_30default_config_static_selectorELNS0_4arch9wavefront6targetE0EEEvS11_.uses_vcc, 0
	.set _ZN7rocprim17ROCPRIM_400000_NS6detail17trampoline_kernelINS0_14default_configENS1_21merge_config_selectorINS0_5tupleIJjjEEENS0_10empty_typeEEEZNS1_10merge_implIS3_NS0_12zip_iteratorINS5_IJN6thrust23THRUST_200600_302600_NS6detail15normal_iteratorINSC_10device_ptrIKjEEEESI_EEEEESK_NSA_INS5_IJNSC_16discard_iteratorINSC_11use_defaultEEESN_EEEEEPS7_SQ_SQ_NSC_11hip_rocprim7__merge17predicate_wrapperIjjNSC_4lessIjEEEEEE10hipError_tPvRmT0_T1_T2_T3_T4_T5_mmT6_P12ihipStream_tbEUlT_E0_NS1_11comp_targetILNS1_3genE10ELNS1_11target_archE1201ELNS1_3gpuE5ELNS1_3repE0EEENS1_30default_config_static_selectorELNS0_4arch9wavefront6targetE0EEEvS11_.uses_flat_scratch, 0
	.set _ZN7rocprim17ROCPRIM_400000_NS6detail17trampoline_kernelINS0_14default_configENS1_21merge_config_selectorINS0_5tupleIJjjEEENS0_10empty_typeEEEZNS1_10merge_implIS3_NS0_12zip_iteratorINS5_IJN6thrust23THRUST_200600_302600_NS6detail15normal_iteratorINSC_10device_ptrIKjEEEESI_EEEEESK_NSA_INS5_IJNSC_16discard_iteratorINSC_11use_defaultEEESN_EEEEEPS7_SQ_SQ_NSC_11hip_rocprim7__merge17predicate_wrapperIjjNSC_4lessIjEEEEEE10hipError_tPvRmT0_T1_T2_T3_T4_T5_mmT6_P12ihipStream_tbEUlT_E0_NS1_11comp_targetILNS1_3genE10ELNS1_11target_archE1201ELNS1_3gpuE5ELNS1_3repE0EEENS1_30default_config_static_selectorELNS0_4arch9wavefront6targetE0EEEvS11_.has_dyn_sized_stack, 0
	.set _ZN7rocprim17ROCPRIM_400000_NS6detail17trampoline_kernelINS0_14default_configENS1_21merge_config_selectorINS0_5tupleIJjjEEENS0_10empty_typeEEEZNS1_10merge_implIS3_NS0_12zip_iteratorINS5_IJN6thrust23THRUST_200600_302600_NS6detail15normal_iteratorINSC_10device_ptrIKjEEEESI_EEEEESK_NSA_INS5_IJNSC_16discard_iteratorINSC_11use_defaultEEESN_EEEEEPS7_SQ_SQ_NSC_11hip_rocprim7__merge17predicate_wrapperIjjNSC_4lessIjEEEEEE10hipError_tPvRmT0_T1_T2_T3_T4_T5_mmT6_P12ihipStream_tbEUlT_E0_NS1_11comp_targetILNS1_3genE10ELNS1_11target_archE1201ELNS1_3gpuE5ELNS1_3repE0EEENS1_30default_config_static_selectorELNS0_4arch9wavefront6targetE0EEEvS11_.has_recursion, 0
	.set _ZN7rocprim17ROCPRIM_400000_NS6detail17trampoline_kernelINS0_14default_configENS1_21merge_config_selectorINS0_5tupleIJjjEEENS0_10empty_typeEEEZNS1_10merge_implIS3_NS0_12zip_iteratorINS5_IJN6thrust23THRUST_200600_302600_NS6detail15normal_iteratorINSC_10device_ptrIKjEEEESI_EEEEESK_NSA_INS5_IJNSC_16discard_iteratorINSC_11use_defaultEEESN_EEEEEPS7_SQ_SQ_NSC_11hip_rocprim7__merge17predicate_wrapperIjjNSC_4lessIjEEEEEE10hipError_tPvRmT0_T1_T2_T3_T4_T5_mmT6_P12ihipStream_tbEUlT_E0_NS1_11comp_targetILNS1_3genE10ELNS1_11target_archE1201ELNS1_3gpuE5ELNS1_3repE0EEENS1_30default_config_static_selectorELNS0_4arch9wavefront6targetE0EEEvS11_.has_indirect_call, 0
	.section	.AMDGPU.csdata,"",@progbits
; Kernel info:
; codeLenInByte = 0
; TotalNumSgprs: 0
; NumVgprs: 0
; ScratchSize: 0
; MemoryBound: 0
; FloatMode: 240
; IeeeMode: 1
; LDSByteSize: 0 bytes/workgroup (compile time only)
; SGPRBlocks: 0
; VGPRBlocks: 0
; NumSGPRsForWavesPerEU: 1
; NumVGPRsForWavesPerEU: 1
; NamedBarCnt: 0
; Occupancy: 16
; WaveLimiterHint : 0
; COMPUTE_PGM_RSRC2:SCRATCH_EN: 0
; COMPUTE_PGM_RSRC2:USER_SGPR: 2
; COMPUTE_PGM_RSRC2:TRAP_HANDLER: 0
; COMPUTE_PGM_RSRC2:TGID_X_EN: 1
; COMPUTE_PGM_RSRC2:TGID_Y_EN: 0
; COMPUTE_PGM_RSRC2:TGID_Z_EN: 0
; COMPUTE_PGM_RSRC2:TIDIG_COMP_CNT: 0
	.section	.text._ZN7rocprim17ROCPRIM_400000_NS6detail17trampoline_kernelINS0_14default_configENS1_21merge_config_selectorINS0_5tupleIJjjEEENS0_10empty_typeEEEZNS1_10merge_implIS3_NS0_12zip_iteratorINS5_IJN6thrust23THRUST_200600_302600_NS6detail15normal_iteratorINSC_10device_ptrIKjEEEESI_EEEEESK_NSA_INS5_IJNSC_16discard_iteratorINSC_11use_defaultEEESN_EEEEEPS7_SQ_SQ_NSC_11hip_rocprim7__merge17predicate_wrapperIjjNSC_4lessIjEEEEEE10hipError_tPvRmT0_T1_T2_T3_T4_T5_mmT6_P12ihipStream_tbEUlT_E0_NS1_11comp_targetILNS1_3genE10ELNS1_11target_archE1200ELNS1_3gpuE4ELNS1_3repE0EEENS1_30default_config_static_selectorELNS0_4arch9wavefront6targetE0EEEvS11_,"axG",@progbits,_ZN7rocprim17ROCPRIM_400000_NS6detail17trampoline_kernelINS0_14default_configENS1_21merge_config_selectorINS0_5tupleIJjjEEENS0_10empty_typeEEEZNS1_10merge_implIS3_NS0_12zip_iteratorINS5_IJN6thrust23THRUST_200600_302600_NS6detail15normal_iteratorINSC_10device_ptrIKjEEEESI_EEEEESK_NSA_INS5_IJNSC_16discard_iteratorINSC_11use_defaultEEESN_EEEEEPS7_SQ_SQ_NSC_11hip_rocprim7__merge17predicate_wrapperIjjNSC_4lessIjEEEEEE10hipError_tPvRmT0_T1_T2_T3_T4_T5_mmT6_P12ihipStream_tbEUlT_E0_NS1_11comp_targetILNS1_3genE10ELNS1_11target_archE1200ELNS1_3gpuE4ELNS1_3repE0EEENS1_30default_config_static_selectorELNS0_4arch9wavefront6targetE0EEEvS11_,comdat
	.protected	_ZN7rocprim17ROCPRIM_400000_NS6detail17trampoline_kernelINS0_14default_configENS1_21merge_config_selectorINS0_5tupleIJjjEEENS0_10empty_typeEEEZNS1_10merge_implIS3_NS0_12zip_iteratorINS5_IJN6thrust23THRUST_200600_302600_NS6detail15normal_iteratorINSC_10device_ptrIKjEEEESI_EEEEESK_NSA_INS5_IJNSC_16discard_iteratorINSC_11use_defaultEEESN_EEEEEPS7_SQ_SQ_NSC_11hip_rocprim7__merge17predicate_wrapperIjjNSC_4lessIjEEEEEE10hipError_tPvRmT0_T1_T2_T3_T4_T5_mmT6_P12ihipStream_tbEUlT_E0_NS1_11comp_targetILNS1_3genE10ELNS1_11target_archE1200ELNS1_3gpuE4ELNS1_3repE0EEENS1_30default_config_static_selectorELNS0_4arch9wavefront6targetE0EEEvS11_ ; -- Begin function _ZN7rocprim17ROCPRIM_400000_NS6detail17trampoline_kernelINS0_14default_configENS1_21merge_config_selectorINS0_5tupleIJjjEEENS0_10empty_typeEEEZNS1_10merge_implIS3_NS0_12zip_iteratorINS5_IJN6thrust23THRUST_200600_302600_NS6detail15normal_iteratorINSC_10device_ptrIKjEEEESI_EEEEESK_NSA_INS5_IJNSC_16discard_iteratorINSC_11use_defaultEEESN_EEEEEPS7_SQ_SQ_NSC_11hip_rocprim7__merge17predicate_wrapperIjjNSC_4lessIjEEEEEE10hipError_tPvRmT0_T1_T2_T3_T4_T5_mmT6_P12ihipStream_tbEUlT_E0_NS1_11comp_targetILNS1_3genE10ELNS1_11target_archE1200ELNS1_3gpuE4ELNS1_3repE0EEENS1_30default_config_static_selectorELNS0_4arch9wavefront6targetE0EEEvS11_
	.globl	_ZN7rocprim17ROCPRIM_400000_NS6detail17trampoline_kernelINS0_14default_configENS1_21merge_config_selectorINS0_5tupleIJjjEEENS0_10empty_typeEEEZNS1_10merge_implIS3_NS0_12zip_iteratorINS5_IJN6thrust23THRUST_200600_302600_NS6detail15normal_iteratorINSC_10device_ptrIKjEEEESI_EEEEESK_NSA_INS5_IJNSC_16discard_iteratorINSC_11use_defaultEEESN_EEEEEPS7_SQ_SQ_NSC_11hip_rocprim7__merge17predicate_wrapperIjjNSC_4lessIjEEEEEE10hipError_tPvRmT0_T1_T2_T3_T4_T5_mmT6_P12ihipStream_tbEUlT_E0_NS1_11comp_targetILNS1_3genE10ELNS1_11target_archE1200ELNS1_3gpuE4ELNS1_3repE0EEENS1_30default_config_static_selectorELNS0_4arch9wavefront6targetE0EEEvS11_
	.p2align	8
	.type	_ZN7rocprim17ROCPRIM_400000_NS6detail17trampoline_kernelINS0_14default_configENS1_21merge_config_selectorINS0_5tupleIJjjEEENS0_10empty_typeEEEZNS1_10merge_implIS3_NS0_12zip_iteratorINS5_IJN6thrust23THRUST_200600_302600_NS6detail15normal_iteratorINSC_10device_ptrIKjEEEESI_EEEEESK_NSA_INS5_IJNSC_16discard_iteratorINSC_11use_defaultEEESN_EEEEEPS7_SQ_SQ_NSC_11hip_rocprim7__merge17predicate_wrapperIjjNSC_4lessIjEEEEEE10hipError_tPvRmT0_T1_T2_T3_T4_T5_mmT6_P12ihipStream_tbEUlT_E0_NS1_11comp_targetILNS1_3genE10ELNS1_11target_archE1200ELNS1_3gpuE4ELNS1_3repE0EEENS1_30default_config_static_selectorELNS0_4arch9wavefront6targetE0EEEvS11_,@function
_ZN7rocprim17ROCPRIM_400000_NS6detail17trampoline_kernelINS0_14default_configENS1_21merge_config_selectorINS0_5tupleIJjjEEENS0_10empty_typeEEEZNS1_10merge_implIS3_NS0_12zip_iteratorINS5_IJN6thrust23THRUST_200600_302600_NS6detail15normal_iteratorINSC_10device_ptrIKjEEEESI_EEEEESK_NSA_INS5_IJNSC_16discard_iteratorINSC_11use_defaultEEESN_EEEEEPS7_SQ_SQ_NSC_11hip_rocprim7__merge17predicate_wrapperIjjNSC_4lessIjEEEEEE10hipError_tPvRmT0_T1_T2_T3_T4_T5_mmT6_P12ihipStream_tbEUlT_E0_NS1_11comp_targetILNS1_3genE10ELNS1_11target_archE1200ELNS1_3gpuE4ELNS1_3repE0EEENS1_30default_config_static_selectorELNS0_4arch9wavefront6targetE0EEEvS11_: ; @_ZN7rocprim17ROCPRIM_400000_NS6detail17trampoline_kernelINS0_14default_configENS1_21merge_config_selectorINS0_5tupleIJjjEEENS0_10empty_typeEEEZNS1_10merge_implIS3_NS0_12zip_iteratorINS5_IJN6thrust23THRUST_200600_302600_NS6detail15normal_iteratorINSC_10device_ptrIKjEEEESI_EEEEESK_NSA_INS5_IJNSC_16discard_iteratorINSC_11use_defaultEEESN_EEEEEPS7_SQ_SQ_NSC_11hip_rocprim7__merge17predicate_wrapperIjjNSC_4lessIjEEEEEE10hipError_tPvRmT0_T1_T2_T3_T4_T5_mmT6_P12ihipStream_tbEUlT_E0_NS1_11comp_targetILNS1_3genE10ELNS1_11target_archE1200ELNS1_3gpuE4ELNS1_3repE0EEENS1_30default_config_static_selectorELNS0_4arch9wavefront6targetE0EEEvS11_
; %bb.0:
	.section	.rodata,"a",@progbits
	.p2align	6, 0x0
	.amdhsa_kernel _ZN7rocprim17ROCPRIM_400000_NS6detail17trampoline_kernelINS0_14default_configENS1_21merge_config_selectorINS0_5tupleIJjjEEENS0_10empty_typeEEEZNS1_10merge_implIS3_NS0_12zip_iteratorINS5_IJN6thrust23THRUST_200600_302600_NS6detail15normal_iteratorINSC_10device_ptrIKjEEEESI_EEEEESK_NSA_INS5_IJNSC_16discard_iteratorINSC_11use_defaultEEESN_EEEEEPS7_SQ_SQ_NSC_11hip_rocprim7__merge17predicate_wrapperIjjNSC_4lessIjEEEEEE10hipError_tPvRmT0_T1_T2_T3_T4_T5_mmT6_P12ihipStream_tbEUlT_E0_NS1_11comp_targetILNS1_3genE10ELNS1_11target_archE1200ELNS1_3gpuE4ELNS1_3repE0EEENS1_30default_config_static_selectorELNS0_4arch9wavefront6targetE0EEEvS11_
		.amdhsa_group_segment_fixed_size 0
		.amdhsa_private_segment_fixed_size 0
		.amdhsa_kernarg_size 128
		.amdhsa_user_sgpr_count 2
		.amdhsa_user_sgpr_dispatch_ptr 0
		.amdhsa_user_sgpr_queue_ptr 0
		.amdhsa_user_sgpr_kernarg_segment_ptr 1
		.amdhsa_user_sgpr_dispatch_id 0
		.amdhsa_user_sgpr_kernarg_preload_length 0
		.amdhsa_user_sgpr_kernarg_preload_offset 0
		.amdhsa_user_sgpr_private_segment_size 0
		.amdhsa_wavefront_size32 1
		.amdhsa_uses_dynamic_stack 0
		.amdhsa_enable_private_segment 0
		.amdhsa_system_sgpr_workgroup_id_x 1
		.amdhsa_system_sgpr_workgroup_id_y 0
		.amdhsa_system_sgpr_workgroup_id_z 0
		.amdhsa_system_sgpr_workgroup_info 0
		.amdhsa_system_vgpr_workitem_id 0
		.amdhsa_next_free_vgpr 1
		.amdhsa_next_free_sgpr 1
		.amdhsa_named_barrier_count 0
		.amdhsa_reserve_vcc 0
		.amdhsa_float_round_mode_32 0
		.amdhsa_float_round_mode_16_64 0
		.amdhsa_float_denorm_mode_32 3
		.amdhsa_float_denorm_mode_16_64 3
		.amdhsa_fp16_overflow 0
		.amdhsa_memory_ordered 1
		.amdhsa_forward_progress 1
		.amdhsa_inst_pref_size 0
		.amdhsa_round_robin_scheduling 0
		.amdhsa_exception_fp_ieee_invalid_op 0
		.amdhsa_exception_fp_denorm_src 0
		.amdhsa_exception_fp_ieee_div_zero 0
		.amdhsa_exception_fp_ieee_overflow 0
		.amdhsa_exception_fp_ieee_underflow 0
		.amdhsa_exception_fp_ieee_inexact 0
		.amdhsa_exception_int_div_zero 0
	.end_amdhsa_kernel
	.section	.text._ZN7rocprim17ROCPRIM_400000_NS6detail17trampoline_kernelINS0_14default_configENS1_21merge_config_selectorINS0_5tupleIJjjEEENS0_10empty_typeEEEZNS1_10merge_implIS3_NS0_12zip_iteratorINS5_IJN6thrust23THRUST_200600_302600_NS6detail15normal_iteratorINSC_10device_ptrIKjEEEESI_EEEEESK_NSA_INS5_IJNSC_16discard_iteratorINSC_11use_defaultEEESN_EEEEEPS7_SQ_SQ_NSC_11hip_rocprim7__merge17predicate_wrapperIjjNSC_4lessIjEEEEEE10hipError_tPvRmT0_T1_T2_T3_T4_T5_mmT6_P12ihipStream_tbEUlT_E0_NS1_11comp_targetILNS1_3genE10ELNS1_11target_archE1200ELNS1_3gpuE4ELNS1_3repE0EEENS1_30default_config_static_selectorELNS0_4arch9wavefront6targetE0EEEvS11_,"axG",@progbits,_ZN7rocprim17ROCPRIM_400000_NS6detail17trampoline_kernelINS0_14default_configENS1_21merge_config_selectorINS0_5tupleIJjjEEENS0_10empty_typeEEEZNS1_10merge_implIS3_NS0_12zip_iteratorINS5_IJN6thrust23THRUST_200600_302600_NS6detail15normal_iteratorINSC_10device_ptrIKjEEEESI_EEEEESK_NSA_INS5_IJNSC_16discard_iteratorINSC_11use_defaultEEESN_EEEEEPS7_SQ_SQ_NSC_11hip_rocprim7__merge17predicate_wrapperIjjNSC_4lessIjEEEEEE10hipError_tPvRmT0_T1_T2_T3_T4_T5_mmT6_P12ihipStream_tbEUlT_E0_NS1_11comp_targetILNS1_3genE10ELNS1_11target_archE1200ELNS1_3gpuE4ELNS1_3repE0EEENS1_30default_config_static_selectorELNS0_4arch9wavefront6targetE0EEEvS11_,comdat
.Lfunc_end548:
	.size	_ZN7rocprim17ROCPRIM_400000_NS6detail17trampoline_kernelINS0_14default_configENS1_21merge_config_selectorINS0_5tupleIJjjEEENS0_10empty_typeEEEZNS1_10merge_implIS3_NS0_12zip_iteratorINS5_IJN6thrust23THRUST_200600_302600_NS6detail15normal_iteratorINSC_10device_ptrIKjEEEESI_EEEEESK_NSA_INS5_IJNSC_16discard_iteratorINSC_11use_defaultEEESN_EEEEEPS7_SQ_SQ_NSC_11hip_rocprim7__merge17predicate_wrapperIjjNSC_4lessIjEEEEEE10hipError_tPvRmT0_T1_T2_T3_T4_T5_mmT6_P12ihipStream_tbEUlT_E0_NS1_11comp_targetILNS1_3genE10ELNS1_11target_archE1200ELNS1_3gpuE4ELNS1_3repE0EEENS1_30default_config_static_selectorELNS0_4arch9wavefront6targetE0EEEvS11_, .Lfunc_end548-_ZN7rocprim17ROCPRIM_400000_NS6detail17trampoline_kernelINS0_14default_configENS1_21merge_config_selectorINS0_5tupleIJjjEEENS0_10empty_typeEEEZNS1_10merge_implIS3_NS0_12zip_iteratorINS5_IJN6thrust23THRUST_200600_302600_NS6detail15normal_iteratorINSC_10device_ptrIKjEEEESI_EEEEESK_NSA_INS5_IJNSC_16discard_iteratorINSC_11use_defaultEEESN_EEEEEPS7_SQ_SQ_NSC_11hip_rocprim7__merge17predicate_wrapperIjjNSC_4lessIjEEEEEE10hipError_tPvRmT0_T1_T2_T3_T4_T5_mmT6_P12ihipStream_tbEUlT_E0_NS1_11comp_targetILNS1_3genE10ELNS1_11target_archE1200ELNS1_3gpuE4ELNS1_3repE0EEENS1_30default_config_static_selectorELNS0_4arch9wavefront6targetE0EEEvS11_
                                        ; -- End function
	.set _ZN7rocprim17ROCPRIM_400000_NS6detail17trampoline_kernelINS0_14default_configENS1_21merge_config_selectorINS0_5tupleIJjjEEENS0_10empty_typeEEEZNS1_10merge_implIS3_NS0_12zip_iteratorINS5_IJN6thrust23THRUST_200600_302600_NS6detail15normal_iteratorINSC_10device_ptrIKjEEEESI_EEEEESK_NSA_INS5_IJNSC_16discard_iteratorINSC_11use_defaultEEESN_EEEEEPS7_SQ_SQ_NSC_11hip_rocprim7__merge17predicate_wrapperIjjNSC_4lessIjEEEEEE10hipError_tPvRmT0_T1_T2_T3_T4_T5_mmT6_P12ihipStream_tbEUlT_E0_NS1_11comp_targetILNS1_3genE10ELNS1_11target_archE1200ELNS1_3gpuE4ELNS1_3repE0EEENS1_30default_config_static_selectorELNS0_4arch9wavefront6targetE0EEEvS11_.num_vgpr, 0
	.set _ZN7rocprim17ROCPRIM_400000_NS6detail17trampoline_kernelINS0_14default_configENS1_21merge_config_selectorINS0_5tupleIJjjEEENS0_10empty_typeEEEZNS1_10merge_implIS3_NS0_12zip_iteratorINS5_IJN6thrust23THRUST_200600_302600_NS6detail15normal_iteratorINSC_10device_ptrIKjEEEESI_EEEEESK_NSA_INS5_IJNSC_16discard_iteratorINSC_11use_defaultEEESN_EEEEEPS7_SQ_SQ_NSC_11hip_rocprim7__merge17predicate_wrapperIjjNSC_4lessIjEEEEEE10hipError_tPvRmT0_T1_T2_T3_T4_T5_mmT6_P12ihipStream_tbEUlT_E0_NS1_11comp_targetILNS1_3genE10ELNS1_11target_archE1200ELNS1_3gpuE4ELNS1_3repE0EEENS1_30default_config_static_selectorELNS0_4arch9wavefront6targetE0EEEvS11_.num_agpr, 0
	.set _ZN7rocprim17ROCPRIM_400000_NS6detail17trampoline_kernelINS0_14default_configENS1_21merge_config_selectorINS0_5tupleIJjjEEENS0_10empty_typeEEEZNS1_10merge_implIS3_NS0_12zip_iteratorINS5_IJN6thrust23THRUST_200600_302600_NS6detail15normal_iteratorINSC_10device_ptrIKjEEEESI_EEEEESK_NSA_INS5_IJNSC_16discard_iteratorINSC_11use_defaultEEESN_EEEEEPS7_SQ_SQ_NSC_11hip_rocprim7__merge17predicate_wrapperIjjNSC_4lessIjEEEEEE10hipError_tPvRmT0_T1_T2_T3_T4_T5_mmT6_P12ihipStream_tbEUlT_E0_NS1_11comp_targetILNS1_3genE10ELNS1_11target_archE1200ELNS1_3gpuE4ELNS1_3repE0EEENS1_30default_config_static_selectorELNS0_4arch9wavefront6targetE0EEEvS11_.numbered_sgpr, 0
	.set _ZN7rocprim17ROCPRIM_400000_NS6detail17trampoline_kernelINS0_14default_configENS1_21merge_config_selectorINS0_5tupleIJjjEEENS0_10empty_typeEEEZNS1_10merge_implIS3_NS0_12zip_iteratorINS5_IJN6thrust23THRUST_200600_302600_NS6detail15normal_iteratorINSC_10device_ptrIKjEEEESI_EEEEESK_NSA_INS5_IJNSC_16discard_iteratorINSC_11use_defaultEEESN_EEEEEPS7_SQ_SQ_NSC_11hip_rocprim7__merge17predicate_wrapperIjjNSC_4lessIjEEEEEE10hipError_tPvRmT0_T1_T2_T3_T4_T5_mmT6_P12ihipStream_tbEUlT_E0_NS1_11comp_targetILNS1_3genE10ELNS1_11target_archE1200ELNS1_3gpuE4ELNS1_3repE0EEENS1_30default_config_static_selectorELNS0_4arch9wavefront6targetE0EEEvS11_.num_named_barrier, 0
	.set _ZN7rocprim17ROCPRIM_400000_NS6detail17trampoline_kernelINS0_14default_configENS1_21merge_config_selectorINS0_5tupleIJjjEEENS0_10empty_typeEEEZNS1_10merge_implIS3_NS0_12zip_iteratorINS5_IJN6thrust23THRUST_200600_302600_NS6detail15normal_iteratorINSC_10device_ptrIKjEEEESI_EEEEESK_NSA_INS5_IJNSC_16discard_iteratorINSC_11use_defaultEEESN_EEEEEPS7_SQ_SQ_NSC_11hip_rocprim7__merge17predicate_wrapperIjjNSC_4lessIjEEEEEE10hipError_tPvRmT0_T1_T2_T3_T4_T5_mmT6_P12ihipStream_tbEUlT_E0_NS1_11comp_targetILNS1_3genE10ELNS1_11target_archE1200ELNS1_3gpuE4ELNS1_3repE0EEENS1_30default_config_static_selectorELNS0_4arch9wavefront6targetE0EEEvS11_.private_seg_size, 0
	.set _ZN7rocprim17ROCPRIM_400000_NS6detail17trampoline_kernelINS0_14default_configENS1_21merge_config_selectorINS0_5tupleIJjjEEENS0_10empty_typeEEEZNS1_10merge_implIS3_NS0_12zip_iteratorINS5_IJN6thrust23THRUST_200600_302600_NS6detail15normal_iteratorINSC_10device_ptrIKjEEEESI_EEEEESK_NSA_INS5_IJNSC_16discard_iteratorINSC_11use_defaultEEESN_EEEEEPS7_SQ_SQ_NSC_11hip_rocprim7__merge17predicate_wrapperIjjNSC_4lessIjEEEEEE10hipError_tPvRmT0_T1_T2_T3_T4_T5_mmT6_P12ihipStream_tbEUlT_E0_NS1_11comp_targetILNS1_3genE10ELNS1_11target_archE1200ELNS1_3gpuE4ELNS1_3repE0EEENS1_30default_config_static_selectorELNS0_4arch9wavefront6targetE0EEEvS11_.uses_vcc, 0
	.set _ZN7rocprim17ROCPRIM_400000_NS6detail17trampoline_kernelINS0_14default_configENS1_21merge_config_selectorINS0_5tupleIJjjEEENS0_10empty_typeEEEZNS1_10merge_implIS3_NS0_12zip_iteratorINS5_IJN6thrust23THRUST_200600_302600_NS6detail15normal_iteratorINSC_10device_ptrIKjEEEESI_EEEEESK_NSA_INS5_IJNSC_16discard_iteratorINSC_11use_defaultEEESN_EEEEEPS7_SQ_SQ_NSC_11hip_rocprim7__merge17predicate_wrapperIjjNSC_4lessIjEEEEEE10hipError_tPvRmT0_T1_T2_T3_T4_T5_mmT6_P12ihipStream_tbEUlT_E0_NS1_11comp_targetILNS1_3genE10ELNS1_11target_archE1200ELNS1_3gpuE4ELNS1_3repE0EEENS1_30default_config_static_selectorELNS0_4arch9wavefront6targetE0EEEvS11_.uses_flat_scratch, 0
	.set _ZN7rocprim17ROCPRIM_400000_NS6detail17trampoline_kernelINS0_14default_configENS1_21merge_config_selectorINS0_5tupleIJjjEEENS0_10empty_typeEEEZNS1_10merge_implIS3_NS0_12zip_iteratorINS5_IJN6thrust23THRUST_200600_302600_NS6detail15normal_iteratorINSC_10device_ptrIKjEEEESI_EEEEESK_NSA_INS5_IJNSC_16discard_iteratorINSC_11use_defaultEEESN_EEEEEPS7_SQ_SQ_NSC_11hip_rocprim7__merge17predicate_wrapperIjjNSC_4lessIjEEEEEE10hipError_tPvRmT0_T1_T2_T3_T4_T5_mmT6_P12ihipStream_tbEUlT_E0_NS1_11comp_targetILNS1_3genE10ELNS1_11target_archE1200ELNS1_3gpuE4ELNS1_3repE0EEENS1_30default_config_static_selectorELNS0_4arch9wavefront6targetE0EEEvS11_.has_dyn_sized_stack, 0
	.set _ZN7rocprim17ROCPRIM_400000_NS6detail17trampoline_kernelINS0_14default_configENS1_21merge_config_selectorINS0_5tupleIJjjEEENS0_10empty_typeEEEZNS1_10merge_implIS3_NS0_12zip_iteratorINS5_IJN6thrust23THRUST_200600_302600_NS6detail15normal_iteratorINSC_10device_ptrIKjEEEESI_EEEEESK_NSA_INS5_IJNSC_16discard_iteratorINSC_11use_defaultEEESN_EEEEEPS7_SQ_SQ_NSC_11hip_rocprim7__merge17predicate_wrapperIjjNSC_4lessIjEEEEEE10hipError_tPvRmT0_T1_T2_T3_T4_T5_mmT6_P12ihipStream_tbEUlT_E0_NS1_11comp_targetILNS1_3genE10ELNS1_11target_archE1200ELNS1_3gpuE4ELNS1_3repE0EEENS1_30default_config_static_selectorELNS0_4arch9wavefront6targetE0EEEvS11_.has_recursion, 0
	.set _ZN7rocprim17ROCPRIM_400000_NS6detail17trampoline_kernelINS0_14default_configENS1_21merge_config_selectorINS0_5tupleIJjjEEENS0_10empty_typeEEEZNS1_10merge_implIS3_NS0_12zip_iteratorINS5_IJN6thrust23THRUST_200600_302600_NS6detail15normal_iteratorINSC_10device_ptrIKjEEEESI_EEEEESK_NSA_INS5_IJNSC_16discard_iteratorINSC_11use_defaultEEESN_EEEEEPS7_SQ_SQ_NSC_11hip_rocprim7__merge17predicate_wrapperIjjNSC_4lessIjEEEEEE10hipError_tPvRmT0_T1_T2_T3_T4_T5_mmT6_P12ihipStream_tbEUlT_E0_NS1_11comp_targetILNS1_3genE10ELNS1_11target_archE1200ELNS1_3gpuE4ELNS1_3repE0EEENS1_30default_config_static_selectorELNS0_4arch9wavefront6targetE0EEEvS11_.has_indirect_call, 0
	.section	.AMDGPU.csdata,"",@progbits
; Kernel info:
; codeLenInByte = 0
; TotalNumSgprs: 0
; NumVgprs: 0
; ScratchSize: 0
; MemoryBound: 0
; FloatMode: 240
; IeeeMode: 1
; LDSByteSize: 0 bytes/workgroup (compile time only)
; SGPRBlocks: 0
; VGPRBlocks: 0
; NumSGPRsForWavesPerEU: 1
; NumVGPRsForWavesPerEU: 1
; NamedBarCnt: 0
; Occupancy: 16
; WaveLimiterHint : 0
; COMPUTE_PGM_RSRC2:SCRATCH_EN: 0
; COMPUTE_PGM_RSRC2:USER_SGPR: 2
; COMPUTE_PGM_RSRC2:TRAP_HANDLER: 0
; COMPUTE_PGM_RSRC2:TGID_X_EN: 1
; COMPUTE_PGM_RSRC2:TGID_Y_EN: 0
; COMPUTE_PGM_RSRC2:TGID_Z_EN: 0
; COMPUTE_PGM_RSRC2:TIDIG_COMP_CNT: 0
	.section	.text._ZN7rocprim17ROCPRIM_400000_NS6detail17trampoline_kernelINS0_14default_configENS1_21merge_config_selectorINS0_5tupleIJjjEEENS0_10empty_typeEEEZNS1_10merge_implIS3_NS0_12zip_iteratorINS5_IJN6thrust23THRUST_200600_302600_NS6detail15normal_iteratorINSC_10device_ptrIKjEEEESI_EEEEESK_NSA_INS5_IJNSC_16discard_iteratorINSC_11use_defaultEEESN_EEEEEPS7_SQ_SQ_NSC_11hip_rocprim7__merge17predicate_wrapperIjjNSC_4lessIjEEEEEE10hipError_tPvRmT0_T1_T2_T3_T4_T5_mmT6_P12ihipStream_tbEUlT_E0_NS1_11comp_targetILNS1_3genE9ELNS1_11target_archE1100ELNS1_3gpuE3ELNS1_3repE0EEENS1_30default_config_static_selectorELNS0_4arch9wavefront6targetE0EEEvS11_,"axG",@progbits,_ZN7rocprim17ROCPRIM_400000_NS6detail17trampoline_kernelINS0_14default_configENS1_21merge_config_selectorINS0_5tupleIJjjEEENS0_10empty_typeEEEZNS1_10merge_implIS3_NS0_12zip_iteratorINS5_IJN6thrust23THRUST_200600_302600_NS6detail15normal_iteratorINSC_10device_ptrIKjEEEESI_EEEEESK_NSA_INS5_IJNSC_16discard_iteratorINSC_11use_defaultEEESN_EEEEEPS7_SQ_SQ_NSC_11hip_rocprim7__merge17predicate_wrapperIjjNSC_4lessIjEEEEEE10hipError_tPvRmT0_T1_T2_T3_T4_T5_mmT6_P12ihipStream_tbEUlT_E0_NS1_11comp_targetILNS1_3genE9ELNS1_11target_archE1100ELNS1_3gpuE3ELNS1_3repE0EEENS1_30default_config_static_selectorELNS0_4arch9wavefront6targetE0EEEvS11_,comdat
	.protected	_ZN7rocprim17ROCPRIM_400000_NS6detail17trampoline_kernelINS0_14default_configENS1_21merge_config_selectorINS0_5tupleIJjjEEENS0_10empty_typeEEEZNS1_10merge_implIS3_NS0_12zip_iteratorINS5_IJN6thrust23THRUST_200600_302600_NS6detail15normal_iteratorINSC_10device_ptrIKjEEEESI_EEEEESK_NSA_INS5_IJNSC_16discard_iteratorINSC_11use_defaultEEESN_EEEEEPS7_SQ_SQ_NSC_11hip_rocprim7__merge17predicate_wrapperIjjNSC_4lessIjEEEEEE10hipError_tPvRmT0_T1_T2_T3_T4_T5_mmT6_P12ihipStream_tbEUlT_E0_NS1_11comp_targetILNS1_3genE9ELNS1_11target_archE1100ELNS1_3gpuE3ELNS1_3repE0EEENS1_30default_config_static_selectorELNS0_4arch9wavefront6targetE0EEEvS11_ ; -- Begin function _ZN7rocprim17ROCPRIM_400000_NS6detail17trampoline_kernelINS0_14default_configENS1_21merge_config_selectorINS0_5tupleIJjjEEENS0_10empty_typeEEEZNS1_10merge_implIS3_NS0_12zip_iteratorINS5_IJN6thrust23THRUST_200600_302600_NS6detail15normal_iteratorINSC_10device_ptrIKjEEEESI_EEEEESK_NSA_INS5_IJNSC_16discard_iteratorINSC_11use_defaultEEESN_EEEEEPS7_SQ_SQ_NSC_11hip_rocprim7__merge17predicate_wrapperIjjNSC_4lessIjEEEEEE10hipError_tPvRmT0_T1_T2_T3_T4_T5_mmT6_P12ihipStream_tbEUlT_E0_NS1_11comp_targetILNS1_3genE9ELNS1_11target_archE1100ELNS1_3gpuE3ELNS1_3repE0EEENS1_30default_config_static_selectorELNS0_4arch9wavefront6targetE0EEEvS11_
	.globl	_ZN7rocprim17ROCPRIM_400000_NS6detail17trampoline_kernelINS0_14default_configENS1_21merge_config_selectorINS0_5tupleIJjjEEENS0_10empty_typeEEEZNS1_10merge_implIS3_NS0_12zip_iteratorINS5_IJN6thrust23THRUST_200600_302600_NS6detail15normal_iteratorINSC_10device_ptrIKjEEEESI_EEEEESK_NSA_INS5_IJNSC_16discard_iteratorINSC_11use_defaultEEESN_EEEEEPS7_SQ_SQ_NSC_11hip_rocprim7__merge17predicate_wrapperIjjNSC_4lessIjEEEEEE10hipError_tPvRmT0_T1_T2_T3_T4_T5_mmT6_P12ihipStream_tbEUlT_E0_NS1_11comp_targetILNS1_3genE9ELNS1_11target_archE1100ELNS1_3gpuE3ELNS1_3repE0EEENS1_30default_config_static_selectorELNS0_4arch9wavefront6targetE0EEEvS11_
	.p2align	8
	.type	_ZN7rocprim17ROCPRIM_400000_NS6detail17trampoline_kernelINS0_14default_configENS1_21merge_config_selectorINS0_5tupleIJjjEEENS0_10empty_typeEEEZNS1_10merge_implIS3_NS0_12zip_iteratorINS5_IJN6thrust23THRUST_200600_302600_NS6detail15normal_iteratorINSC_10device_ptrIKjEEEESI_EEEEESK_NSA_INS5_IJNSC_16discard_iteratorINSC_11use_defaultEEESN_EEEEEPS7_SQ_SQ_NSC_11hip_rocprim7__merge17predicate_wrapperIjjNSC_4lessIjEEEEEE10hipError_tPvRmT0_T1_T2_T3_T4_T5_mmT6_P12ihipStream_tbEUlT_E0_NS1_11comp_targetILNS1_3genE9ELNS1_11target_archE1100ELNS1_3gpuE3ELNS1_3repE0EEENS1_30default_config_static_selectorELNS0_4arch9wavefront6targetE0EEEvS11_,@function
_ZN7rocprim17ROCPRIM_400000_NS6detail17trampoline_kernelINS0_14default_configENS1_21merge_config_selectorINS0_5tupleIJjjEEENS0_10empty_typeEEEZNS1_10merge_implIS3_NS0_12zip_iteratorINS5_IJN6thrust23THRUST_200600_302600_NS6detail15normal_iteratorINSC_10device_ptrIKjEEEESI_EEEEESK_NSA_INS5_IJNSC_16discard_iteratorINSC_11use_defaultEEESN_EEEEEPS7_SQ_SQ_NSC_11hip_rocprim7__merge17predicate_wrapperIjjNSC_4lessIjEEEEEE10hipError_tPvRmT0_T1_T2_T3_T4_T5_mmT6_P12ihipStream_tbEUlT_E0_NS1_11comp_targetILNS1_3genE9ELNS1_11target_archE1100ELNS1_3gpuE3ELNS1_3repE0EEENS1_30default_config_static_selectorELNS0_4arch9wavefront6targetE0EEEvS11_: ; @_ZN7rocprim17ROCPRIM_400000_NS6detail17trampoline_kernelINS0_14default_configENS1_21merge_config_selectorINS0_5tupleIJjjEEENS0_10empty_typeEEEZNS1_10merge_implIS3_NS0_12zip_iteratorINS5_IJN6thrust23THRUST_200600_302600_NS6detail15normal_iteratorINSC_10device_ptrIKjEEEESI_EEEEESK_NSA_INS5_IJNSC_16discard_iteratorINSC_11use_defaultEEESN_EEEEEPS7_SQ_SQ_NSC_11hip_rocprim7__merge17predicate_wrapperIjjNSC_4lessIjEEEEEE10hipError_tPvRmT0_T1_T2_T3_T4_T5_mmT6_P12ihipStream_tbEUlT_E0_NS1_11comp_targetILNS1_3genE9ELNS1_11target_archE1100ELNS1_3gpuE3ELNS1_3repE0EEENS1_30default_config_static_selectorELNS0_4arch9wavefront6targetE0EEEvS11_
; %bb.0:
	.section	.rodata,"a",@progbits
	.p2align	6, 0x0
	.amdhsa_kernel _ZN7rocprim17ROCPRIM_400000_NS6detail17trampoline_kernelINS0_14default_configENS1_21merge_config_selectorINS0_5tupleIJjjEEENS0_10empty_typeEEEZNS1_10merge_implIS3_NS0_12zip_iteratorINS5_IJN6thrust23THRUST_200600_302600_NS6detail15normal_iteratorINSC_10device_ptrIKjEEEESI_EEEEESK_NSA_INS5_IJNSC_16discard_iteratorINSC_11use_defaultEEESN_EEEEEPS7_SQ_SQ_NSC_11hip_rocprim7__merge17predicate_wrapperIjjNSC_4lessIjEEEEEE10hipError_tPvRmT0_T1_T2_T3_T4_T5_mmT6_P12ihipStream_tbEUlT_E0_NS1_11comp_targetILNS1_3genE9ELNS1_11target_archE1100ELNS1_3gpuE3ELNS1_3repE0EEENS1_30default_config_static_selectorELNS0_4arch9wavefront6targetE0EEEvS11_
		.amdhsa_group_segment_fixed_size 0
		.amdhsa_private_segment_fixed_size 0
		.amdhsa_kernarg_size 128
		.amdhsa_user_sgpr_count 2
		.amdhsa_user_sgpr_dispatch_ptr 0
		.amdhsa_user_sgpr_queue_ptr 0
		.amdhsa_user_sgpr_kernarg_segment_ptr 1
		.amdhsa_user_sgpr_dispatch_id 0
		.amdhsa_user_sgpr_kernarg_preload_length 0
		.amdhsa_user_sgpr_kernarg_preload_offset 0
		.amdhsa_user_sgpr_private_segment_size 0
		.amdhsa_wavefront_size32 1
		.amdhsa_uses_dynamic_stack 0
		.amdhsa_enable_private_segment 0
		.amdhsa_system_sgpr_workgroup_id_x 1
		.amdhsa_system_sgpr_workgroup_id_y 0
		.amdhsa_system_sgpr_workgroup_id_z 0
		.amdhsa_system_sgpr_workgroup_info 0
		.amdhsa_system_vgpr_workitem_id 0
		.amdhsa_next_free_vgpr 1
		.amdhsa_next_free_sgpr 1
		.amdhsa_named_barrier_count 0
		.amdhsa_reserve_vcc 0
		.amdhsa_float_round_mode_32 0
		.amdhsa_float_round_mode_16_64 0
		.amdhsa_float_denorm_mode_32 3
		.amdhsa_float_denorm_mode_16_64 3
		.amdhsa_fp16_overflow 0
		.amdhsa_memory_ordered 1
		.amdhsa_forward_progress 1
		.amdhsa_inst_pref_size 0
		.amdhsa_round_robin_scheduling 0
		.amdhsa_exception_fp_ieee_invalid_op 0
		.amdhsa_exception_fp_denorm_src 0
		.amdhsa_exception_fp_ieee_div_zero 0
		.amdhsa_exception_fp_ieee_overflow 0
		.amdhsa_exception_fp_ieee_underflow 0
		.amdhsa_exception_fp_ieee_inexact 0
		.amdhsa_exception_int_div_zero 0
	.end_amdhsa_kernel
	.section	.text._ZN7rocprim17ROCPRIM_400000_NS6detail17trampoline_kernelINS0_14default_configENS1_21merge_config_selectorINS0_5tupleIJjjEEENS0_10empty_typeEEEZNS1_10merge_implIS3_NS0_12zip_iteratorINS5_IJN6thrust23THRUST_200600_302600_NS6detail15normal_iteratorINSC_10device_ptrIKjEEEESI_EEEEESK_NSA_INS5_IJNSC_16discard_iteratorINSC_11use_defaultEEESN_EEEEEPS7_SQ_SQ_NSC_11hip_rocprim7__merge17predicate_wrapperIjjNSC_4lessIjEEEEEE10hipError_tPvRmT0_T1_T2_T3_T4_T5_mmT6_P12ihipStream_tbEUlT_E0_NS1_11comp_targetILNS1_3genE9ELNS1_11target_archE1100ELNS1_3gpuE3ELNS1_3repE0EEENS1_30default_config_static_selectorELNS0_4arch9wavefront6targetE0EEEvS11_,"axG",@progbits,_ZN7rocprim17ROCPRIM_400000_NS6detail17trampoline_kernelINS0_14default_configENS1_21merge_config_selectorINS0_5tupleIJjjEEENS0_10empty_typeEEEZNS1_10merge_implIS3_NS0_12zip_iteratorINS5_IJN6thrust23THRUST_200600_302600_NS6detail15normal_iteratorINSC_10device_ptrIKjEEEESI_EEEEESK_NSA_INS5_IJNSC_16discard_iteratorINSC_11use_defaultEEESN_EEEEEPS7_SQ_SQ_NSC_11hip_rocprim7__merge17predicate_wrapperIjjNSC_4lessIjEEEEEE10hipError_tPvRmT0_T1_T2_T3_T4_T5_mmT6_P12ihipStream_tbEUlT_E0_NS1_11comp_targetILNS1_3genE9ELNS1_11target_archE1100ELNS1_3gpuE3ELNS1_3repE0EEENS1_30default_config_static_selectorELNS0_4arch9wavefront6targetE0EEEvS11_,comdat
.Lfunc_end549:
	.size	_ZN7rocprim17ROCPRIM_400000_NS6detail17trampoline_kernelINS0_14default_configENS1_21merge_config_selectorINS0_5tupleIJjjEEENS0_10empty_typeEEEZNS1_10merge_implIS3_NS0_12zip_iteratorINS5_IJN6thrust23THRUST_200600_302600_NS6detail15normal_iteratorINSC_10device_ptrIKjEEEESI_EEEEESK_NSA_INS5_IJNSC_16discard_iteratorINSC_11use_defaultEEESN_EEEEEPS7_SQ_SQ_NSC_11hip_rocprim7__merge17predicate_wrapperIjjNSC_4lessIjEEEEEE10hipError_tPvRmT0_T1_T2_T3_T4_T5_mmT6_P12ihipStream_tbEUlT_E0_NS1_11comp_targetILNS1_3genE9ELNS1_11target_archE1100ELNS1_3gpuE3ELNS1_3repE0EEENS1_30default_config_static_selectorELNS0_4arch9wavefront6targetE0EEEvS11_, .Lfunc_end549-_ZN7rocprim17ROCPRIM_400000_NS6detail17trampoline_kernelINS0_14default_configENS1_21merge_config_selectorINS0_5tupleIJjjEEENS0_10empty_typeEEEZNS1_10merge_implIS3_NS0_12zip_iteratorINS5_IJN6thrust23THRUST_200600_302600_NS6detail15normal_iteratorINSC_10device_ptrIKjEEEESI_EEEEESK_NSA_INS5_IJNSC_16discard_iteratorINSC_11use_defaultEEESN_EEEEEPS7_SQ_SQ_NSC_11hip_rocprim7__merge17predicate_wrapperIjjNSC_4lessIjEEEEEE10hipError_tPvRmT0_T1_T2_T3_T4_T5_mmT6_P12ihipStream_tbEUlT_E0_NS1_11comp_targetILNS1_3genE9ELNS1_11target_archE1100ELNS1_3gpuE3ELNS1_3repE0EEENS1_30default_config_static_selectorELNS0_4arch9wavefront6targetE0EEEvS11_
                                        ; -- End function
	.set _ZN7rocprim17ROCPRIM_400000_NS6detail17trampoline_kernelINS0_14default_configENS1_21merge_config_selectorINS0_5tupleIJjjEEENS0_10empty_typeEEEZNS1_10merge_implIS3_NS0_12zip_iteratorINS5_IJN6thrust23THRUST_200600_302600_NS6detail15normal_iteratorINSC_10device_ptrIKjEEEESI_EEEEESK_NSA_INS5_IJNSC_16discard_iteratorINSC_11use_defaultEEESN_EEEEEPS7_SQ_SQ_NSC_11hip_rocprim7__merge17predicate_wrapperIjjNSC_4lessIjEEEEEE10hipError_tPvRmT0_T1_T2_T3_T4_T5_mmT6_P12ihipStream_tbEUlT_E0_NS1_11comp_targetILNS1_3genE9ELNS1_11target_archE1100ELNS1_3gpuE3ELNS1_3repE0EEENS1_30default_config_static_selectorELNS0_4arch9wavefront6targetE0EEEvS11_.num_vgpr, 0
	.set _ZN7rocprim17ROCPRIM_400000_NS6detail17trampoline_kernelINS0_14default_configENS1_21merge_config_selectorINS0_5tupleIJjjEEENS0_10empty_typeEEEZNS1_10merge_implIS3_NS0_12zip_iteratorINS5_IJN6thrust23THRUST_200600_302600_NS6detail15normal_iteratorINSC_10device_ptrIKjEEEESI_EEEEESK_NSA_INS5_IJNSC_16discard_iteratorINSC_11use_defaultEEESN_EEEEEPS7_SQ_SQ_NSC_11hip_rocprim7__merge17predicate_wrapperIjjNSC_4lessIjEEEEEE10hipError_tPvRmT0_T1_T2_T3_T4_T5_mmT6_P12ihipStream_tbEUlT_E0_NS1_11comp_targetILNS1_3genE9ELNS1_11target_archE1100ELNS1_3gpuE3ELNS1_3repE0EEENS1_30default_config_static_selectorELNS0_4arch9wavefront6targetE0EEEvS11_.num_agpr, 0
	.set _ZN7rocprim17ROCPRIM_400000_NS6detail17trampoline_kernelINS0_14default_configENS1_21merge_config_selectorINS0_5tupleIJjjEEENS0_10empty_typeEEEZNS1_10merge_implIS3_NS0_12zip_iteratorINS5_IJN6thrust23THRUST_200600_302600_NS6detail15normal_iteratorINSC_10device_ptrIKjEEEESI_EEEEESK_NSA_INS5_IJNSC_16discard_iteratorINSC_11use_defaultEEESN_EEEEEPS7_SQ_SQ_NSC_11hip_rocprim7__merge17predicate_wrapperIjjNSC_4lessIjEEEEEE10hipError_tPvRmT0_T1_T2_T3_T4_T5_mmT6_P12ihipStream_tbEUlT_E0_NS1_11comp_targetILNS1_3genE9ELNS1_11target_archE1100ELNS1_3gpuE3ELNS1_3repE0EEENS1_30default_config_static_selectorELNS0_4arch9wavefront6targetE0EEEvS11_.numbered_sgpr, 0
	.set _ZN7rocprim17ROCPRIM_400000_NS6detail17trampoline_kernelINS0_14default_configENS1_21merge_config_selectorINS0_5tupleIJjjEEENS0_10empty_typeEEEZNS1_10merge_implIS3_NS0_12zip_iteratorINS5_IJN6thrust23THRUST_200600_302600_NS6detail15normal_iteratorINSC_10device_ptrIKjEEEESI_EEEEESK_NSA_INS5_IJNSC_16discard_iteratorINSC_11use_defaultEEESN_EEEEEPS7_SQ_SQ_NSC_11hip_rocprim7__merge17predicate_wrapperIjjNSC_4lessIjEEEEEE10hipError_tPvRmT0_T1_T2_T3_T4_T5_mmT6_P12ihipStream_tbEUlT_E0_NS1_11comp_targetILNS1_3genE9ELNS1_11target_archE1100ELNS1_3gpuE3ELNS1_3repE0EEENS1_30default_config_static_selectorELNS0_4arch9wavefront6targetE0EEEvS11_.num_named_barrier, 0
	.set _ZN7rocprim17ROCPRIM_400000_NS6detail17trampoline_kernelINS0_14default_configENS1_21merge_config_selectorINS0_5tupleIJjjEEENS0_10empty_typeEEEZNS1_10merge_implIS3_NS0_12zip_iteratorINS5_IJN6thrust23THRUST_200600_302600_NS6detail15normal_iteratorINSC_10device_ptrIKjEEEESI_EEEEESK_NSA_INS5_IJNSC_16discard_iteratorINSC_11use_defaultEEESN_EEEEEPS7_SQ_SQ_NSC_11hip_rocprim7__merge17predicate_wrapperIjjNSC_4lessIjEEEEEE10hipError_tPvRmT0_T1_T2_T3_T4_T5_mmT6_P12ihipStream_tbEUlT_E0_NS1_11comp_targetILNS1_3genE9ELNS1_11target_archE1100ELNS1_3gpuE3ELNS1_3repE0EEENS1_30default_config_static_selectorELNS0_4arch9wavefront6targetE0EEEvS11_.private_seg_size, 0
	.set _ZN7rocprim17ROCPRIM_400000_NS6detail17trampoline_kernelINS0_14default_configENS1_21merge_config_selectorINS0_5tupleIJjjEEENS0_10empty_typeEEEZNS1_10merge_implIS3_NS0_12zip_iteratorINS5_IJN6thrust23THRUST_200600_302600_NS6detail15normal_iteratorINSC_10device_ptrIKjEEEESI_EEEEESK_NSA_INS5_IJNSC_16discard_iteratorINSC_11use_defaultEEESN_EEEEEPS7_SQ_SQ_NSC_11hip_rocprim7__merge17predicate_wrapperIjjNSC_4lessIjEEEEEE10hipError_tPvRmT0_T1_T2_T3_T4_T5_mmT6_P12ihipStream_tbEUlT_E0_NS1_11comp_targetILNS1_3genE9ELNS1_11target_archE1100ELNS1_3gpuE3ELNS1_3repE0EEENS1_30default_config_static_selectorELNS0_4arch9wavefront6targetE0EEEvS11_.uses_vcc, 0
	.set _ZN7rocprim17ROCPRIM_400000_NS6detail17trampoline_kernelINS0_14default_configENS1_21merge_config_selectorINS0_5tupleIJjjEEENS0_10empty_typeEEEZNS1_10merge_implIS3_NS0_12zip_iteratorINS5_IJN6thrust23THRUST_200600_302600_NS6detail15normal_iteratorINSC_10device_ptrIKjEEEESI_EEEEESK_NSA_INS5_IJNSC_16discard_iteratorINSC_11use_defaultEEESN_EEEEEPS7_SQ_SQ_NSC_11hip_rocprim7__merge17predicate_wrapperIjjNSC_4lessIjEEEEEE10hipError_tPvRmT0_T1_T2_T3_T4_T5_mmT6_P12ihipStream_tbEUlT_E0_NS1_11comp_targetILNS1_3genE9ELNS1_11target_archE1100ELNS1_3gpuE3ELNS1_3repE0EEENS1_30default_config_static_selectorELNS0_4arch9wavefront6targetE0EEEvS11_.uses_flat_scratch, 0
	.set _ZN7rocprim17ROCPRIM_400000_NS6detail17trampoline_kernelINS0_14default_configENS1_21merge_config_selectorINS0_5tupleIJjjEEENS0_10empty_typeEEEZNS1_10merge_implIS3_NS0_12zip_iteratorINS5_IJN6thrust23THRUST_200600_302600_NS6detail15normal_iteratorINSC_10device_ptrIKjEEEESI_EEEEESK_NSA_INS5_IJNSC_16discard_iteratorINSC_11use_defaultEEESN_EEEEEPS7_SQ_SQ_NSC_11hip_rocprim7__merge17predicate_wrapperIjjNSC_4lessIjEEEEEE10hipError_tPvRmT0_T1_T2_T3_T4_T5_mmT6_P12ihipStream_tbEUlT_E0_NS1_11comp_targetILNS1_3genE9ELNS1_11target_archE1100ELNS1_3gpuE3ELNS1_3repE0EEENS1_30default_config_static_selectorELNS0_4arch9wavefront6targetE0EEEvS11_.has_dyn_sized_stack, 0
	.set _ZN7rocprim17ROCPRIM_400000_NS6detail17trampoline_kernelINS0_14default_configENS1_21merge_config_selectorINS0_5tupleIJjjEEENS0_10empty_typeEEEZNS1_10merge_implIS3_NS0_12zip_iteratorINS5_IJN6thrust23THRUST_200600_302600_NS6detail15normal_iteratorINSC_10device_ptrIKjEEEESI_EEEEESK_NSA_INS5_IJNSC_16discard_iteratorINSC_11use_defaultEEESN_EEEEEPS7_SQ_SQ_NSC_11hip_rocprim7__merge17predicate_wrapperIjjNSC_4lessIjEEEEEE10hipError_tPvRmT0_T1_T2_T3_T4_T5_mmT6_P12ihipStream_tbEUlT_E0_NS1_11comp_targetILNS1_3genE9ELNS1_11target_archE1100ELNS1_3gpuE3ELNS1_3repE0EEENS1_30default_config_static_selectorELNS0_4arch9wavefront6targetE0EEEvS11_.has_recursion, 0
	.set _ZN7rocprim17ROCPRIM_400000_NS6detail17trampoline_kernelINS0_14default_configENS1_21merge_config_selectorINS0_5tupleIJjjEEENS0_10empty_typeEEEZNS1_10merge_implIS3_NS0_12zip_iteratorINS5_IJN6thrust23THRUST_200600_302600_NS6detail15normal_iteratorINSC_10device_ptrIKjEEEESI_EEEEESK_NSA_INS5_IJNSC_16discard_iteratorINSC_11use_defaultEEESN_EEEEEPS7_SQ_SQ_NSC_11hip_rocprim7__merge17predicate_wrapperIjjNSC_4lessIjEEEEEE10hipError_tPvRmT0_T1_T2_T3_T4_T5_mmT6_P12ihipStream_tbEUlT_E0_NS1_11comp_targetILNS1_3genE9ELNS1_11target_archE1100ELNS1_3gpuE3ELNS1_3repE0EEENS1_30default_config_static_selectorELNS0_4arch9wavefront6targetE0EEEvS11_.has_indirect_call, 0
	.section	.AMDGPU.csdata,"",@progbits
; Kernel info:
; codeLenInByte = 0
; TotalNumSgprs: 0
; NumVgprs: 0
; ScratchSize: 0
; MemoryBound: 0
; FloatMode: 240
; IeeeMode: 1
; LDSByteSize: 0 bytes/workgroup (compile time only)
; SGPRBlocks: 0
; VGPRBlocks: 0
; NumSGPRsForWavesPerEU: 1
; NumVGPRsForWavesPerEU: 1
; NamedBarCnt: 0
; Occupancy: 16
; WaveLimiterHint : 0
; COMPUTE_PGM_RSRC2:SCRATCH_EN: 0
; COMPUTE_PGM_RSRC2:USER_SGPR: 2
; COMPUTE_PGM_RSRC2:TRAP_HANDLER: 0
; COMPUTE_PGM_RSRC2:TGID_X_EN: 1
; COMPUTE_PGM_RSRC2:TGID_Y_EN: 0
; COMPUTE_PGM_RSRC2:TGID_Z_EN: 0
; COMPUTE_PGM_RSRC2:TIDIG_COMP_CNT: 0
	.section	.text._ZN7rocprim17ROCPRIM_400000_NS6detail17trampoline_kernelINS0_14default_configENS1_21merge_config_selectorINS0_5tupleIJjjEEENS0_10empty_typeEEEZNS1_10merge_implIS3_NS0_12zip_iteratorINS5_IJN6thrust23THRUST_200600_302600_NS6detail15normal_iteratorINSC_10device_ptrIKjEEEESI_EEEEESK_NSA_INS5_IJNSC_16discard_iteratorINSC_11use_defaultEEESN_EEEEEPS7_SQ_SQ_NSC_11hip_rocprim7__merge17predicate_wrapperIjjNSC_4lessIjEEEEEE10hipError_tPvRmT0_T1_T2_T3_T4_T5_mmT6_P12ihipStream_tbEUlT_E0_NS1_11comp_targetILNS1_3genE8ELNS1_11target_archE1030ELNS1_3gpuE2ELNS1_3repE0EEENS1_30default_config_static_selectorELNS0_4arch9wavefront6targetE0EEEvS11_,"axG",@progbits,_ZN7rocprim17ROCPRIM_400000_NS6detail17trampoline_kernelINS0_14default_configENS1_21merge_config_selectorINS0_5tupleIJjjEEENS0_10empty_typeEEEZNS1_10merge_implIS3_NS0_12zip_iteratorINS5_IJN6thrust23THRUST_200600_302600_NS6detail15normal_iteratorINSC_10device_ptrIKjEEEESI_EEEEESK_NSA_INS5_IJNSC_16discard_iteratorINSC_11use_defaultEEESN_EEEEEPS7_SQ_SQ_NSC_11hip_rocprim7__merge17predicate_wrapperIjjNSC_4lessIjEEEEEE10hipError_tPvRmT0_T1_T2_T3_T4_T5_mmT6_P12ihipStream_tbEUlT_E0_NS1_11comp_targetILNS1_3genE8ELNS1_11target_archE1030ELNS1_3gpuE2ELNS1_3repE0EEENS1_30default_config_static_selectorELNS0_4arch9wavefront6targetE0EEEvS11_,comdat
	.protected	_ZN7rocprim17ROCPRIM_400000_NS6detail17trampoline_kernelINS0_14default_configENS1_21merge_config_selectorINS0_5tupleIJjjEEENS0_10empty_typeEEEZNS1_10merge_implIS3_NS0_12zip_iteratorINS5_IJN6thrust23THRUST_200600_302600_NS6detail15normal_iteratorINSC_10device_ptrIKjEEEESI_EEEEESK_NSA_INS5_IJNSC_16discard_iteratorINSC_11use_defaultEEESN_EEEEEPS7_SQ_SQ_NSC_11hip_rocprim7__merge17predicate_wrapperIjjNSC_4lessIjEEEEEE10hipError_tPvRmT0_T1_T2_T3_T4_T5_mmT6_P12ihipStream_tbEUlT_E0_NS1_11comp_targetILNS1_3genE8ELNS1_11target_archE1030ELNS1_3gpuE2ELNS1_3repE0EEENS1_30default_config_static_selectorELNS0_4arch9wavefront6targetE0EEEvS11_ ; -- Begin function _ZN7rocprim17ROCPRIM_400000_NS6detail17trampoline_kernelINS0_14default_configENS1_21merge_config_selectorINS0_5tupleIJjjEEENS0_10empty_typeEEEZNS1_10merge_implIS3_NS0_12zip_iteratorINS5_IJN6thrust23THRUST_200600_302600_NS6detail15normal_iteratorINSC_10device_ptrIKjEEEESI_EEEEESK_NSA_INS5_IJNSC_16discard_iteratorINSC_11use_defaultEEESN_EEEEEPS7_SQ_SQ_NSC_11hip_rocprim7__merge17predicate_wrapperIjjNSC_4lessIjEEEEEE10hipError_tPvRmT0_T1_T2_T3_T4_T5_mmT6_P12ihipStream_tbEUlT_E0_NS1_11comp_targetILNS1_3genE8ELNS1_11target_archE1030ELNS1_3gpuE2ELNS1_3repE0EEENS1_30default_config_static_selectorELNS0_4arch9wavefront6targetE0EEEvS11_
	.globl	_ZN7rocprim17ROCPRIM_400000_NS6detail17trampoline_kernelINS0_14default_configENS1_21merge_config_selectorINS0_5tupleIJjjEEENS0_10empty_typeEEEZNS1_10merge_implIS3_NS0_12zip_iteratorINS5_IJN6thrust23THRUST_200600_302600_NS6detail15normal_iteratorINSC_10device_ptrIKjEEEESI_EEEEESK_NSA_INS5_IJNSC_16discard_iteratorINSC_11use_defaultEEESN_EEEEEPS7_SQ_SQ_NSC_11hip_rocprim7__merge17predicate_wrapperIjjNSC_4lessIjEEEEEE10hipError_tPvRmT0_T1_T2_T3_T4_T5_mmT6_P12ihipStream_tbEUlT_E0_NS1_11comp_targetILNS1_3genE8ELNS1_11target_archE1030ELNS1_3gpuE2ELNS1_3repE0EEENS1_30default_config_static_selectorELNS0_4arch9wavefront6targetE0EEEvS11_
	.p2align	8
	.type	_ZN7rocprim17ROCPRIM_400000_NS6detail17trampoline_kernelINS0_14default_configENS1_21merge_config_selectorINS0_5tupleIJjjEEENS0_10empty_typeEEEZNS1_10merge_implIS3_NS0_12zip_iteratorINS5_IJN6thrust23THRUST_200600_302600_NS6detail15normal_iteratorINSC_10device_ptrIKjEEEESI_EEEEESK_NSA_INS5_IJNSC_16discard_iteratorINSC_11use_defaultEEESN_EEEEEPS7_SQ_SQ_NSC_11hip_rocprim7__merge17predicate_wrapperIjjNSC_4lessIjEEEEEE10hipError_tPvRmT0_T1_T2_T3_T4_T5_mmT6_P12ihipStream_tbEUlT_E0_NS1_11comp_targetILNS1_3genE8ELNS1_11target_archE1030ELNS1_3gpuE2ELNS1_3repE0EEENS1_30default_config_static_selectorELNS0_4arch9wavefront6targetE0EEEvS11_,@function
_ZN7rocprim17ROCPRIM_400000_NS6detail17trampoline_kernelINS0_14default_configENS1_21merge_config_selectorINS0_5tupleIJjjEEENS0_10empty_typeEEEZNS1_10merge_implIS3_NS0_12zip_iteratorINS5_IJN6thrust23THRUST_200600_302600_NS6detail15normal_iteratorINSC_10device_ptrIKjEEEESI_EEEEESK_NSA_INS5_IJNSC_16discard_iteratorINSC_11use_defaultEEESN_EEEEEPS7_SQ_SQ_NSC_11hip_rocprim7__merge17predicate_wrapperIjjNSC_4lessIjEEEEEE10hipError_tPvRmT0_T1_T2_T3_T4_T5_mmT6_P12ihipStream_tbEUlT_E0_NS1_11comp_targetILNS1_3genE8ELNS1_11target_archE1030ELNS1_3gpuE2ELNS1_3repE0EEENS1_30default_config_static_selectorELNS0_4arch9wavefront6targetE0EEEvS11_: ; @_ZN7rocprim17ROCPRIM_400000_NS6detail17trampoline_kernelINS0_14default_configENS1_21merge_config_selectorINS0_5tupleIJjjEEENS0_10empty_typeEEEZNS1_10merge_implIS3_NS0_12zip_iteratorINS5_IJN6thrust23THRUST_200600_302600_NS6detail15normal_iteratorINSC_10device_ptrIKjEEEESI_EEEEESK_NSA_INS5_IJNSC_16discard_iteratorINSC_11use_defaultEEESN_EEEEEPS7_SQ_SQ_NSC_11hip_rocprim7__merge17predicate_wrapperIjjNSC_4lessIjEEEEEE10hipError_tPvRmT0_T1_T2_T3_T4_T5_mmT6_P12ihipStream_tbEUlT_E0_NS1_11comp_targetILNS1_3genE8ELNS1_11target_archE1030ELNS1_3gpuE2ELNS1_3repE0EEENS1_30default_config_static_selectorELNS0_4arch9wavefront6targetE0EEEvS11_
; %bb.0:
	.section	.rodata,"a",@progbits
	.p2align	6, 0x0
	.amdhsa_kernel _ZN7rocprim17ROCPRIM_400000_NS6detail17trampoline_kernelINS0_14default_configENS1_21merge_config_selectorINS0_5tupleIJjjEEENS0_10empty_typeEEEZNS1_10merge_implIS3_NS0_12zip_iteratorINS5_IJN6thrust23THRUST_200600_302600_NS6detail15normal_iteratorINSC_10device_ptrIKjEEEESI_EEEEESK_NSA_INS5_IJNSC_16discard_iteratorINSC_11use_defaultEEESN_EEEEEPS7_SQ_SQ_NSC_11hip_rocprim7__merge17predicate_wrapperIjjNSC_4lessIjEEEEEE10hipError_tPvRmT0_T1_T2_T3_T4_T5_mmT6_P12ihipStream_tbEUlT_E0_NS1_11comp_targetILNS1_3genE8ELNS1_11target_archE1030ELNS1_3gpuE2ELNS1_3repE0EEENS1_30default_config_static_selectorELNS0_4arch9wavefront6targetE0EEEvS11_
		.amdhsa_group_segment_fixed_size 0
		.amdhsa_private_segment_fixed_size 0
		.amdhsa_kernarg_size 128
		.amdhsa_user_sgpr_count 2
		.amdhsa_user_sgpr_dispatch_ptr 0
		.amdhsa_user_sgpr_queue_ptr 0
		.amdhsa_user_sgpr_kernarg_segment_ptr 1
		.amdhsa_user_sgpr_dispatch_id 0
		.amdhsa_user_sgpr_kernarg_preload_length 0
		.amdhsa_user_sgpr_kernarg_preload_offset 0
		.amdhsa_user_sgpr_private_segment_size 0
		.amdhsa_wavefront_size32 1
		.amdhsa_uses_dynamic_stack 0
		.amdhsa_enable_private_segment 0
		.amdhsa_system_sgpr_workgroup_id_x 1
		.amdhsa_system_sgpr_workgroup_id_y 0
		.amdhsa_system_sgpr_workgroup_id_z 0
		.amdhsa_system_sgpr_workgroup_info 0
		.amdhsa_system_vgpr_workitem_id 0
		.amdhsa_next_free_vgpr 1
		.amdhsa_next_free_sgpr 1
		.amdhsa_named_barrier_count 0
		.amdhsa_reserve_vcc 0
		.amdhsa_float_round_mode_32 0
		.amdhsa_float_round_mode_16_64 0
		.amdhsa_float_denorm_mode_32 3
		.amdhsa_float_denorm_mode_16_64 3
		.amdhsa_fp16_overflow 0
		.amdhsa_memory_ordered 1
		.amdhsa_forward_progress 1
		.amdhsa_inst_pref_size 0
		.amdhsa_round_robin_scheduling 0
		.amdhsa_exception_fp_ieee_invalid_op 0
		.amdhsa_exception_fp_denorm_src 0
		.amdhsa_exception_fp_ieee_div_zero 0
		.amdhsa_exception_fp_ieee_overflow 0
		.amdhsa_exception_fp_ieee_underflow 0
		.amdhsa_exception_fp_ieee_inexact 0
		.amdhsa_exception_int_div_zero 0
	.end_amdhsa_kernel
	.section	.text._ZN7rocprim17ROCPRIM_400000_NS6detail17trampoline_kernelINS0_14default_configENS1_21merge_config_selectorINS0_5tupleIJjjEEENS0_10empty_typeEEEZNS1_10merge_implIS3_NS0_12zip_iteratorINS5_IJN6thrust23THRUST_200600_302600_NS6detail15normal_iteratorINSC_10device_ptrIKjEEEESI_EEEEESK_NSA_INS5_IJNSC_16discard_iteratorINSC_11use_defaultEEESN_EEEEEPS7_SQ_SQ_NSC_11hip_rocprim7__merge17predicate_wrapperIjjNSC_4lessIjEEEEEE10hipError_tPvRmT0_T1_T2_T3_T4_T5_mmT6_P12ihipStream_tbEUlT_E0_NS1_11comp_targetILNS1_3genE8ELNS1_11target_archE1030ELNS1_3gpuE2ELNS1_3repE0EEENS1_30default_config_static_selectorELNS0_4arch9wavefront6targetE0EEEvS11_,"axG",@progbits,_ZN7rocprim17ROCPRIM_400000_NS6detail17trampoline_kernelINS0_14default_configENS1_21merge_config_selectorINS0_5tupleIJjjEEENS0_10empty_typeEEEZNS1_10merge_implIS3_NS0_12zip_iteratorINS5_IJN6thrust23THRUST_200600_302600_NS6detail15normal_iteratorINSC_10device_ptrIKjEEEESI_EEEEESK_NSA_INS5_IJNSC_16discard_iteratorINSC_11use_defaultEEESN_EEEEEPS7_SQ_SQ_NSC_11hip_rocprim7__merge17predicate_wrapperIjjNSC_4lessIjEEEEEE10hipError_tPvRmT0_T1_T2_T3_T4_T5_mmT6_P12ihipStream_tbEUlT_E0_NS1_11comp_targetILNS1_3genE8ELNS1_11target_archE1030ELNS1_3gpuE2ELNS1_3repE0EEENS1_30default_config_static_selectorELNS0_4arch9wavefront6targetE0EEEvS11_,comdat
.Lfunc_end550:
	.size	_ZN7rocprim17ROCPRIM_400000_NS6detail17trampoline_kernelINS0_14default_configENS1_21merge_config_selectorINS0_5tupleIJjjEEENS0_10empty_typeEEEZNS1_10merge_implIS3_NS0_12zip_iteratorINS5_IJN6thrust23THRUST_200600_302600_NS6detail15normal_iteratorINSC_10device_ptrIKjEEEESI_EEEEESK_NSA_INS5_IJNSC_16discard_iteratorINSC_11use_defaultEEESN_EEEEEPS7_SQ_SQ_NSC_11hip_rocprim7__merge17predicate_wrapperIjjNSC_4lessIjEEEEEE10hipError_tPvRmT0_T1_T2_T3_T4_T5_mmT6_P12ihipStream_tbEUlT_E0_NS1_11comp_targetILNS1_3genE8ELNS1_11target_archE1030ELNS1_3gpuE2ELNS1_3repE0EEENS1_30default_config_static_selectorELNS0_4arch9wavefront6targetE0EEEvS11_, .Lfunc_end550-_ZN7rocprim17ROCPRIM_400000_NS6detail17trampoline_kernelINS0_14default_configENS1_21merge_config_selectorINS0_5tupleIJjjEEENS0_10empty_typeEEEZNS1_10merge_implIS3_NS0_12zip_iteratorINS5_IJN6thrust23THRUST_200600_302600_NS6detail15normal_iteratorINSC_10device_ptrIKjEEEESI_EEEEESK_NSA_INS5_IJNSC_16discard_iteratorINSC_11use_defaultEEESN_EEEEEPS7_SQ_SQ_NSC_11hip_rocprim7__merge17predicate_wrapperIjjNSC_4lessIjEEEEEE10hipError_tPvRmT0_T1_T2_T3_T4_T5_mmT6_P12ihipStream_tbEUlT_E0_NS1_11comp_targetILNS1_3genE8ELNS1_11target_archE1030ELNS1_3gpuE2ELNS1_3repE0EEENS1_30default_config_static_selectorELNS0_4arch9wavefront6targetE0EEEvS11_
                                        ; -- End function
	.set _ZN7rocprim17ROCPRIM_400000_NS6detail17trampoline_kernelINS0_14default_configENS1_21merge_config_selectorINS0_5tupleIJjjEEENS0_10empty_typeEEEZNS1_10merge_implIS3_NS0_12zip_iteratorINS5_IJN6thrust23THRUST_200600_302600_NS6detail15normal_iteratorINSC_10device_ptrIKjEEEESI_EEEEESK_NSA_INS5_IJNSC_16discard_iteratorINSC_11use_defaultEEESN_EEEEEPS7_SQ_SQ_NSC_11hip_rocprim7__merge17predicate_wrapperIjjNSC_4lessIjEEEEEE10hipError_tPvRmT0_T1_T2_T3_T4_T5_mmT6_P12ihipStream_tbEUlT_E0_NS1_11comp_targetILNS1_3genE8ELNS1_11target_archE1030ELNS1_3gpuE2ELNS1_3repE0EEENS1_30default_config_static_selectorELNS0_4arch9wavefront6targetE0EEEvS11_.num_vgpr, 0
	.set _ZN7rocprim17ROCPRIM_400000_NS6detail17trampoline_kernelINS0_14default_configENS1_21merge_config_selectorINS0_5tupleIJjjEEENS0_10empty_typeEEEZNS1_10merge_implIS3_NS0_12zip_iteratorINS5_IJN6thrust23THRUST_200600_302600_NS6detail15normal_iteratorINSC_10device_ptrIKjEEEESI_EEEEESK_NSA_INS5_IJNSC_16discard_iteratorINSC_11use_defaultEEESN_EEEEEPS7_SQ_SQ_NSC_11hip_rocprim7__merge17predicate_wrapperIjjNSC_4lessIjEEEEEE10hipError_tPvRmT0_T1_T2_T3_T4_T5_mmT6_P12ihipStream_tbEUlT_E0_NS1_11comp_targetILNS1_3genE8ELNS1_11target_archE1030ELNS1_3gpuE2ELNS1_3repE0EEENS1_30default_config_static_selectorELNS0_4arch9wavefront6targetE0EEEvS11_.num_agpr, 0
	.set _ZN7rocprim17ROCPRIM_400000_NS6detail17trampoline_kernelINS0_14default_configENS1_21merge_config_selectorINS0_5tupleIJjjEEENS0_10empty_typeEEEZNS1_10merge_implIS3_NS0_12zip_iteratorINS5_IJN6thrust23THRUST_200600_302600_NS6detail15normal_iteratorINSC_10device_ptrIKjEEEESI_EEEEESK_NSA_INS5_IJNSC_16discard_iteratorINSC_11use_defaultEEESN_EEEEEPS7_SQ_SQ_NSC_11hip_rocprim7__merge17predicate_wrapperIjjNSC_4lessIjEEEEEE10hipError_tPvRmT0_T1_T2_T3_T4_T5_mmT6_P12ihipStream_tbEUlT_E0_NS1_11comp_targetILNS1_3genE8ELNS1_11target_archE1030ELNS1_3gpuE2ELNS1_3repE0EEENS1_30default_config_static_selectorELNS0_4arch9wavefront6targetE0EEEvS11_.numbered_sgpr, 0
	.set _ZN7rocprim17ROCPRIM_400000_NS6detail17trampoline_kernelINS0_14default_configENS1_21merge_config_selectorINS0_5tupleIJjjEEENS0_10empty_typeEEEZNS1_10merge_implIS3_NS0_12zip_iteratorINS5_IJN6thrust23THRUST_200600_302600_NS6detail15normal_iteratorINSC_10device_ptrIKjEEEESI_EEEEESK_NSA_INS5_IJNSC_16discard_iteratorINSC_11use_defaultEEESN_EEEEEPS7_SQ_SQ_NSC_11hip_rocprim7__merge17predicate_wrapperIjjNSC_4lessIjEEEEEE10hipError_tPvRmT0_T1_T2_T3_T4_T5_mmT6_P12ihipStream_tbEUlT_E0_NS1_11comp_targetILNS1_3genE8ELNS1_11target_archE1030ELNS1_3gpuE2ELNS1_3repE0EEENS1_30default_config_static_selectorELNS0_4arch9wavefront6targetE0EEEvS11_.num_named_barrier, 0
	.set _ZN7rocprim17ROCPRIM_400000_NS6detail17trampoline_kernelINS0_14default_configENS1_21merge_config_selectorINS0_5tupleIJjjEEENS0_10empty_typeEEEZNS1_10merge_implIS3_NS0_12zip_iteratorINS5_IJN6thrust23THRUST_200600_302600_NS6detail15normal_iteratorINSC_10device_ptrIKjEEEESI_EEEEESK_NSA_INS5_IJNSC_16discard_iteratorINSC_11use_defaultEEESN_EEEEEPS7_SQ_SQ_NSC_11hip_rocprim7__merge17predicate_wrapperIjjNSC_4lessIjEEEEEE10hipError_tPvRmT0_T1_T2_T3_T4_T5_mmT6_P12ihipStream_tbEUlT_E0_NS1_11comp_targetILNS1_3genE8ELNS1_11target_archE1030ELNS1_3gpuE2ELNS1_3repE0EEENS1_30default_config_static_selectorELNS0_4arch9wavefront6targetE0EEEvS11_.private_seg_size, 0
	.set _ZN7rocprim17ROCPRIM_400000_NS6detail17trampoline_kernelINS0_14default_configENS1_21merge_config_selectorINS0_5tupleIJjjEEENS0_10empty_typeEEEZNS1_10merge_implIS3_NS0_12zip_iteratorINS5_IJN6thrust23THRUST_200600_302600_NS6detail15normal_iteratorINSC_10device_ptrIKjEEEESI_EEEEESK_NSA_INS5_IJNSC_16discard_iteratorINSC_11use_defaultEEESN_EEEEEPS7_SQ_SQ_NSC_11hip_rocprim7__merge17predicate_wrapperIjjNSC_4lessIjEEEEEE10hipError_tPvRmT0_T1_T2_T3_T4_T5_mmT6_P12ihipStream_tbEUlT_E0_NS1_11comp_targetILNS1_3genE8ELNS1_11target_archE1030ELNS1_3gpuE2ELNS1_3repE0EEENS1_30default_config_static_selectorELNS0_4arch9wavefront6targetE0EEEvS11_.uses_vcc, 0
	.set _ZN7rocprim17ROCPRIM_400000_NS6detail17trampoline_kernelINS0_14default_configENS1_21merge_config_selectorINS0_5tupleIJjjEEENS0_10empty_typeEEEZNS1_10merge_implIS3_NS0_12zip_iteratorINS5_IJN6thrust23THRUST_200600_302600_NS6detail15normal_iteratorINSC_10device_ptrIKjEEEESI_EEEEESK_NSA_INS5_IJNSC_16discard_iteratorINSC_11use_defaultEEESN_EEEEEPS7_SQ_SQ_NSC_11hip_rocprim7__merge17predicate_wrapperIjjNSC_4lessIjEEEEEE10hipError_tPvRmT0_T1_T2_T3_T4_T5_mmT6_P12ihipStream_tbEUlT_E0_NS1_11comp_targetILNS1_3genE8ELNS1_11target_archE1030ELNS1_3gpuE2ELNS1_3repE0EEENS1_30default_config_static_selectorELNS0_4arch9wavefront6targetE0EEEvS11_.uses_flat_scratch, 0
	.set _ZN7rocprim17ROCPRIM_400000_NS6detail17trampoline_kernelINS0_14default_configENS1_21merge_config_selectorINS0_5tupleIJjjEEENS0_10empty_typeEEEZNS1_10merge_implIS3_NS0_12zip_iteratorINS5_IJN6thrust23THRUST_200600_302600_NS6detail15normal_iteratorINSC_10device_ptrIKjEEEESI_EEEEESK_NSA_INS5_IJNSC_16discard_iteratorINSC_11use_defaultEEESN_EEEEEPS7_SQ_SQ_NSC_11hip_rocprim7__merge17predicate_wrapperIjjNSC_4lessIjEEEEEE10hipError_tPvRmT0_T1_T2_T3_T4_T5_mmT6_P12ihipStream_tbEUlT_E0_NS1_11comp_targetILNS1_3genE8ELNS1_11target_archE1030ELNS1_3gpuE2ELNS1_3repE0EEENS1_30default_config_static_selectorELNS0_4arch9wavefront6targetE0EEEvS11_.has_dyn_sized_stack, 0
	.set _ZN7rocprim17ROCPRIM_400000_NS6detail17trampoline_kernelINS0_14default_configENS1_21merge_config_selectorINS0_5tupleIJjjEEENS0_10empty_typeEEEZNS1_10merge_implIS3_NS0_12zip_iteratorINS5_IJN6thrust23THRUST_200600_302600_NS6detail15normal_iteratorINSC_10device_ptrIKjEEEESI_EEEEESK_NSA_INS5_IJNSC_16discard_iteratorINSC_11use_defaultEEESN_EEEEEPS7_SQ_SQ_NSC_11hip_rocprim7__merge17predicate_wrapperIjjNSC_4lessIjEEEEEE10hipError_tPvRmT0_T1_T2_T3_T4_T5_mmT6_P12ihipStream_tbEUlT_E0_NS1_11comp_targetILNS1_3genE8ELNS1_11target_archE1030ELNS1_3gpuE2ELNS1_3repE0EEENS1_30default_config_static_selectorELNS0_4arch9wavefront6targetE0EEEvS11_.has_recursion, 0
	.set _ZN7rocprim17ROCPRIM_400000_NS6detail17trampoline_kernelINS0_14default_configENS1_21merge_config_selectorINS0_5tupleIJjjEEENS0_10empty_typeEEEZNS1_10merge_implIS3_NS0_12zip_iteratorINS5_IJN6thrust23THRUST_200600_302600_NS6detail15normal_iteratorINSC_10device_ptrIKjEEEESI_EEEEESK_NSA_INS5_IJNSC_16discard_iteratorINSC_11use_defaultEEESN_EEEEEPS7_SQ_SQ_NSC_11hip_rocprim7__merge17predicate_wrapperIjjNSC_4lessIjEEEEEE10hipError_tPvRmT0_T1_T2_T3_T4_T5_mmT6_P12ihipStream_tbEUlT_E0_NS1_11comp_targetILNS1_3genE8ELNS1_11target_archE1030ELNS1_3gpuE2ELNS1_3repE0EEENS1_30default_config_static_selectorELNS0_4arch9wavefront6targetE0EEEvS11_.has_indirect_call, 0
	.section	.AMDGPU.csdata,"",@progbits
; Kernel info:
; codeLenInByte = 0
; TotalNumSgprs: 0
; NumVgprs: 0
; ScratchSize: 0
; MemoryBound: 0
; FloatMode: 240
; IeeeMode: 1
; LDSByteSize: 0 bytes/workgroup (compile time only)
; SGPRBlocks: 0
; VGPRBlocks: 0
; NumSGPRsForWavesPerEU: 1
; NumVGPRsForWavesPerEU: 1
; NamedBarCnt: 0
; Occupancy: 16
; WaveLimiterHint : 0
; COMPUTE_PGM_RSRC2:SCRATCH_EN: 0
; COMPUTE_PGM_RSRC2:USER_SGPR: 2
; COMPUTE_PGM_RSRC2:TRAP_HANDLER: 0
; COMPUTE_PGM_RSRC2:TGID_X_EN: 1
; COMPUTE_PGM_RSRC2:TGID_Y_EN: 0
; COMPUTE_PGM_RSRC2:TGID_Z_EN: 0
; COMPUTE_PGM_RSRC2:TIDIG_COMP_CNT: 0
	.section	.text._ZN7rocprim17ROCPRIM_400000_NS6detail17trampoline_kernelINS0_14default_configENS1_21merge_config_selectorINS0_5tupleIJttEEENS0_10empty_typeEEEZNS1_10merge_implIS3_NS0_12zip_iteratorINS5_IJN6thrust23THRUST_200600_302600_NS6detail15normal_iteratorINSC_10device_ptrIKtEEEESI_EEEEESK_NSA_INS5_IJNSC_16discard_iteratorINSC_11use_defaultEEESN_EEEEEPS7_SQ_SQ_NSC_11hip_rocprim7__merge17predicate_wrapperIttNSC_4lessItEEEEEE10hipError_tPvRmT0_T1_T2_T3_T4_T5_mmT6_P12ihipStream_tbEUlT_E_NS1_11comp_targetILNS1_3genE0ELNS1_11target_archE4294967295ELNS1_3gpuE0ELNS1_3repE0EEENS1_30default_config_static_selectorELNS0_4arch9wavefront6targetE0EEEvS11_,"axG",@progbits,_ZN7rocprim17ROCPRIM_400000_NS6detail17trampoline_kernelINS0_14default_configENS1_21merge_config_selectorINS0_5tupleIJttEEENS0_10empty_typeEEEZNS1_10merge_implIS3_NS0_12zip_iteratorINS5_IJN6thrust23THRUST_200600_302600_NS6detail15normal_iteratorINSC_10device_ptrIKtEEEESI_EEEEESK_NSA_INS5_IJNSC_16discard_iteratorINSC_11use_defaultEEESN_EEEEEPS7_SQ_SQ_NSC_11hip_rocprim7__merge17predicate_wrapperIttNSC_4lessItEEEEEE10hipError_tPvRmT0_T1_T2_T3_T4_T5_mmT6_P12ihipStream_tbEUlT_E_NS1_11comp_targetILNS1_3genE0ELNS1_11target_archE4294967295ELNS1_3gpuE0ELNS1_3repE0EEENS1_30default_config_static_selectorELNS0_4arch9wavefront6targetE0EEEvS11_,comdat
	.protected	_ZN7rocprim17ROCPRIM_400000_NS6detail17trampoline_kernelINS0_14default_configENS1_21merge_config_selectorINS0_5tupleIJttEEENS0_10empty_typeEEEZNS1_10merge_implIS3_NS0_12zip_iteratorINS5_IJN6thrust23THRUST_200600_302600_NS6detail15normal_iteratorINSC_10device_ptrIKtEEEESI_EEEEESK_NSA_INS5_IJNSC_16discard_iteratorINSC_11use_defaultEEESN_EEEEEPS7_SQ_SQ_NSC_11hip_rocprim7__merge17predicate_wrapperIttNSC_4lessItEEEEEE10hipError_tPvRmT0_T1_T2_T3_T4_T5_mmT6_P12ihipStream_tbEUlT_E_NS1_11comp_targetILNS1_3genE0ELNS1_11target_archE4294967295ELNS1_3gpuE0ELNS1_3repE0EEENS1_30default_config_static_selectorELNS0_4arch9wavefront6targetE0EEEvS11_ ; -- Begin function _ZN7rocprim17ROCPRIM_400000_NS6detail17trampoline_kernelINS0_14default_configENS1_21merge_config_selectorINS0_5tupleIJttEEENS0_10empty_typeEEEZNS1_10merge_implIS3_NS0_12zip_iteratorINS5_IJN6thrust23THRUST_200600_302600_NS6detail15normal_iteratorINSC_10device_ptrIKtEEEESI_EEEEESK_NSA_INS5_IJNSC_16discard_iteratorINSC_11use_defaultEEESN_EEEEEPS7_SQ_SQ_NSC_11hip_rocprim7__merge17predicate_wrapperIttNSC_4lessItEEEEEE10hipError_tPvRmT0_T1_T2_T3_T4_T5_mmT6_P12ihipStream_tbEUlT_E_NS1_11comp_targetILNS1_3genE0ELNS1_11target_archE4294967295ELNS1_3gpuE0ELNS1_3repE0EEENS1_30default_config_static_selectorELNS0_4arch9wavefront6targetE0EEEvS11_
	.globl	_ZN7rocprim17ROCPRIM_400000_NS6detail17trampoline_kernelINS0_14default_configENS1_21merge_config_selectorINS0_5tupleIJttEEENS0_10empty_typeEEEZNS1_10merge_implIS3_NS0_12zip_iteratorINS5_IJN6thrust23THRUST_200600_302600_NS6detail15normal_iteratorINSC_10device_ptrIKtEEEESI_EEEEESK_NSA_INS5_IJNSC_16discard_iteratorINSC_11use_defaultEEESN_EEEEEPS7_SQ_SQ_NSC_11hip_rocprim7__merge17predicate_wrapperIttNSC_4lessItEEEEEE10hipError_tPvRmT0_T1_T2_T3_T4_T5_mmT6_P12ihipStream_tbEUlT_E_NS1_11comp_targetILNS1_3genE0ELNS1_11target_archE4294967295ELNS1_3gpuE0ELNS1_3repE0EEENS1_30default_config_static_selectorELNS0_4arch9wavefront6targetE0EEEvS11_
	.p2align	8
	.type	_ZN7rocprim17ROCPRIM_400000_NS6detail17trampoline_kernelINS0_14default_configENS1_21merge_config_selectorINS0_5tupleIJttEEENS0_10empty_typeEEEZNS1_10merge_implIS3_NS0_12zip_iteratorINS5_IJN6thrust23THRUST_200600_302600_NS6detail15normal_iteratorINSC_10device_ptrIKtEEEESI_EEEEESK_NSA_INS5_IJNSC_16discard_iteratorINSC_11use_defaultEEESN_EEEEEPS7_SQ_SQ_NSC_11hip_rocprim7__merge17predicate_wrapperIttNSC_4lessItEEEEEE10hipError_tPvRmT0_T1_T2_T3_T4_T5_mmT6_P12ihipStream_tbEUlT_E_NS1_11comp_targetILNS1_3genE0ELNS1_11target_archE4294967295ELNS1_3gpuE0ELNS1_3repE0EEENS1_30default_config_static_selectorELNS0_4arch9wavefront6targetE0EEEvS11_,@function
_ZN7rocprim17ROCPRIM_400000_NS6detail17trampoline_kernelINS0_14default_configENS1_21merge_config_selectorINS0_5tupleIJttEEENS0_10empty_typeEEEZNS1_10merge_implIS3_NS0_12zip_iteratorINS5_IJN6thrust23THRUST_200600_302600_NS6detail15normal_iteratorINSC_10device_ptrIKtEEEESI_EEEEESK_NSA_INS5_IJNSC_16discard_iteratorINSC_11use_defaultEEESN_EEEEEPS7_SQ_SQ_NSC_11hip_rocprim7__merge17predicate_wrapperIttNSC_4lessItEEEEEE10hipError_tPvRmT0_T1_T2_T3_T4_T5_mmT6_P12ihipStream_tbEUlT_E_NS1_11comp_targetILNS1_3genE0ELNS1_11target_archE4294967295ELNS1_3gpuE0ELNS1_3repE0EEENS1_30default_config_static_selectorELNS0_4arch9wavefront6targetE0EEEvS11_: ; @_ZN7rocprim17ROCPRIM_400000_NS6detail17trampoline_kernelINS0_14default_configENS1_21merge_config_selectorINS0_5tupleIJttEEENS0_10empty_typeEEEZNS1_10merge_implIS3_NS0_12zip_iteratorINS5_IJN6thrust23THRUST_200600_302600_NS6detail15normal_iteratorINSC_10device_ptrIKtEEEESI_EEEEESK_NSA_INS5_IJNSC_16discard_iteratorINSC_11use_defaultEEESN_EEEEEPS7_SQ_SQ_NSC_11hip_rocprim7__merge17predicate_wrapperIttNSC_4lessItEEEEEE10hipError_tPvRmT0_T1_T2_T3_T4_T5_mmT6_P12ihipStream_tbEUlT_E_NS1_11comp_targetILNS1_3genE0ELNS1_11target_archE4294967295ELNS1_3gpuE0ELNS1_3repE0EEENS1_30default_config_static_selectorELNS0_4arch9wavefront6targetE0EEEvS11_
; %bb.0:
	s_clause 0x2
	s_load_b32 s4, s[0:1], 0x38
	s_load_b32 s2, s[0:1], 0x4c
	s_load_b128 s[8:11], s[0:1], 0x28
	s_getreg_b32 s7, hwreg(HW_REG_IB_STS2, 6, 4)
	s_wait_kmcnt 0x0
	s_cvt_f32_u32 s3, s4
	s_and_b32 s6, s2, 0xffff
	s_and_b32 s2, ttmp6, 15
	s_delay_alu instid0(SALU_CYCLE_1) | instskip(SKIP_1) | instid1(SALU_CYCLE_1)
	v_rcp_iflag_f32_e32 v1, s3
	s_bfe_u32 s3, ttmp6, 0x4000c
	s_add_co_i32 s3, s3, 1
	s_delay_alu instid0(SALU_CYCLE_1) | instskip(NEXT) | instid1(SALU_CYCLE_1)
	s_mul_i32 s3, ttmp9, s3
	s_add_co_i32 s2, s2, s3
	v_nop
	s_delay_alu instid0(TRANS32_DEP_1)
	v_readfirstlane_b32 s5, v1
	s_cmp_eq_u32 s7, 0
	s_cselect_b32 s7, ttmp9, s2
	s_sub_co_i32 s12, 0, s4
	s_mul_f32 s5, s5, 0x4f7ffffe
	s_add_nc_u64 s[2:3], s[10:11], s[8:9]
	v_mad_u32 v6, s7, s6, v0
	s_add_co_i32 s13, s4, s2
	s_cvt_u32_f32 s5, s5
	s_add_co_i32 s13, s13, -1
	s_delay_alu instid0(SALU_CYCLE_2) | instskip(NEXT) | instid1(SALU_CYCLE_1)
	s_mul_i32 s12, s12, s5
	s_mul_hi_u32 s12, s5, s12
	s_delay_alu instid0(SALU_CYCLE_1) | instskip(NEXT) | instid1(SALU_CYCLE_1)
	s_add_co_i32 s5, s5, s12
	s_mul_hi_u32 s5, s13, s5
	s_delay_alu instid0(SALU_CYCLE_1) | instskip(SKIP_2) | instid1(SALU_CYCLE_1)
	s_mul_i32 s12, s5, s4
	s_add_co_i32 s7, s5, 1
	s_sub_co_i32 s6, s13, s12
	s_sub_co_i32 s12, s6, s4
	s_cmp_ge_u32 s6, s4
	s_cselect_b32 s5, s7, s5
	s_cselect_b32 s6, s12, s6
	s_add_co_i32 s7, s5, 1
	s_cmp_ge_u32 s6, s4
	s_cselect_b32 s5, s7, s5
	s_delay_alu instid0(SALU_CYCLE_1)
	v_cmp_ge_u32_e32 vcc_lo, s5, v6
	s_and_saveexec_b32 s5, vcc_lo
	s_cbranch_execz .LBB551_6
; %bb.1:
	v_mul_lo_u32 v0, v6, s4
	v_mov_b32_e32 v1, 0
	s_load_b128 s[4:7], s[0:1], 0x0
	s_delay_alu instid0(VALU_DEP_1) | instskip(SKIP_1) | instid1(VALU_DEP_1)
	v_min_u64 v[4:5], v[0:1], s[2:3]
	s_mov_b32 s2, exec_lo
	v_max_u64 v[0:1], v[4:5], s[10:11]
	v_min_u64 v[2:3], v[4:5], s[8:9]
	s_delay_alu instid0(VALU_DEP_2) | instskip(NEXT) | instid1(VALU_DEP_1)
	v_sub_nc_u64_e64 v[0:1], v[0:1], s[10:11]
	v_cmpx_lt_u64_e64 v[0:1], v[2:3]
	s_cbranch_execz .LBB551_5
; %bb.2:
	s_wait_xcnt 0x0
	s_load_b64 s[0:1], s[0:1], 0x18
	s_wait_kmcnt 0x0
	v_lshl_add_u64 v[4:5], v[4:5], 1, s[0:1]
	s_mov_b32 s0, 0
.LBB551_3:                              ; =>This Inner Loop Header: Depth=1
	v_add_nc_u64_e32 v[8:9], v[2:3], v[0:1]
	s_delay_alu instid0(VALU_DEP_1) | instskip(SKIP_2) | instid1(VALU_DEP_2)
	v_lshrrev_b64 v[10:11], 1, v[8:9]
	v_and_b32_e32 v8, -2, v8
	v_xor_b32_e32 v13, -1, v9
	v_xor_b32_e32 v12, -2, v8
	v_add_nc_u64_e32 v[8:9], s[6:7], v[8:9]
	s_delay_alu instid0(VALU_DEP_2)
	v_add_nc_u64_e32 v[12:13], v[4:5], v[12:13]
	global_load_u16 v7, v[8:9], off
	global_load_u16 v14, v[12:13], off
	s_wait_xcnt 0x1
	v_add_nc_u64_e32 v[8:9], 1, v[10:11]
	s_wait_loadcnt 0x0
	v_cmp_lt_u16_e32 vcc_lo, v14, v7
	v_dual_cndmask_b32 v3, v3, v11 :: v_dual_cndmask_b32 v2, v2, v10
	s_delay_alu instid0(VALU_DEP_3) | instskip(NEXT) | instid1(VALU_DEP_1)
	v_dual_cndmask_b32 v1, v9, v1 :: v_dual_cndmask_b32 v0, v8, v0
	v_cmp_ge_u64_e32 vcc_lo, v[0:1], v[2:3]
	s_or_b32 s0, vcc_lo, s0
	s_delay_alu instid0(SALU_CYCLE_1)
	s_and_not1_b32 exec_lo, exec_lo, s0
	s_cbranch_execnz .LBB551_3
; %bb.4:
	s_or_b32 exec_lo, exec_lo, s0
.LBB551_5:
	s_delay_alu instid0(SALU_CYCLE_1)
	s_or_b32 exec_lo, exec_lo, s2
	s_wait_kmcnt 0x0
	global_store_b32 v6, v0, s[4:5] scale_offset
.LBB551_6:
	s_endpgm
	.section	.rodata,"a",@progbits
	.p2align	6, 0x0
	.amdhsa_kernel _ZN7rocprim17ROCPRIM_400000_NS6detail17trampoline_kernelINS0_14default_configENS1_21merge_config_selectorINS0_5tupleIJttEEENS0_10empty_typeEEEZNS1_10merge_implIS3_NS0_12zip_iteratorINS5_IJN6thrust23THRUST_200600_302600_NS6detail15normal_iteratorINSC_10device_ptrIKtEEEESI_EEEEESK_NSA_INS5_IJNSC_16discard_iteratorINSC_11use_defaultEEESN_EEEEEPS7_SQ_SQ_NSC_11hip_rocprim7__merge17predicate_wrapperIttNSC_4lessItEEEEEE10hipError_tPvRmT0_T1_T2_T3_T4_T5_mmT6_P12ihipStream_tbEUlT_E_NS1_11comp_targetILNS1_3genE0ELNS1_11target_archE4294967295ELNS1_3gpuE0ELNS1_3repE0EEENS1_30default_config_static_selectorELNS0_4arch9wavefront6targetE0EEEvS11_
		.amdhsa_group_segment_fixed_size 0
		.amdhsa_private_segment_fixed_size 0
		.amdhsa_kernarg_size 320
		.amdhsa_user_sgpr_count 2
		.amdhsa_user_sgpr_dispatch_ptr 0
		.amdhsa_user_sgpr_queue_ptr 0
		.amdhsa_user_sgpr_kernarg_segment_ptr 1
		.amdhsa_user_sgpr_dispatch_id 0
		.amdhsa_user_sgpr_kernarg_preload_length 0
		.amdhsa_user_sgpr_kernarg_preload_offset 0
		.amdhsa_user_sgpr_private_segment_size 0
		.amdhsa_wavefront_size32 1
		.amdhsa_uses_dynamic_stack 0
		.amdhsa_enable_private_segment 0
		.amdhsa_system_sgpr_workgroup_id_x 1
		.amdhsa_system_sgpr_workgroup_id_y 0
		.amdhsa_system_sgpr_workgroup_id_z 0
		.amdhsa_system_sgpr_workgroup_info 0
		.amdhsa_system_vgpr_workitem_id 0
		.amdhsa_next_free_vgpr 15
		.amdhsa_next_free_sgpr 14
		.amdhsa_named_barrier_count 0
		.amdhsa_reserve_vcc 1
		.amdhsa_float_round_mode_32 0
		.amdhsa_float_round_mode_16_64 0
		.amdhsa_float_denorm_mode_32 3
		.amdhsa_float_denorm_mode_16_64 3
		.amdhsa_fp16_overflow 0
		.amdhsa_memory_ordered 1
		.amdhsa_forward_progress 1
		.amdhsa_inst_pref_size 4
		.amdhsa_round_robin_scheduling 0
		.amdhsa_exception_fp_ieee_invalid_op 0
		.amdhsa_exception_fp_denorm_src 0
		.amdhsa_exception_fp_ieee_div_zero 0
		.amdhsa_exception_fp_ieee_overflow 0
		.amdhsa_exception_fp_ieee_underflow 0
		.amdhsa_exception_fp_ieee_inexact 0
		.amdhsa_exception_int_div_zero 0
	.end_amdhsa_kernel
	.section	.text._ZN7rocprim17ROCPRIM_400000_NS6detail17trampoline_kernelINS0_14default_configENS1_21merge_config_selectorINS0_5tupleIJttEEENS0_10empty_typeEEEZNS1_10merge_implIS3_NS0_12zip_iteratorINS5_IJN6thrust23THRUST_200600_302600_NS6detail15normal_iteratorINSC_10device_ptrIKtEEEESI_EEEEESK_NSA_INS5_IJNSC_16discard_iteratorINSC_11use_defaultEEESN_EEEEEPS7_SQ_SQ_NSC_11hip_rocprim7__merge17predicate_wrapperIttNSC_4lessItEEEEEE10hipError_tPvRmT0_T1_T2_T3_T4_T5_mmT6_P12ihipStream_tbEUlT_E_NS1_11comp_targetILNS1_3genE0ELNS1_11target_archE4294967295ELNS1_3gpuE0ELNS1_3repE0EEENS1_30default_config_static_selectorELNS0_4arch9wavefront6targetE0EEEvS11_,"axG",@progbits,_ZN7rocprim17ROCPRIM_400000_NS6detail17trampoline_kernelINS0_14default_configENS1_21merge_config_selectorINS0_5tupleIJttEEENS0_10empty_typeEEEZNS1_10merge_implIS3_NS0_12zip_iteratorINS5_IJN6thrust23THRUST_200600_302600_NS6detail15normal_iteratorINSC_10device_ptrIKtEEEESI_EEEEESK_NSA_INS5_IJNSC_16discard_iteratorINSC_11use_defaultEEESN_EEEEEPS7_SQ_SQ_NSC_11hip_rocprim7__merge17predicate_wrapperIttNSC_4lessItEEEEEE10hipError_tPvRmT0_T1_T2_T3_T4_T5_mmT6_P12ihipStream_tbEUlT_E_NS1_11comp_targetILNS1_3genE0ELNS1_11target_archE4294967295ELNS1_3gpuE0ELNS1_3repE0EEENS1_30default_config_static_selectorELNS0_4arch9wavefront6targetE0EEEvS11_,comdat
.Lfunc_end551:
	.size	_ZN7rocprim17ROCPRIM_400000_NS6detail17trampoline_kernelINS0_14default_configENS1_21merge_config_selectorINS0_5tupleIJttEEENS0_10empty_typeEEEZNS1_10merge_implIS3_NS0_12zip_iteratorINS5_IJN6thrust23THRUST_200600_302600_NS6detail15normal_iteratorINSC_10device_ptrIKtEEEESI_EEEEESK_NSA_INS5_IJNSC_16discard_iteratorINSC_11use_defaultEEESN_EEEEEPS7_SQ_SQ_NSC_11hip_rocprim7__merge17predicate_wrapperIttNSC_4lessItEEEEEE10hipError_tPvRmT0_T1_T2_T3_T4_T5_mmT6_P12ihipStream_tbEUlT_E_NS1_11comp_targetILNS1_3genE0ELNS1_11target_archE4294967295ELNS1_3gpuE0ELNS1_3repE0EEENS1_30default_config_static_selectorELNS0_4arch9wavefront6targetE0EEEvS11_, .Lfunc_end551-_ZN7rocprim17ROCPRIM_400000_NS6detail17trampoline_kernelINS0_14default_configENS1_21merge_config_selectorINS0_5tupleIJttEEENS0_10empty_typeEEEZNS1_10merge_implIS3_NS0_12zip_iteratorINS5_IJN6thrust23THRUST_200600_302600_NS6detail15normal_iteratorINSC_10device_ptrIKtEEEESI_EEEEESK_NSA_INS5_IJNSC_16discard_iteratorINSC_11use_defaultEEESN_EEEEEPS7_SQ_SQ_NSC_11hip_rocprim7__merge17predicate_wrapperIttNSC_4lessItEEEEEE10hipError_tPvRmT0_T1_T2_T3_T4_T5_mmT6_P12ihipStream_tbEUlT_E_NS1_11comp_targetILNS1_3genE0ELNS1_11target_archE4294967295ELNS1_3gpuE0ELNS1_3repE0EEENS1_30default_config_static_selectorELNS0_4arch9wavefront6targetE0EEEvS11_
                                        ; -- End function
	.set _ZN7rocprim17ROCPRIM_400000_NS6detail17trampoline_kernelINS0_14default_configENS1_21merge_config_selectorINS0_5tupleIJttEEENS0_10empty_typeEEEZNS1_10merge_implIS3_NS0_12zip_iteratorINS5_IJN6thrust23THRUST_200600_302600_NS6detail15normal_iteratorINSC_10device_ptrIKtEEEESI_EEEEESK_NSA_INS5_IJNSC_16discard_iteratorINSC_11use_defaultEEESN_EEEEEPS7_SQ_SQ_NSC_11hip_rocprim7__merge17predicate_wrapperIttNSC_4lessItEEEEEE10hipError_tPvRmT0_T1_T2_T3_T4_T5_mmT6_P12ihipStream_tbEUlT_E_NS1_11comp_targetILNS1_3genE0ELNS1_11target_archE4294967295ELNS1_3gpuE0ELNS1_3repE0EEENS1_30default_config_static_selectorELNS0_4arch9wavefront6targetE0EEEvS11_.num_vgpr, 15
	.set _ZN7rocprim17ROCPRIM_400000_NS6detail17trampoline_kernelINS0_14default_configENS1_21merge_config_selectorINS0_5tupleIJttEEENS0_10empty_typeEEEZNS1_10merge_implIS3_NS0_12zip_iteratorINS5_IJN6thrust23THRUST_200600_302600_NS6detail15normal_iteratorINSC_10device_ptrIKtEEEESI_EEEEESK_NSA_INS5_IJNSC_16discard_iteratorINSC_11use_defaultEEESN_EEEEEPS7_SQ_SQ_NSC_11hip_rocprim7__merge17predicate_wrapperIttNSC_4lessItEEEEEE10hipError_tPvRmT0_T1_T2_T3_T4_T5_mmT6_P12ihipStream_tbEUlT_E_NS1_11comp_targetILNS1_3genE0ELNS1_11target_archE4294967295ELNS1_3gpuE0ELNS1_3repE0EEENS1_30default_config_static_selectorELNS0_4arch9wavefront6targetE0EEEvS11_.num_agpr, 0
	.set _ZN7rocprim17ROCPRIM_400000_NS6detail17trampoline_kernelINS0_14default_configENS1_21merge_config_selectorINS0_5tupleIJttEEENS0_10empty_typeEEEZNS1_10merge_implIS3_NS0_12zip_iteratorINS5_IJN6thrust23THRUST_200600_302600_NS6detail15normal_iteratorINSC_10device_ptrIKtEEEESI_EEEEESK_NSA_INS5_IJNSC_16discard_iteratorINSC_11use_defaultEEESN_EEEEEPS7_SQ_SQ_NSC_11hip_rocprim7__merge17predicate_wrapperIttNSC_4lessItEEEEEE10hipError_tPvRmT0_T1_T2_T3_T4_T5_mmT6_P12ihipStream_tbEUlT_E_NS1_11comp_targetILNS1_3genE0ELNS1_11target_archE4294967295ELNS1_3gpuE0ELNS1_3repE0EEENS1_30default_config_static_selectorELNS0_4arch9wavefront6targetE0EEEvS11_.numbered_sgpr, 14
	.set _ZN7rocprim17ROCPRIM_400000_NS6detail17trampoline_kernelINS0_14default_configENS1_21merge_config_selectorINS0_5tupleIJttEEENS0_10empty_typeEEEZNS1_10merge_implIS3_NS0_12zip_iteratorINS5_IJN6thrust23THRUST_200600_302600_NS6detail15normal_iteratorINSC_10device_ptrIKtEEEESI_EEEEESK_NSA_INS5_IJNSC_16discard_iteratorINSC_11use_defaultEEESN_EEEEEPS7_SQ_SQ_NSC_11hip_rocprim7__merge17predicate_wrapperIttNSC_4lessItEEEEEE10hipError_tPvRmT0_T1_T2_T3_T4_T5_mmT6_P12ihipStream_tbEUlT_E_NS1_11comp_targetILNS1_3genE0ELNS1_11target_archE4294967295ELNS1_3gpuE0ELNS1_3repE0EEENS1_30default_config_static_selectorELNS0_4arch9wavefront6targetE0EEEvS11_.num_named_barrier, 0
	.set _ZN7rocprim17ROCPRIM_400000_NS6detail17trampoline_kernelINS0_14default_configENS1_21merge_config_selectorINS0_5tupleIJttEEENS0_10empty_typeEEEZNS1_10merge_implIS3_NS0_12zip_iteratorINS5_IJN6thrust23THRUST_200600_302600_NS6detail15normal_iteratorINSC_10device_ptrIKtEEEESI_EEEEESK_NSA_INS5_IJNSC_16discard_iteratorINSC_11use_defaultEEESN_EEEEEPS7_SQ_SQ_NSC_11hip_rocprim7__merge17predicate_wrapperIttNSC_4lessItEEEEEE10hipError_tPvRmT0_T1_T2_T3_T4_T5_mmT6_P12ihipStream_tbEUlT_E_NS1_11comp_targetILNS1_3genE0ELNS1_11target_archE4294967295ELNS1_3gpuE0ELNS1_3repE0EEENS1_30default_config_static_selectorELNS0_4arch9wavefront6targetE0EEEvS11_.private_seg_size, 0
	.set _ZN7rocprim17ROCPRIM_400000_NS6detail17trampoline_kernelINS0_14default_configENS1_21merge_config_selectorINS0_5tupleIJttEEENS0_10empty_typeEEEZNS1_10merge_implIS3_NS0_12zip_iteratorINS5_IJN6thrust23THRUST_200600_302600_NS6detail15normal_iteratorINSC_10device_ptrIKtEEEESI_EEEEESK_NSA_INS5_IJNSC_16discard_iteratorINSC_11use_defaultEEESN_EEEEEPS7_SQ_SQ_NSC_11hip_rocprim7__merge17predicate_wrapperIttNSC_4lessItEEEEEE10hipError_tPvRmT0_T1_T2_T3_T4_T5_mmT6_P12ihipStream_tbEUlT_E_NS1_11comp_targetILNS1_3genE0ELNS1_11target_archE4294967295ELNS1_3gpuE0ELNS1_3repE0EEENS1_30default_config_static_selectorELNS0_4arch9wavefront6targetE0EEEvS11_.uses_vcc, 1
	.set _ZN7rocprim17ROCPRIM_400000_NS6detail17trampoline_kernelINS0_14default_configENS1_21merge_config_selectorINS0_5tupleIJttEEENS0_10empty_typeEEEZNS1_10merge_implIS3_NS0_12zip_iteratorINS5_IJN6thrust23THRUST_200600_302600_NS6detail15normal_iteratorINSC_10device_ptrIKtEEEESI_EEEEESK_NSA_INS5_IJNSC_16discard_iteratorINSC_11use_defaultEEESN_EEEEEPS7_SQ_SQ_NSC_11hip_rocprim7__merge17predicate_wrapperIttNSC_4lessItEEEEEE10hipError_tPvRmT0_T1_T2_T3_T4_T5_mmT6_P12ihipStream_tbEUlT_E_NS1_11comp_targetILNS1_3genE0ELNS1_11target_archE4294967295ELNS1_3gpuE0ELNS1_3repE0EEENS1_30default_config_static_selectorELNS0_4arch9wavefront6targetE0EEEvS11_.uses_flat_scratch, 0
	.set _ZN7rocprim17ROCPRIM_400000_NS6detail17trampoline_kernelINS0_14default_configENS1_21merge_config_selectorINS0_5tupleIJttEEENS0_10empty_typeEEEZNS1_10merge_implIS3_NS0_12zip_iteratorINS5_IJN6thrust23THRUST_200600_302600_NS6detail15normal_iteratorINSC_10device_ptrIKtEEEESI_EEEEESK_NSA_INS5_IJNSC_16discard_iteratorINSC_11use_defaultEEESN_EEEEEPS7_SQ_SQ_NSC_11hip_rocprim7__merge17predicate_wrapperIttNSC_4lessItEEEEEE10hipError_tPvRmT0_T1_T2_T3_T4_T5_mmT6_P12ihipStream_tbEUlT_E_NS1_11comp_targetILNS1_3genE0ELNS1_11target_archE4294967295ELNS1_3gpuE0ELNS1_3repE0EEENS1_30default_config_static_selectorELNS0_4arch9wavefront6targetE0EEEvS11_.has_dyn_sized_stack, 0
	.set _ZN7rocprim17ROCPRIM_400000_NS6detail17trampoline_kernelINS0_14default_configENS1_21merge_config_selectorINS0_5tupleIJttEEENS0_10empty_typeEEEZNS1_10merge_implIS3_NS0_12zip_iteratorINS5_IJN6thrust23THRUST_200600_302600_NS6detail15normal_iteratorINSC_10device_ptrIKtEEEESI_EEEEESK_NSA_INS5_IJNSC_16discard_iteratorINSC_11use_defaultEEESN_EEEEEPS7_SQ_SQ_NSC_11hip_rocprim7__merge17predicate_wrapperIttNSC_4lessItEEEEEE10hipError_tPvRmT0_T1_T2_T3_T4_T5_mmT6_P12ihipStream_tbEUlT_E_NS1_11comp_targetILNS1_3genE0ELNS1_11target_archE4294967295ELNS1_3gpuE0ELNS1_3repE0EEENS1_30default_config_static_selectorELNS0_4arch9wavefront6targetE0EEEvS11_.has_recursion, 0
	.set _ZN7rocprim17ROCPRIM_400000_NS6detail17trampoline_kernelINS0_14default_configENS1_21merge_config_selectorINS0_5tupleIJttEEENS0_10empty_typeEEEZNS1_10merge_implIS3_NS0_12zip_iteratorINS5_IJN6thrust23THRUST_200600_302600_NS6detail15normal_iteratorINSC_10device_ptrIKtEEEESI_EEEEESK_NSA_INS5_IJNSC_16discard_iteratorINSC_11use_defaultEEESN_EEEEEPS7_SQ_SQ_NSC_11hip_rocprim7__merge17predicate_wrapperIttNSC_4lessItEEEEEE10hipError_tPvRmT0_T1_T2_T3_T4_T5_mmT6_P12ihipStream_tbEUlT_E_NS1_11comp_targetILNS1_3genE0ELNS1_11target_archE4294967295ELNS1_3gpuE0ELNS1_3repE0EEENS1_30default_config_static_selectorELNS0_4arch9wavefront6targetE0EEEvS11_.has_indirect_call, 0
	.section	.AMDGPU.csdata,"",@progbits
; Kernel info:
; codeLenInByte = 480
; TotalNumSgprs: 16
; NumVgprs: 15
; ScratchSize: 0
; MemoryBound: 0
; FloatMode: 240
; IeeeMode: 1
; LDSByteSize: 0 bytes/workgroup (compile time only)
; SGPRBlocks: 0
; VGPRBlocks: 0
; NumSGPRsForWavesPerEU: 16
; NumVGPRsForWavesPerEU: 15
; NamedBarCnt: 0
; Occupancy: 16
; WaveLimiterHint : 0
; COMPUTE_PGM_RSRC2:SCRATCH_EN: 0
; COMPUTE_PGM_RSRC2:USER_SGPR: 2
; COMPUTE_PGM_RSRC2:TRAP_HANDLER: 0
; COMPUTE_PGM_RSRC2:TGID_X_EN: 1
; COMPUTE_PGM_RSRC2:TGID_Y_EN: 0
; COMPUTE_PGM_RSRC2:TGID_Z_EN: 0
; COMPUTE_PGM_RSRC2:TIDIG_COMP_CNT: 0
	.section	.text._ZN7rocprim17ROCPRIM_400000_NS6detail17trampoline_kernelINS0_14default_configENS1_21merge_config_selectorINS0_5tupleIJttEEENS0_10empty_typeEEEZNS1_10merge_implIS3_NS0_12zip_iteratorINS5_IJN6thrust23THRUST_200600_302600_NS6detail15normal_iteratorINSC_10device_ptrIKtEEEESI_EEEEESK_NSA_INS5_IJNSC_16discard_iteratorINSC_11use_defaultEEESN_EEEEEPS7_SQ_SQ_NSC_11hip_rocprim7__merge17predicate_wrapperIttNSC_4lessItEEEEEE10hipError_tPvRmT0_T1_T2_T3_T4_T5_mmT6_P12ihipStream_tbEUlT_E_NS1_11comp_targetILNS1_3genE5ELNS1_11target_archE942ELNS1_3gpuE9ELNS1_3repE0EEENS1_30default_config_static_selectorELNS0_4arch9wavefront6targetE0EEEvS11_,"axG",@progbits,_ZN7rocprim17ROCPRIM_400000_NS6detail17trampoline_kernelINS0_14default_configENS1_21merge_config_selectorINS0_5tupleIJttEEENS0_10empty_typeEEEZNS1_10merge_implIS3_NS0_12zip_iteratorINS5_IJN6thrust23THRUST_200600_302600_NS6detail15normal_iteratorINSC_10device_ptrIKtEEEESI_EEEEESK_NSA_INS5_IJNSC_16discard_iteratorINSC_11use_defaultEEESN_EEEEEPS7_SQ_SQ_NSC_11hip_rocprim7__merge17predicate_wrapperIttNSC_4lessItEEEEEE10hipError_tPvRmT0_T1_T2_T3_T4_T5_mmT6_P12ihipStream_tbEUlT_E_NS1_11comp_targetILNS1_3genE5ELNS1_11target_archE942ELNS1_3gpuE9ELNS1_3repE0EEENS1_30default_config_static_selectorELNS0_4arch9wavefront6targetE0EEEvS11_,comdat
	.protected	_ZN7rocprim17ROCPRIM_400000_NS6detail17trampoline_kernelINS0_14default_configENS1_21merge_config_selectorINS0_5tupleIJttEEENS0_10empty_typeEEEZNS1_10merge_implIS3_NS0_12zip_iteratorINS5_IJN6thrust23THRUST_200600_302600_NS6detail15normal_iteratorINSC_10device_ptrIKtEEEESI_EEEEESK_NSA_INS5_IJNSC_16discard_iteratorINSC_11use_defaultEEESN_EEEEEPS7_SQ_SQ_NSC_11hip_rocprim7__merge17predicate_wrapperIttNSC_4lessItEEEEEE10hipError_tPvRmT0_T1_T2_T3_T4_T5_mmT6_P12ihipStream_tbEUlT_E_NS1_11comp_targetILNS1_3genE5ELNS1_11target_archE942ELNS1_3gpuE9ELNS1_3repE0EEENS1_30default_config_static_selectorELNS0_4arch9wavefront6targetE0EEEvS11_ ; -- Begin function _ZN7rocprim17ROCPRIM_400000_NS6detail17trampoline_kernelINS0_14default_configENS1_21merge_config_selectorINS0_5tupleIJttEEENS0_10empty_typeEEEZNS1_10merge_implIS3_NS0_12zip_iteratorINS5_IJN6thrust23THRUST_200600_302600_NS6detail15normal_iteratorINSC_10device_ptrIKtEEEESI_EEEEESK_NSA_INS5_IJNSC_16discard_iteratorINSC_11use_defaultEEESN_EEEEEPS7_SQ_SQ_NSC_11hip_rocprim7__merge17predicate_wrapperIttNSC_4lessItEEEEEE10hipError_tPvRmT0_T1_T2_T3_T4_T5_mmT6_P12ihipStream_tbEUlT_E_NS1_11comp_targetILNS1_3genE5ELNS1_11target_archE942ELNS1_3gpuE9ELNS1_3repE0EEENS1_30default_config_static_selectorELNS0_4arch9wavefront6targetE0EEEvS11_
	.globl	_ZN7rocprim17ROCPRIM_400000_NS6detail17trampoline_kernelINS0_14default_configENS1_21merge_config_selectorINS0_5tupleIJttEEENS0_10empty_typeEEEZNS1_10merge_implIS3_NS0_12zip_iteratorINS5_IJN6thrust23THRUST_200600_302600_NS6detail15normal_iteratorINSC_10device_ptrIKtEEEESI_EEEEESK_NSA_INS5_IJNSC_16discard_iteratorINSC_11use_defaultEEESN_EEEEEPS7_SQ_SQ_NSC_11hip_rocprim7__merge17predicate_wrapperIttNSC_4lessItEEEEEE10hipError_tPvRmT0_T1_T2_T3_T4_T5_mmT6_P12ihipStream_tbEUlT_E_NS1_11comp_targetILNS1_3genE5ELNS1_11target_archE942ELNS1_3gpuE9ELNS1_3repE0EEENS1_30default_config_static_selectorELNS0_4arch9wavefront6targetE0EEEvS11_
	.p2align	8
	.type	_ZN7rocprim17ROCPRIM_400000_NS6detail17trampoline_kernelINS0_14default_configENS1_21merge_config_selectorINS0_5tupleIJttEEENS0_10empty_typeEEEZNS1_10merge_implIS3_NS0_12zip_iteratorINS5_IJN6thrust23THRUST_200600_302600_NS6detail15normal_iteratorINSC_10device_ptrIKtEEEESI_EEEEESK_NSA_INS5_IJNSC_16discard_iteratorINSC_11use_defaultEEESN_EEEEEPS7_SQ_SQ_NSC_11hip_rocprim7__merge17predicate_wrapperIttNSC_4lessItEEEEEE10hipError_tPvRmT0_T1_T2_T3_T4_T5_mmT6_P12ihipStream_tbEUlT_E_NS1_11comp_targetILNS1_3genE5ELNS1_11target_archE942ELNS1_3gpuE9ELNS1_3repE0EEENS1_30default_config_static_selectorELNS0_4arch9wavefront6targetE0EEEvS11_,@function
_ZN7rocprim17ROCPRIM_400000_NS6detail17trampoline_kernelINS0_14default_configENS1_21merge_config_selectorINS0_5tupleIJttEEENS0_10empty_typeEEEZNS1_10merge_implIS3_NS0_12zip_iteratorINS5_IJN6thrust23THRUST_200600_302600_NS6detail15normal_iteratorINSC_10device_ptrIKtEEEESI_EEEEESK_NSA_INS5_IJNSC_16discard_iteratorINSC_11use_defaultEEESN_EEEEEPS7_SQ_SQ_NSC_11hip_rocprim7__merge17predicate_wrapperIttNSC_4lessItEEEEEE10hipError_tPvRmT0_T1_T2_T3_T4_T5_mmT6_P12ihipStream_tbEUlT_E_NS1_11comp_targetILNS1_3genE5ELNS1_11target_archE942ELNS1_3gpuE9ELNS1_3repE0EEENS1_30default_config_static_selectorELNS0_4arch9wavefront6targetE0EEEvS11_: ; @_ZN7rocprim17ROCPRIM_400000_NS6detail17trampoline_kernelINS0_14default_configENS1_21merge_config_selectorINS0_5tupleIJttEEENS0_10empty_typeEEEZNS1_10merge_implIS3_NS0_12zip_iteratorINS5_IJN6thrust23THRUST_200600_302600_NS6detail15normal_iteratorINSC_10device_ptrIKtEEEESI_EEEEESK_NSA_INS5_IJNSC_16discard_iteratorINSC_11use_defaultEEESN_EEEEEPS7_SQ_SQ_NSC_11hip_rocprim7__merge17predicate_wrapperIttNSC_4lessItEEEEEE10hipError_tPvRmT0_T1_T2_T3_T4_T5_mmT6_P12ihipStream_tbEUlT_E_NS1_11comp_targetILNS1_3genE5ELNS1_11target_archE942ELNS1_3gpuE9ELNS1_3repE0EEENS1_30default_config_static_selectorELNS0_4arch9wavefront6targetE0EEEvS11_
; %bb.0:
	.section	.rodata,"a",@progbits
	.p2align	6, 0x0
	.amdhsa_kernel _ZN7rocprim17ROCPRIM_400000_NS6detail17trampoline_kernelINS0_14default_configENS1_21merge_config_selectorINS0_5tupleIJttEEENS0_10empty_typeEEEZNS1_10merge_implIS3_NS0_12zip_iteratorINS5_IJN6thrust23THRUST_200600_302600_NS6detail15normal_iteratorINSC_10device_ptrIKtEEEESI_EEEEESK_NSA_INS5_IJNSC_16discard_iteratorINSC_11use_defaultEEESN_EEEEEPS7_SQ_SQ_NSC_11hip_rocprim7__merge17predicate_wrapperIttNSC_4lessItEEEEEE10hipError_tPvRmT0_T1_T2_T3_T4_T5_mmT6_P12ihipStream_tbEUlT_E_NS1_11comp_targetILNS1_3genE5ELNS1_11target_archE942ELNS1_3gpuE9ELNS1_3repE0EEENS1_30default_config_static_selectorELNS0_4arch9wavefront6targetE0EEEvS11_
		.amdhsa_group_segment_fixed_size 0
		.amdhsa_private_segment_fixed_size 0
		.amdhsa_kernarg_size 64
		.amdhsa_user_sgpr_count 2
		.amdhsa_user_sgpr_dispatch_ptr 0
		.amdhsa_user_sgpr_queue_ptr 0
		.amdhsa_user_sgpr_kernarg_segment_ptr 1
		.amdhsa_user_sgpr_dispatch_id 0
		.amdhsa_user_sgpr_kernarg_preload_length 0
		.amdhsa_user_sgpr_kernarg_preload_offset 0
		.amdhsa_user_sgpr_private_segment_size 0
		.amdhsa_wavefront_size32 1
		.amdhsa_uses_dynamic_stack 0
		.amdhsa_enable_private_segment 0
		.amdhsa_system_sgpr_workgroup_id_x 1
		.amdhsa_system_sgpr_workgroup_id_y 0
		.amdhsa_system_sgpr_workgroup_id_z 0
		.amdhsa_system_sgpr_workgroup_info 0
		.amdhsa_system_vgpr_workitem_id 0
		.amdhsa_next_free_vgpr 1
		.amdhsa_next_free_sgpr 1
		.amdhsa_named_barrier_count 0
		.amdhsa_reserve_vcc 0
		.amdhsa_float_round_mode_32 0
		.amdhsa_float_round_mode_16_64 0
		.amdhsa_float_denorm_mode_32 3
		.amdhsa_float_denorm_mode_16_64 3
		.amdhsa_fp16_overflow 0
		.amdhsa_memory_ordered 1
		.amdhsa_forward_progress 1
		.amdhsa_inst_pref_size 0
		.amdhsa_round_robin_scheduling 0
		.amdhsa_exception_fp_ieee_invalid_op 0
		.amdhsa_exception_fp_denorm_src 0
		.amdhsa_exception_fp_ieee_div_zero 0
		.amdhsa_exception_fp_ieee_overflow 0
		.amdhsa_exception_fp_ieee_underflow 0
		.amdhsa_exception_fp_ieee_inexact 0
		.amdhsa_exception_int_div_zero 0
	.end_amdhsa_kernel
	.section	.text._ZN7rocprim17ROCPRIM_400000_NS6detail17trampoline_kernelINS0_14default_configENS1_21merge_config_selectorINS0_5tupleIJttEEENS0_10empty_typeEEEZNS1_10merge_implIS3_NS0_12zip_iteratorINS5_IJN6thrust23THRUST_200600_302600_NS6detail15normal_iteratorINSC_10device_ptrIKtEEEESI_EEEEESK_NSA_INS5_IJNSC_16discard_iteratorINSC_11use_defaultEEESN_EEEEEPS7_SQ_SQ_NSC_11hip_rocprim7__merge17predicate_wrapperIttNSC_4lessItEEEEEE10hipError_tPvRmT0_T1_T2_T3_T4_T5_mmT6_P12ihipStream_tbEUlT_E_NS1_11comp_targetILNS1_3genE5ELNS1_11target_archE942ELNS1_3gpuE9ELNS1_3repE0EEENS1_30default_config_static_selectorELNS0_4arch9wavefront6targetE0EEEvS11_,"axG",@progbits,_ZN7rocprim17ROCPRIM_400000_NS6detail17trampoline_kernelINS0_14default_configENS1_21merge_config_selectorINS0_5tupleIJttEEENS0_10empty_typeEEEZNS1_10merge_implIS3_NS0_12zip_iteratorINS5_IJN6thrust23THRUST_200600_302600_NS6detail15normal_iteratorINSC_10device_ptrIKtEEEESI_EEEEESK_NSA_INS5_IJNSC_16discard_iteratorINSC_11use_defaultEEESN_EEEEEPS7_SQ_SQ_NSC_11hip_rocprim7__merge17predicate_wrapperIttNSC_4lessItEEEEEE10hipError_tPvRmT0_T1_T2_T3_T4_T5_mmT6_P12ihipStream_tbEUlT_E_NS1_11comp_targetILNS1_3genE5ELNS1_11target_archE942ELNS1_3gpuE9ELNS1_3repE0EEENS1_30default_config_static_selectorELNS0_4arch9wavefront6targetE0EEEvS11_,comdat
.Lfunc_end552:
	.size	_ZN7rocprim17ROCPRIM_400000_NS6detail17trampoline_kernelINS0_14default_configENS1_21merge_config_selectorINS0_5tupleIJttEEENS0_10empty_typeEEEZNS1_10merge_implIS3_NS0_12zip_iteratorINS5_IJN6thrust23THRUST_200600_302600_NS6detail15normal_iteratorINSC_10device_ptrIKtEEEESI_EEEEESK_NSA_INS5_IJNSC_16discard_iteratorINSC_11use_defaultEEESN_EEEEEPS7_SQ_SQ_NSC_11hip_rocprim7__merge17predicate_wrapperIttNSC_4lessItEEEEEE10hipError_tPvRmT0_T1_T2_T3_T4_T5_mmT6_P12ihipStream_tbEUlT_E_NS1_11comp_targetILNS1_3genE5ELNS1_11target_archE942ELNS1_3gpuE9ELNS1_3repE0EEENS1_30default_config_static_selectorELNS0_4arch9wavefront6targetE0EEEvS11_, .Lfunc_end552-_ZN7rocprim17ROCPRIM_400000_NS6detail17trampoline_kernelINS0_14default_configENS1_21merge_config_selectorINS0_5tupleIJttEEENS0_10empty_typeEEEZNS1_10merge_implIS3_NS0_12zip_iteratorINS5_IJN6thrust23THRUST_200600_302600_NS6detail15normal_iteratorINSC_10device_ptrIKtEEEESI_EEEEESK_NSA_INS5_IJNSC_16discard_iteratorINSC_11use_defaultEEESN_EEEEEPS7_SQ_SQ_NSC_11hip_rocprim7__merge17predicate_wrapperIttNSC_4lessItEEEEEE10hipError_tPvRmT0_T1_T2_T3_T4_T5_mmT6_P12ihipStream_tbEUlT_E_NS1_11comp_targetILNS1_3genE5ELNS1_11target_archE942ELNS1_3gpuE9ELNS1_3repE0EEENS1_30default_config_static_selectorELNS0_4arch9wavefront6targetE0EEEvS11_
                                        ; -- End function
	.set _ZN7rocprim17ROCPRIM_400000_NS6detail17trampoline_kernelINS0_14default_configENS1_21merge_config_selectorINS0_5tupleIJttEEENS0_10empty_typeEEEZNS1_10merge_implIS3_NS0_12zip_iteratorINS5_IJN6thrust23THRUST_200600_302600_NS6detail15normal_iteratorINSC_10device_ptrIKtEEEESI_EEEEESK_NSA_INS5_IJNSC_16discard_iteratorINSC_11use_defaultEEESN_EEEEEPS7_SQ_SQ_NSC_11hip_rocprim7__merge17predicate_wrapperIttNSC_4lessItEEEEEE10hipError_tPvRmT0_T1_T2_T3_T4_T5_mmT6_P12ihipStream_tbEUlT_E_NS1_11comp_targetILNS1_3genE5ELNS1_11target_archE942ELNS1_3gpuE9ELNS1_3repE0EEENS1_30default_config_static_selectorELNS0_4arch9wavefront6targetE0EEEvS11_.num_vgpr, 0
	.set _ZN7rocprim17ROCPRIM_400000_NS6detail17trampoline_kernelINS0_14default_configENS1_21merge_config_selectorINS0_5tupleIJttEEENS0_10empty_typeEEEZNS1_10merge_implIS3_NS0_12zip_iteratorINS5_IJN6thrust23THRUST_200600_302600_NS6detail15normal_iteratorINSC_10device_ptrIKtEEEESI_EEEEESK_NSA_INS5_IJNSC_16discard_iteratorINSC_11use_defaultEEESN_EEEEEPS7_SQ_SQ_NSC_11hip_rocprim7__merge17predicate_wrapperIttNSC_4lessItEEEEEE10hipError_tPvRmT0_T1_T2_T3_T4_T5_mmT6_P12ihipStream_tbEUlT_E_NS1_11comp_targetILNS1_3genE5ELNS1_11target_archE942ELNS1_3gpuE9ELNS1_3repE0EEENS1_30default_config_static_selectorELNS0_4arch9wavefront6targetE0EEEvS11_.num_agpr, 0
	.set _ZN7rocprim17ROCPRIM_400000_NS6detail17trampoline_kernelINS0_14default_configENS1_21merge_config_selectorINS0_5tupleIJttEEENS0_10empty_typeEEEZNS1_10merge_implIS3_NS0_12zip_iteratorINS5_IJN6thrust23THRUST_200600_302600_NS6detail15normal_iteratorINSC_10device_ptrIKtEEEESI_EEEEESK_NSA_INS5_IJNSC_16discard_iteratorINSC_11use_defaultEEESN_EEEEEPS7_SQ_SQ_NSC_11hip_rocprim7__merge17predicate_wrapperIttNSC_4lessItEEEEEE10hipError_tPvRmT0_T1_T2_T3_T4_T5_mmT6_P12ihipStream_tbEUlT_E_NS1_11comp_targetILNS1_3genE5ELNS1_11target_archE942ELNS1_3gpuE9ELNS1_3repE0EEENS1_30default_config_static_selectorELNS0_4arch9wavefront6targetE0EEEvS11_.numbered_sgpr, 0
	.set _ZN7rocprim17ROCPRIM_400000_NS6detail17trampoline_kernelINS0_14default_configENS1_21merge_config_selectorINS0_5tupleIJttEEENS0_10empty_typeEEEZNS1_10merge_implIS3_NS0_12zip_iteratorINS5_IJN6thrust23THRUST_200600_302600_NS6detail15normal_iteratorINSC_10device_ptrIKtEEEESI_EEEEESK_NSA_INS5_IJNSC_16discard_iteratorINSC_11use_defaultEEESN_EEEEEPS7_SQ_SQ_NSC_11hip_rocprim7__merge17predicate_wrapperIttNSC_4lessItEEEEEE10hipError_tPvRmT0_T1_T2_T3_T4_T5_mmT6_P12ihipStream_tbEUlT_E_NS1_11comp_targetILNS1_3genE5ELNS1_11target_archE942ELNS1_3gpuE9ELNS1_3repE0EEENS1_30default_config_static_selectorELNS0_4arch9wavefront6targetE0EEEvS11_.num_named_barrier, 0
	.set _ZN7rocprim17ROCPRIM_400000_NS6detail17trampoline_kernelINS0_14default_configENS1_21merge_config_selectorINS0_5tupleIJttEEENS0_10empty_typeEEEZNS1_10merge_implIS3_NS0_12zip_iteratorINS5_IJN6thrust23THRUST_200600_302600_NS6detail15normal_iteratorINSC_10device_ptrIKtEEEESI_EEEEESK_NSA_INS5_IJNSC_16discard_iteratorINSC_11use_defaultEEESN_EEEEEPS7_SQ_SQ_NSC_11hip_rocprim7__merge17predicate_wrapperIttNSC_4lessItEEEEEE10hipError_tPvRmT0_T1_T2_T3_T4_T5_mmT6_P12ihipStream_tbEUlT_E_NS1_11comp_targetILNS1_3genE5ELNS1_11target_archE942ELNS1_3gpuE9ELNS1_3repE0EEENS1_30default_config_static_selectorELNS0_4arch9wavefront6targetE0EEEvS11_.private_seg_size, 0
	.set _ZN7rocprim17ROCPRIM_400000_NS6detail17trampoline_kernelINS0_14default_configENS1_21merge_config_selectorINS0_5tupleIJttEEENS0_10empty_typeEEEZNS1_10merge_implIS3_NS0_12zip_iteratorINS5_IJN6thrust23THRUST_200600_302600_NS6detail15normal_iteratorINSC_10device_ptrIKtEEEESI_EEEEESK_NSA_INS5_IJNSC_16discard_iteratorINSC_11use_defaultEEESN_EEEEEPS7_SQ_SQ_NSC_11hip_rocprim7__merge17predicate_wrapperIttNSC_4lessItEEEEEE10hipError_tPvRmT0_T1_T2_T3_T4_T5_mmT6_P12ihipStream_tbEUlT_E_NS1_11comp_targetILNS1_3genE5ELNS1_11target_archE942ELNS1_3gpuE9ELNS1_3repE0EEENS1_30default_config_static_selectorELNS0_4arch9wavefront6targetE0EEEvS11_.uses_vcc, 0
	.set _ZN7rocprim17ROCPRIM_400000_NS6detail17trampoline_kernelINS0_14default_configENS1_21merge_config_selectorINS0_5tupleIJttEEENS0_10empty_typeEEEZNS1_10merge_implIS3_NS0_12zip_iteratorINS5_IJN6thrust23THRUST_200600_302600_NS6detail15normal_iteratorINSC_10device_ptrIKtEEEESI_EEEEESK_NSA_INS5_IJNSC_16discard_iteratorINSC_11use_defaultEEESN_EEEEEPS7_SQ_SQ_NSC_11hip_rocprim7__merge17predicate_wrapperIttNSC_4lessItEEEEEE10hipError_tPvRmT0_T1_T2_T3_T4_T5_mmT6_P12ihipStream_tbEUlT_E_NS1_11comp_targetILNS1_3genE5ELNS1_11target_archE942ELNS1_3gpuE9ELNS1_3repE0EEENS1_30default_config_static_selectorELNS0_4arch9wavefront6targetE0EEEvS11_.uses_flat_scratch, 0
	.set _ZN7rocprim17ROCPRIM_400000_NS6detail17trampoline_kernelINS0_14default_configENS1_21merge_config_selectorINS0_5tupleIJttEEENS0_10empty_typeEEEZNS1_10merge_implIS3_NS0_12zip_iteratorINS5_IJN6thrust23THRUST_200600_302600_NS6detail15normal_iteratorINSC_10device_ptrIKtEEEESI_EEEEESK_NSA_INS5_IJNSC_16discard_iteratorINSC_11use_defaultEEESN_EEEEEPS7_SQ_SQ_NSC_11hip_rocprim7__merge17predicate_wrapperIttNSC_4lessItEEEEEE10hipError_tPvRmT0_T1_T2_T3_T4_T5_mmT6_P12ihipStream_tbEUlT_E_NS1_11comp_targetILNS1_3genE5ELNS1_11target_archE942ELNS1_3gpuE9ELNS1_3repE0EEENS1_30default_config_static_selectorELNS0_4arch9wavefront6targetE0EEEvS11_.has_dyn_sized_stack, 0
	.set _ZN7rocprim17ROCPRIM_400000_NS6detail17trampoline_kernelINS0_14default_configENS1_21merge_config_selectorINS0_5tupleIJttEEENS0_10empty_typeEEEZNS1_10merge_implIS3_NS0_12zip_iteratorINS5_IJN6thrust23THRUST_200600_302600_NS6detail15normal_iteratorINSC_10device_ptrIKtEEEESI_EEEEESK_NSA_INS5_IJNSC_16discard_iteratorINSC_11use_defaultEEESN_EEEEEPS7_SQ_SQ_NSC_11hip_rocprim7__merge17predicate_wrapperIttNSC_4lessItEEEEEE10hipError_tPvRmT0_T1_T2_T3_T4_T5_mmT6_P12ihipStream_tbEUlT_E_NS1_11comp_targetILNS1_3genE5ELNS1_11target_archE942ELNS1_3gpuE9ELNS1_3repE0EEENS1_30default_config_static_selectorELNS0_4arch9wavefront6targetE0EEEvS11_.has_recursion, 0
	.set _ZN7rocprim17ROCPRIM_400000_NS6detail17trampoline_kernelINS0_14default_configENS1_21merge_config_selectorINS0_5tupleIJttEEENS0_10empty_typeEEEZNS1_10merge_implIS3_NS0_12zip_iteratorINS5_IJN6thrust23THRUST_200600_302600_NS6detail15normal_iteratorINSC_10device_ptrIKtEEEESI_EEEEESK_NSA_INS5_IJNSC_16discard_iteratorINSC_11use_defaultEEESN_EEEEEPS7_SQ_SQ_NSC_11hip_rocprim7__merge17predicate_wrapperIttNSC_4lessItEEEEEE10hipError_tPvRmT0_T1_T2_T3_T4_T5_mmT6_P12ihipStream_tbEUlT_E_NS1_11comp_targetILNS1_3genE5ELNS1_11target_archE942ELNS1_3gpuE9ELNS1_3repE0EEENS1_30default_config_static_selectorELNS0_4arch9wavefront6targetE0EEEvS11_.has_indirect_call, 0
	.section	.AMDGPU.csdata,"",@progbits
; Kernel info:
; codeLenInByte = 0
; TotalNumSgprs: 0
; NumVgprs: 0
; ScratchSize: 0
; MemoryBound: 0
; FloatMode: 240
; IeeeMode: 1
; LDSByteSize: 0 bytes/workgroup (compile time only)
; SGPRBlocks: 0
; VGPRBlocks: 0
; NumSGPRsForWavesPerEU: 1
; NumVGPRsForWavesPerEU: 1
; NamedBarCnt: 0
; Occupancy: 16
; WaveLimiterHint : 0
; COMPUTE_PGM_RSRC2:SCRATCH_EN: 0
; COMPUTE_PGM_RSRC2:USER_SGPR: 2
; COMPUTE_PGM_RSRC2:TRAP_HANDLER: 0
; COMPUTE_PGM_RSRC2:TGID_X_EN: 1
; COMPUTE_PGM_RSRC2:TGID_Y_EN: 0
; COMPUTE_PGM_RSRC2:TGID_Z_EN: 0
; COMPUTE_PGM_RSRC2:TIDIG_COMP_CNT: 0
	.section	.text._ZN7rocprim17ROCPRIM_400000_NS6detail17trampoline_kernelINS0_14default_configENS1_21merge_config_selectorINS0_5tupleIJttEEENS0_10empty_typeEEEZNS1_10merge_implIS3_NS0_12zip_iteratorINS5_IJN6thrust23THRUST_200600_302600_NS6detail15normal_iteratorINSC_10device_ptrIKtEEEESI_EEEEESK_NSA_INS5_IJNSC_16discard_iteratorINSC_11use_defaultEEESN_EEEEEPS7_SQ_SQ_NSC_11hip_rocprim7__merge17predicate_wrapperIttNSC_4lessItEEEEEE10hipError_tPvRmT0_T1_T2_T3_T4_T5_mmT6_P12ihipStream_tbEUlT_E_NS1_11comp_targetILNS1_3genE4ELNS1_11target_archE910ELNS1_3gpuE8ELNS1_3repE0EEENS1_30default_config_static_selectorELNS0_4arch9wavefront6targetE0EEEvS11_,"axG",@progbits,_ZN7rocprim17ROCPRIM_400000_NS6detail17trampoline_kernelINS0_14default_configENS1_21merge_config_selectorINS0_5tupleIJttEEENS0_10empty_typeEEEZNS1_10merge_implIS3_NS0_12zip_iteratorINS5_IJN6thrust23THRUST_200600_302600_NS6detail15normal_iteratorINSC_10device_ptrIKtEEEESI_EEEEESK_NSA_INS5_IJNSC_16discard_iteratorINSC_11use_defaultEEESN_EEEEEPS7_SQ_SQ_NSC_11hip_rocprim7__merge17predicate_wrapperIttNSC_4lessItEEEEEE10hipError_tPvRmT0_T1_T2_T3_T4_T5_mmT6_P12ihipStream_tbEUlT_E_NS1_11comp_targetILNS1_3genE4ELNS1_11target_archE910ELNS1_3gpuE8ELNS1_3repE0EEENS1_30default_config_static_selectorELNS0_4arch9wavefront6targetE0EEEvS11_,comdat
	.protected	_ZN7rocprim17ROCPRIM_400000_NS6detail17trampoline_kernelINS0_14default_configENS1_21merge_config_selectorINS0_5tupleIJttEEENS0_10empty_typeEEEZNS1_10merge_implIS3_NS0_12zip_iteratorINS5_IJN6thrust23THRUST_200600_302600_NS6detail15normal_iteratorINSC_10device_ptrIKtEEEESI_EEEEESK_NSA_INS5_IJNSC_16discard_iteratorINSC_11use_defaultEEESN_EEEEEPS7_SQ_SQ_NSC_11hip_rocprim7__merge17predicate_wrapperIttNSC_4lessItEEEEEE10hipError_tPvRmT0_T1_T2_T3_T4_T5_mmT6_P12ihipStream_tbEUlT_E_NS1_11comp_targetILNS1_3genE4ELNS1_11target_archE910ELNS1_3gpuE8ELNS1_3repE0EEENS1_30default_config_static_selectorELNS0_4arch9wavefront6targetE0EEEvS11_ ; -- Begin function _ZN7rocprim17ROCPRIM_400000_NS6detail17trampoline_kernelINS0_14default_configENS1_21merge_config_selectorINS0_5tupleIJttEEENS0_10empty_typeEEEZNS1_10merge_implIS3_NS0_12zip_iteratorINS5_IJN6thrust23THRUST_200600_302600_NS6detail15normal_iteratorINSC_10device_ptrIKtEEEESI_EEEEESK_NSA_INS5_IJNSC_16discard_iteratorINSC_11use_defaultEEESN_EEEEEPS7_SQ_SQ_NSC_11hip_rocprim7__merge17predicate_wrapperIttNSC_4lessItEEEEEE10hipError_tPvRmT0_T1_T2_T3_T4_T5_mmT6_P12ihipStream_tbEUlT_E_NS1_11comp_targetILNS1_3genE4ELNS1_11target_archE910ELNS1_3gpuE8ELNS1_3repE0EEENS1_30default_config_static_selectorELNS0_4arch9wavefront6targetE0EEEvS11_
	.globl	_ZN7rocprim17ROCPRIM_400000_NS6detail17trampoline_kernelINS0_14default_configENS1_21merge_config_selectorINS0_5tupleIJttEEENS0_10empty_typeEEEZNS1_10merge_implIS3_NS0_12zip_iteratorINS5_IJN6thrust23THRUST_200600_302600_NS6detail15normal_iteratorINSC_10device_ptrIKtEEEESI_EEEEESK_NSA_INS5_IJNSC_16discard_iteratorINSC_11use_defaultEEESN_EEEEEPS7_SQ_SQ_NSC_11hip_rocprim7__merge17predicate_wrapperIttNSC_4lessItEEEEEE10hipError_tPvRmT0_T1_T2_T3_T4_T5_mmT6_P12ihipStream_tbEUlT_E_NS1_11comp_targetILNS1_3genE4ELNS1_11target_archE910ELNS1_3gpuE8ELNS1_3repE0EEENS1_30default_config_static_selectorELNS0_4arch9wavefront6targetE0EEEvS11_
	.p2align	8
	.type	_ZN7rocprim17ROCPRIM_400000_NS6detail17trampoline_kernelINS0_14default_configENS1_21merge_config_selectorINS0_5tupleIJttEEENS0_10empty_typeEEEZNS1_10merge_implIS3_NS0_12zip_iteratorINS5_IJN6thrust23THRUST_200600_302600_NS6detail15normal_iteratorINSC_10device_ptrIKtEEEESI_EEEEESK_NSA_INS5_IJNSC_16discard_iteratorINSC_11use_defaultEEESN_EEEEEPS7_SQ_SQ_NSC_11hip_rocprim7__merge17predicate_wrapperIttNSC_4lessItEEEEEE10hipError_tPvRmT0_T1_T2_T3_T4_T5_mmT6_P12ihipStream_tbEUlT_E_NS1_11comp_targetILNS1_3genE4ELNS1_11target_archE910ELNS1_3gpuE8ELNS1_3repE0EEENS1_30default_config_static_selectorELNS0_4arch9wavefront6targetE0EEEvS11_,@function
_ZN7rocprim17ROCPRIM_400000_NS6detail17trampoline_kernelINS0_14default_configENS1_21merge_config_selectorINS0_5tupleIJttEEENS0_10empty_typeEEEZNS1_10merge_implIS3_NS0_12zip_iteratorINS5_IJN6thrust23THRUST_200600_302600_NS6detail15normal_iteratorINSC_10device_ptrIKtEEEESI_EEEEESK_NSA_INS5_IJNSC_16discard_iteratorINSC_11use_defaultEEESN_EEEEEPS7_SQ_SQ_NSC_11hip_rocprim7__merge17predicate_wrapperIttNSC_4lessItEEEEEE10hipError_tPvRmT0_T1_T2_T3_T4_T5_mmT6_P12ihipStream_tbEUlT_E_NS1_11comp_targetILNS1_3genE4ELNS1_11target_archE910ELNS1_3gpuE8ELNS1_3repE0EEENS1_30default_config_static_selectorELNS0_4arch9wavefront6targetE0EEEvS11_: ; @_ZN7rocprim17ROCPRIM_400000_NS6detail17trampoline_kernelINS0_14default_configENS1_21merge_config_selectorINS0_5tupleIJttEEENS0_10empty_typeEEEZNS1_10merge_implIS3_NS0_12zip_iteratorINS5_IJN6thrust23THRUST_200600_302600_NS6detail15normal_iteratorINSC_10device_ptrIKtEEEESI_EEEEESK_NSA_INS5_IJNSC_16discard_iteratorINSC_11use_defaultEEESN_EEEEEPS7_SQ_SQ_NSC_11hip_rocprim7__merge17predicate_wrapperIttNSC_4lessItEEEEEE10hipError_tPvRmT0_T1_T2_T3_T4_T5_mmT6_P12ihipStream_tbEUlT_E_NS1_11comp_targetILNS1_3genE4ELNS1_11target_archE910ELNS1_3gpuE8ELNS1_3repE0EEENS1_30default_config_static_selectorELNS0_4arch9wavefront6targetE0EEEvS11_
; %bb.0:
	.section	.rodata,"a",@progbits
	.p2align	6, 0x0
	.amdhsa_kernel _ZN7rocprim17ROCPRIM_400000_NS6detail17trampoline_kernelINS0_14default_configENS1_21merge_config_selectorINS0_5tupleIJttEEENS0_10empty_typeEEEZNS1_10merge_implIS3_NS0_12zip_iteratorINS5_IJN6thrust23THRUST_200600_302600_NS6detail15normal_iteratorINSC_10device_ptrIKtEEEESI_EEEEESK_NSA_INS5_IJNSC_16discard_iteratorINSC_11use_defaultEEESN_EEEEEPS7_SQ_SQ_NSC_11hip_rocprim7__merge17predicate_wrapperIttNSC_4lessItEEEEEE10hipError_tPvRmT0_T1_T2_T3_T4_T5_mmT6_P12ihipStream_tbEUlT_E_NS1_11comp_targetILNS1_3genE4ELNS1_11target_archE910ELNS1_3gpuE8ELNS1_3repE0EEENS1_30default_config_static_selectorELNS0_4arch9wavefront6targetE0EEEvS11_
		.amdhsa_group_segment_fixed_size 0
		.amdhsa_private_segment_fixed_size 0
		.amdhsa_kernarg_size 64
		.amdhsa_user_sgpr_count 2
		.amdhsa_user_sgpr_dispatch_ptr 0
		.amdhsa_user_sgpr_queue_ptr 0
		.amdhsa_user_sgpr_kernarg_segment_ptr 1
		.amdhsa_user_sgpr_dispatch_id 0
		.amdhsa_user_sgpr_kernarg_preload_length 0
		.amdhsa_user_sgpr_kernarg_preload_offset 0
		.amdhsa_user_sgpr_private_segment_size 0
		.amdhsa_wavefront_size32 1
		.amdhsa_uses_dynamic_stack 0
		.amdhsa_enable_private_segment 0
		.amdhsa_system_sgpr_workgroup_id_x 1
		.amdhsa_system_sgpr_workgroup_id_y 0
		.amdhsa_system_sgpr_workgroup_id_z 0
		.amdhsa_system_sgpr_workgroup_info 0
		.amdhsa_system_vgpr_workitem_id 0
		.amdhsa_next_free_vgpr 1
		.amdhsa_next_free_sgpr 1
		.amdhsa_named_barrier_count 0
		.amdhsa_reserve_vcc 0
		.amdhsa_float_round_mode_32 0
		.amdhsa_float_round_mode_16_64 0
		.amdhsa_float_denorm_mode_32 3
		.amdhsa_float_denorm_mode_16_64 3
		.amdhsa_fp16_overflow 0
		.amdhsa_memory_ordered 1
		.amdhsa_forward_progress 1
		.amdhsa_inst_pref_size 0
		.amdhsa_round_robin_scheduling 0
		.amdhsa_exception_fp_ieee_invalid_op 0
		.amdhsa_exception_fp_denorm_src 0
		.amdhsa_exception_fp_ieee_div_zero 0
		.amdhsa_exception_fp_ieee_overflow 0
		.amdhsa_exception_fp_ieee_underflow 0
		.amdhsa_exception_fp_ieee_inexact 0
		.amdhsa_exception_int_div_zero 0
	.end_amdhsa_kernel
	.section	.text._ZN7rocprim17ROCPRIM_400000_NS6detail17trampoline_kernelINS0_14default_configENS1_21merge_config_selectorINS0_5tupleIJttEEENS0_10empty_typeEEEZNS1_10merge_implIS3_NS0_12zip_iteratorINS5_IJN6thrust23THRUST_200600_302600_NS6detail15normal_iteratorINSC_10device_ptrIKtEEEESI_EEEEESK_NSA_INS5_IJNSC_16discard_iteratorINSC_11use_defaultEEESN_EEEEEPS7_SQ_SQ_NSC_11hip_rocprim7__merge17predicate_wrapperIttNSC_4lessItEEEEEE10hipError_tPvRmT0_T1_T2_T3_T4_T5_mmT6_P12ihipStream_tbEUlT_E_NS1_11comp_targetILNS1_3genE4ELNS1_11target_archE910ELNS1_3gpuE8ELNS1_3repE0EEENS1_30default_config_static_selectorELNS0_4arch9wavefront6targetE0EEEvS11_,"axG",@progbits,_ZN7rocprim17ROCPRIM_400000_NS6detail17trampoline_kernelINS0_14default_configENS1_21merge_config_selectorINS0_5tupleIJttEEENS0_10empty_typeEEEZNS1_10merge_implIS3_NS0_12zip_iteratorINS5_IJN6thrust23THRUST_200600_302600_NS6detail15normal_iteratorINSC_10device_ptrIKtEEEESI_EEEEESK_NSA_INS5_IJNSC_16discard_iteratorINSC_11use_defaultEEESN_EEEEEPS7_SQ_SQ_NSC_11hip_rocprim7__merge17predicate_wrapperIttNSC_4lessItEEEEEE10hipError_tPvRmT0_T1_T2_T3_T4_T5_mmT6_P12ihipStream_tbEUlT_E_NS1_11comp_targetILNS1_3genE4ELNS1_11target_archE910ELNS1_3gpuE8ELNS1_3repE0EEENS1_30default_config_static_selectorELNS0_4arch9wavefront6targetE0EEEvS11_,comdat
.Lfunc_end553:
	.size	_ZN7rocprim17ROCPRIM_400000_NS6detail17trampoline_kernelINS0_14default_configENS1_21merge_config_selectorINS0_5tupleIJttEEENS0_10empty_typeEEEZNS1_10merge_implIS3_NS0_12zip_iteratorINS5_IJN6thrust23THRUST_200600_302600_NS6detail15normal_iteratorINSC_10device_ptrIKtEEEESI_EEEEESK_NSA_INS5_IJNSC_16discard_iteratorINSC_11use_defaultEEESN_EEEEEPS7_SQ_SQ_NSC_11hip_rocprim7__merge17predicate_wrapperIttNSC_4lessItEEEEEE10hipError_tPvRmT0_T1_T2_T3_T4_T5_mmT6_P12ihipStream_tbEUlT_E_NS1_11comp_targetILNS1_3genE4ELNS1_11target_archE910ELNS1_3gpuE8ELNS1_3repE0EEENS1_30default_config_static_selectorELNS0_4arch9wavefront6targetE0EEEvS11_, .Lfunc_end553-_ZN7rocprim17ROCPRIM_400000_NS6detail17trampoline_kernelINS0_14default_configENS1_21merge_config_selectorINS0_5tupleIJttEEENS0_10empty_typeEEEZNS1_10merge_implIS3_NS0_12zip_iteratorINS5_IJN6thrust23THRUST_200600_302600_NS6detail15normal_iteratorINSC_10device_ptrIKtEEEESI_EEEEESK_NSA_INS5_IJNSC_16discard_iteratorINSC_11use_defaultEEESN_EEEEEPS7_SQ_SQ_NSC_11hip_rocprim7__merge17predicate_wrapperIttNSC_4lessItEEEEEE10hipError_tPvRmT0_T1_T2_T3_T4_T5_mmT6_P12ihipStream_tbEUlT_E_NS1_11comp_targetILNS1_3genE4ELNS1_11target_archE910ELNS1_3gpuE8ELNS1_3repE0EEENS1_30default_config_static_selectorELNS0_4arch9wavefront6targetE0EEEvS11_
                                        ; -- End function
	.set _ZN7rocprim17ROCPRIM_400000_NS6detail17trampoline_kernelINS0_14default_configENS1_21merge_config_selectorINS0_5tupleIJttEEENS0_10empty_typeEEEZNS1_10merge_implIS3_NS0_12zip_iteratorINS5_IJN6thrust23THRUST_200600_302600_NS6detail15normal_iteratorINSC_10device_ptrIKtEEEESI_EEEEESK_NSA_INS5_IJNSC_16discard_iteratorINSC_11use_defaultEEESN_EEEEEPS7_SQ_SQ_NSC_11hip_rocprim7__merge17predicate_wrapperIttNSC_4lessItEEEEEE10hipError_tPvRmT0_T1_T2_T3_T4_T5_mmT6_P12ihipStream_tbEUlT_E_NS1_11comp_targetILNS1_3genE4ELNS1_11target_archE910ELNS1_3gpuE8ELNS1_3repE0EEENS1_30default_config_static_selectorELNS0_4arch9wavefront6targetE0EEEvS11_.num_vgpr, 0
	.set _ZN7rocprim17ROCPRIM_400000_NS6detail17trampoline_kernelINS0_14default_configENS1_21merge_config_selectorINS0_5tupleIJttEEENS0_10empty_typeEEEZNS1_10merge_implIS3_NS0_12zip_iteratorINS5_IJN6thrust23THRUST_200600_302600_NS6detail15normal_iteratorINSC_10device_ptrIKtEEEESI_EEEEESK_NSA_INS5_IJNSC_16discard_iteratorINSC_11use_defaultEEESN_EEEEEPS7_SQ_SQ_NSC_11hip_rocprim7__merge17predicate_wrapperIttNSC_4lessItEEEEEE10hipError_tPvRmT0_T1_T2_T3_T4_T5_mmT6_P12ihipStream_tbEUlT_E_NS1_11comp_targetILNS1_3genE4ELNS1_11target_archE910ELNS1_3gpuE8ELNS1_3repE0EEENS1_30default_config_static_selectorELNS0_4arch9wavefront6targetE0EEEvS11_.num_agpr, 0
	.set _ZN7rocprim17ROCPRIM_400000_NS6detail17trampoline_kernelINS0_14default_configENS1_21merge_config_selectorINS0_5tupleIJttEEENS0_10empty_typeEEEZNS1_10merge_implIS3_NS0_12zip_iteratorINS5_IJN6thrust23THRUST_200600_302600_NS6detail15normal_iteratorINSC_10device_ptrIKtEEEESI_EEEEESK_NSA_INS5_IJNSC_16discard_iteratorINSC_11use_defaultEEESN_EEEEEPS7_SQ_SQ_NSC_11hip_rocprim7__merge17predicate_wrapperIttNSC_4lessItEEEEEE10hipError_tPvRmT0_T1_T2_T3_T4_T5_mmT6_P12ihipStream_tbEUlT_E_NS1_11comp_targetILNS1_3genE4ELNS1_11target_archE910ELNS1_3gpuE8ELNS1_3repE0EEENS1_30default_config_static_selectorELNS0_4arch9wavefront6targetE0EEEvS11_.numbered_sgpr, 0
	.set _ZN7rocprim17ROCPRIM_400000_NS6detail17trampoline_kernelINS0_14default_configENS1_21merge_config_selectorINS0_5tupleIJttEEENS0_10empty_typeEEEZNS1_10merge_implIS3_NS0_12zip_iteratorINS5_IJN6thrust23THRUST_200600_302600_NS6detail15normal_iteratorINSC_10device_ptrIKtEEEESI_EEEEESK_NSA_INS5_IJNSC_16discard_iteratorINSC_11use_defaultEEESN_EEEEEPS7_SQ_SQ_NSC_11hip_rocprim7__merge17predicate_wrapperIttNSC_4lessItEEEEEE10hipError_tPvRmT0_T1_T2_T3_T4_T5_mmT6_P12ihipStream_tbEUlT_E_NS1_11comp_targetILNS1_3genE4ELNS1_11target_archE910ELNS1_3gpuE8ELNS1_3repE0EEENS1_30default_config_static_selectorELNS0_4arch9wavefront6targetE0EEEvS11_.num_named_barrier, 0
	.set _ZN7rocprim17ROCPRIM_400000_NS6detail17trampoline_kernelINS0_14default_configENS1_21merge_config_selectorINS0_5tupleIJttEEENS0_10empty_typeEEEZNS1_10merge_implIS3_NS0_12zip_iteratorINS5_IJN6thrust23THRUST_200600_302600_NS6detail15normal_iteratorINSC_10device_ptrIKtEEEESI_EEEEESK_NSA_INS5_IJNSC_16discard_iteratorINSC_11use_defaultEEESN_EEEEEPS7_SQ_SQ_NSC_11hip_rocprim7__merge17predicate_wrapperIttNSC_4lessItEEEEEE10hipError_tPvRmT0_T1_T2_T3_T4_T5_mmT6_P12ihipStream_tbEUlT_E_NS1_11comp_targetILNS1_3genE4ELNS1_11target_archE910ELNS1_3gpuE8ELNS1_3repE0EEENS1_30default_config_static_selectorELNS0_4arch9wavefront6targetE0EEEvS11_.private_seg_size, 0
	.set _ZN7rocprim17ROCPRIM_400000_NS6detail17trampoline_kernelINS0_14default_configENS1_21merge_config_selectorINS0_5tupleIJttEEENS0_10empty_typeEEEZNS1_10merge_implIS3_NS0_12zip_iteratorINS5_IJN6thrust23THRUST_200600_302600_NS6detail15normal_iteratorINSC_10device_ptrIKtEEEESI_EEEEESK_NSA_INS5_IJNSC_16discard_iteratorINSC_11use_defaultEEESN_EEEEEPS7_SQ_SQ_NSC_11hip_rocprim7__merge17predicate_wrapperIttNSC_4lessItEEEEEE10hipError_tPvRmT0_T1_T2_T3_T4_T5_mmT6_P12ihipStream_tbEUlT_E_NS1_11comp_targetILNS1_3genE4ELNS1_11target_archE910ELNS1_3gpuE8ELNS1_3repE0EEENS1_30default_config_static_selectorELNS0_4arch9wavefront6targetE0EEEvS11_.uses_vcc, 0
	.set _ZN7rocprim17ROCPRIM_400000_NS6detail17trampoline_kernelINS0_14default_configENS1_21merge_config_selectorINS0_5tupleIJttEEENS0_10empty_typeEEEZNS1_10merge_implIS3_NS0_12zip_iteratorINS5_IJN6thrust23THRUST_200600_302600_NS6detail15normal_iteratorINSC_10device_ptrIKtEEEESI_EEEEESK_NSA_INS5_IJNSC_16discard_iteratorINSC_11use_defaultEEESN_EEEEEPS7_SQ_SQ_NSC_11hip_rocprim7__merge17predicate_wrapperIttNSC_4lessItEEEEEE10hipError_tPvRmT0_T1_T2_T3_T4_T5_mmT6_P12ihipStream_tbEUlT_E_NS1_11comp_targetILNS1_3genE4ELNS1_11target_archE910ELNS1_3gpuE8ELNS1_3repE0EEENS1_30default_config_static_selectorELNS0_4arch9wavefront6targetE0EEEvS11_.uses_flat_scratch, 0
	.set _ZN7rocprim17ROCPRIM_400000_NS6detail17trampoline_kernelINS0_14default_configENS1_21merge_config_selectorINS0_5tupleIJttEEENS0_10empty_typeEEEZNS1_10merge_implIS3_NS0_12zip_iteratorINS5_IJN6thrust23THRUST_200600_302600_NS6detail15normal_iteratorINSC_10device_ptrIKtEEEESI_EEEEESK_NSA_INS5_IJNSC_16discard_iteratorINSC_11use_defaultEEESN_EEEEEPS7_SQ_SQ_NSC_11hip_rocprim7__merge17predicate_wrapperIttNSC_4lessItEEEEEE10hipError_tPvRmT0_T1_T2_T3_T4_T5_mmT6_P12ihipStream_tbEUlT_E_NS1_11comp_targetILNS1_3genE4ELNS1_11target_archE910ELNS1_3gpuE8ELNS1_3repE0EEENS1_30default_config_static_selectorELNS0_4arch9wavefront6targetE0EEEvS11_.has_dyn_sized_stack, 0
	.set _ZN7rocprim17ROCPRIM_400000_NS6detail17trampoline_kernelINS0_14default_configENS1_21merge_config_selectorINS0_5tupleIJttEEENS0_10empty_typeEEEZNS1_10merge_implIS3_NS0_12zip_iteratorINS5_IJN6thrust23THRUST_200600_302600_NS6detail15normal_iteratorINSC_10device_ptrIKtEEEESI_EEEEESK_NSA_INS5_IJNSC_16discard_iteratorINSC_11use_defaultEEESN_EEEEEPS7_SQ_SQ_NSC_11hip_rocprim7__merge17predicate_wrapperIttNSC_4lessItEEEEEE10hipError_tPvRmT0_T1_T2_T3_T4_T5_mmT6_P12ihipStream_tbEUlT_E_NS1_11comp_targetILNS1_3genE4ELNS1_11target_archE910ELNS1_3gpuE8ELNS1_3repE0EEENS1_30default_config_static_selectorELNS0_4arch9wavefront6targetE0EEEvS11_.has_recursion, 0
	.set _ZN7rocprim17ROCPRIM_400000_NS6detail17trampoline_kernelINS0_14default_configENS1_21merge_config_selectorINS0_5tupleIJttEEENS0_10empty_typeEEEZNS1_10merge_implIS3_NS0_12zip_iteratorINS5_IJN6thrust23THRUST_200600_302600_NS6detail15normal_iteratorINSC_10device_ptrIKtEEEESI_EEEEESK_NSA_INS5_IJNSC_16discard_iteratorINSC_11use_defaultEEESN_EEEEEPS7_SQ_SQ_NSC_11hip_rocprim7__merge17predicate_wrapperIttNSC_4lessItEEEEEE10hipError_tPvRmT0_T1_T2_T3_T4_T5_mmT6_P12ihipStream_tbEUlT_E_NS1_11comp_targetILNS1_3genE4ELNS1_11target_archE910ELNS1_3gpuE8ELNS1_3repE0EEENS1_30default_config_static_selectorELNS0_4arch9wavefront6targetE0EEEvS11_.has_indirect_call, 0
	.section	.AMDGPU.csdata,"",@progbits
; Kernel info:
; codeLenInByte = 0
; TotalNumSgprs: 0
; NumVgprs: 0
; ScratchSize: 0
; MemoryBound: 0
; FloatMode: 240
; IeeeMode: 1
; LDSByteSize: 0 bytes/workgroup (compile time only)
; SGPRBlocks: 0
; VGPRBlocks: 0
; NumSGPRsForWavesPerEU: 1
; NumVGPRsForWavesPerEU: 1
; NamedBarCnt: 0
; Occupancy: 16
; WaveLimiterHint : 0
; COMPUTE_PGM_RSRC2:SCRATCH_EN: 0
; COMPUTE_PGM_RSRC2:USER_SGPR: 2
; COMPUTE_PGM_RSRC2:TRAP_HANDLER: 0
; COMPUTE_PGM_RSRC2:TGID_X_EN: 1
; COMPUTE_PGM_RSRC2:TGID_Y_EN: 0
; COMPUTE_PGM_RSRC2:TGID_Z_EN: 0
; COMPUTE_PGM_RSRC2:TIDIG_COMP_CNT: 0
	.section	.text._ZN7rocprim17ROCPRIM_400000_NS6detail17trampoline_kernelINS0_14default_configENS1_21merge_config_selectorINS0_5tupleIJttEEENS0_10empty_typeEEEZNS1_10merge_implIS3_NS0_12zip_iteratorINS5_IJN6thrust23THRUST_200600_302600_NS6detail15normal_iteratorINSC_10device_ptrIKtEEEESI_EEEEESK_NSA_INS5_IJNSC_16discard_iteratorINSC_11use_defaultEEESN_EEEEEPS7_SQ_SQ_NSC_11hip_rocprim7__merge17predicate_wrapperIttNSC_4lessItEEEEEE10hipError_tPvRmT0_T1_T2_T3_T4_T5_mmT6_P12ihipStream_tbEUlT_E_NS1_11comp_targetILNS1_3genE3ELNS1_11target_archE908ELNS1_3gpuE7ELNS1_3repE0EEENS1_30default_config_static_selectorELNS0_4arch9wavefront6targetE0EEEvS11_,"axG",@progbits,_ZN7rocprim17ROCPRIM_400000_NS6detail17trampoline_kernelINS0_14default_configENS1_21merge_config_selectorINS0_5tupleIJttEEENS0_10empty_typeEEEZNS1_10merge_implIS3_NS0_12zip_iteratorINS5_IJN6thrust23THRUST_200600_302600_NS6detail15normal_iteratorINSC_10device_ptrIKtEEEESI_EEEEESK_NSA_INS5_IJNSC_16discard_iteratorINSC_11use_defaultEEESN_EEEEEPS7_SQ_SQ_NSC_11hip_rocprim7__merge17predicate_wrapperIttNSC_4lessItEEEEEE10hipError_tPvRmT0_T1_T2_T3_T4_T5_mmT6_P12ihipStream_tbEUlT_E_NS1_11comp_targetILNS1_3genE3ELNS1_11target_archE908ELNS1_3gpuE7ELNS1_3repE0EEENS1_30default_config_static_selectorELNS0_4arch9wavefront6targetE0EEEvS11_,comdat
	.protected	_ZN7rocprim17ROCPRIM_400000_NS6detail17trampoline_kernelINS0_14default_configENS1_21merge_config_selectorINS0_5tupleIJttEEENS0_10empty_typeEEEZNS1_10merge_implIS3_NS0_12zip_iteratorINS5_IJN6thrust23THRUST_200600_302600_NS6detail15normal_iteratorINSC_10device_ptrIKtEEEESI_EEEEESK_NSA_INS5_IJNSC_16discard_iteratorINSC_11use_defaultEEESN_EEEEEPS7_SQ_SQ_NSC_11hip_rocprim7__merge17predicate_wrapperIttNSC_4lessItEEEEEE10hipError_tPvRmT0_T1_T2_T3_T4_T5_mmT6_P12ihipStream_tbEUlT_E_NS1_11comp_targetILNS1_3genE3ELNS1_11target_archE908ELNS1_3gpuE7ELNS1_3repE0EEENS1_30default_config_static_selectorELNS0_4arch9wavefront6targetE0EEEvS11_ ; -- Begin function _ZN7rocprim17ROCPRIM_400000_NS6detail17trampoline_kernelINS0_14default_configENS1_21merge_config_selectorINS0_5tupleIJttEEENS0_10empty_typeEEEZNS1_10merge_implIS3_NS0_12zip_iteratorINS5_IJN6thrust23THRUST_200600_302600_NS6detail15normal_iteratorINSC_10device_ptrIKtEEEESI_EEEEESK_NSA_INS5_IJNSC_16discard_iteratorINSC_11use_defaultEEESN_EEEEEPS7_SQ_SQ_NSC_11hip_rocprim7__merge17predicate_wrapperIttNSC_4lessItEEEEEE10hipError_tPvRmT0_T1_T2_T3_T4_T5_mmT6_P12ihipStream_tbEUlT_E_NS1_11comp_targetILNS1_3genE3ELNS1_11target_archE908ELNS1_3gpuE7ELNS1_3repE0EEENS1_30default_config_static_selectorELNS0_4arch9wavefront6targetE0EEEvS11_
	.globl	_ZN7rocprim17ROCPRIM_400000_NS6detail17trampoline_kernelINS0_14default_configENS1_21merge_config_selectorINS0_5tupleIJttEEENS0_10empty_typeEEEZNS1_10merge_implIS3_NS0_12zip_iteratorINS5_IJN6thrust23THRUST_200600_302600_NS6detail15normal_iteratorINSC_10device_ptrIKtEEEESI_EEEEESK_NSA_INS5_IJNSC_16discard_iteratorINSC_11use_defaultEEESN_EEEEEPS7_SQ_SQ_NSC_11hip_rocprim7__merge17predicate_wrapperIttNSC_4lessItEEEEEE10hipError_tPvRmT0_T1_T2_T3_T4_T5_mmT6_P12ihipStream_tbEUlT_E_NS1_11comp_targetILNS1_3genE3ELNS1_11target_archE908ELNS1_3gpuE7ELNS1_3repE0EEENS1_30default_config_static_selectorELNS0_4arch9wavefront6targetE0EEEvS11_
	.p2align	8
	.type	_ZN7rocprim17ROCPRIM_400000_NS6detail17trampoline_kernelINS0_14default_configENS1_21merge_config_selectorINS0_5tupleIJttEEENS0_10empty_typeEEEZNS1_10merge_implIS3_NS0_12zip_iteratorINS5_IJN6thrust23THRUST_200600_302600_NS6detail15normal_iteratorINSC_10device_ptrIKtEEEESI_EEEEESK_NSA_INS5_IJNSC_16discard_iteratorINSC_11use_defaultEEESN_EEEEEPS7_SQ_SQ_NSC_11hip_rocprim7__merge17predicate_wrapperIttNSC_4lessItEEEEEE10hipError_tPvRmT0_T1_T2_T3_T4_T5_mmT6_P12ihipStream_tbEUlT_E_NS1_11comp_targetILNS1_3genE3ELNS1_11target_archE908ELNS1_3gpuE7ELNS1_3repE0EEENS1_30default_config_static_selectorELNS0_4arch9wavefront6targetE0EEEvS11_,@function
_ZN7rocprim17ROCPRIM_400000_NS6detail17trampoline_kernelINS0_14default_configENS1_21merge_config_selectorINS0_5tupleIJttEEENS0_10empty_typeEEEZNS1_10merge_implIS3_NS0_12zip_iteratorINS5_IJN6thrust23THRUST_200600_302600_NS6detail15normal_iteratorINSC_10device_ptrIKtEEEESI_EEEEESK_NSA_INS5_IJNSC_16discard_iteratorINSC_11use_defaultEEESN_EEEEEPS7_SQ_SQ_NSC_11hip_rocprim7__merge17predicate_wrapperIttNSC_4lessItEEEEEE10hipError_tPvRmT0_T1_T2_T3_T4_T5_mmT6_P12ihipStream_tbEUlT_E_NS1_11comp_targetILNS1_3genE3ELNS1_11target_archE908ELNS1_3gpuE7ELNS1_3repE0EEENS1_30default_config_static_selectorELNS0_4arch9wavefront6targetE0EEEvS11_: ; @_ZN7rocprim17ROCPRIM_400000_NS6detail17trampoline_kernelINS0_14default_configENS1_21merge_config_selectorINS0_5tupleIJttEEENS0_10empty_typeEEEZNS1_10merge_implIS3_NS0_12zip_iteratorINS5_IJN6thrust23THRUST_200600_302600_NS6detail15normal_iteratorINSC_10device_ptrIKtEEEESI_EEEEESK_NSA_INS5_IJNSC_16discard_iteratorINSC_11use_defaultEEESN_EEEEEPS7_SQ_SQ_NSC_11hip_rocprim7__merge17predicate_wrapperIttNSC_4lessItEEEEEE10hipError_tPvRmT0_T1_T2_T3_T4_T5_mmT6_P12ihipStream_tbEUlT_E_NS1_11comp_targetILNS1_3genE3ELNS1_11target_archE908ELNS1_3gpuE7ELNS1_3repE0EEENS1_30default_config_static_selectorELNS0_4arch9wavefront6targetE0EEEvS11_
; %bb.0:
	.section	.rodata,"a",@progbits
	.p2align	6, 0x0
	.amdhsa_kernel _ZN7rocprim17ROCPRIM_400000_NS6detail17trampoline_kernelINS0_14default_configENS1_21merge_config_selectorINS0_5tupleIJttEEENS0_10empty_typeEEEZNS1_10merge_implIS3_NS0_12zip_iteratorINS5_IJN6thrust23THRUST_200600_302600_NS6detail15normal_iteratorINSC_10device_ptrIKtEEEESI_EEEEESK_NSA_INS5_IJNSC_16discard_iteratorINSC_11use_defaultEEESN_EEEEEPS7_SQ_SQ_NSC_11hip_rocprim7__merge17predicate_wrapperIttNSC_4lessItEEEEEE10hipError_tPvRmT0_T1_T2_T3_T4_T5_mmT6_P12ihipStream_tbEUlT_E_NS1_11comp_targetILNS1_3genE3ELNS1_11target_archE908ELNS1_3gpuE7ELNS1_3repE0EEENS1_30default_config_static_selectorELNS0_4arch9wavefront6targetE0EEEvS11_
		.amdhsa_group_segment_fixed_size 0
		.amdhsa_private_segment_fixed_size 0
		.amdhsa_kernarg_size 64
		.amdhsa_user_sgpr_count 2
		.amdhsa_user_sgpr_dispatch_ptr 0
		.amdhsa_user_sgpr_queue_ptr 0
		.amdhsa_user_sgpr_kernarg_segment_ptr 1
		.amdhsa_user_sgpr_dispatch_id 0
		.amdhsa_user_sgpr_kernarg_preload_length 0
		.amdhsa_user_sgpr_kernarg_preload_offset 0
		.amdhsa_user_sgpr_private_segment_size 0
		.amdhsa_wavefront_size32 1
		.amdhsa_uses_dynamic_stack 0
		.amdhsa_enable_private_segment 0
		.amdhsa_system_sgpr_workgroup_id_x 1
		.amdhsa_system_sgpr_workgroup_id_y 0
		.amdhsa_system_sgpr_workgroup_id_z 0
		.amdhsa_system_sgpr_workgroup_info 0
		.amdhsa_system_vgpr_workitem_id 0
		.amdhsa_next_free_vgpr 1
		.amdhsa_next_free_sgpr 1
		.amdhsa_named_barrier_count 0
		.amdhsa_reserve_vcc 0
		.amdhsa_float_round_mode_32 0
		.amdhsa_float_round_mode_16_64 0
		.amdhsa_float_denorm_mode_32 3
		.amdhsa_float_denorm_mode_16_64 3
		.amdhsa_fp16_overflow 0
		.amdhsa_memory_ordered 1
		.amdhsa_forward_progress 1
		.amdhsa_inst_pref_size 0
		.amdhsa_round_robin_scheduling 0
		.amdhsa_exception_fp_ieee_invalid_op 0
		.amdhsa_exception_fp_denorm_src 0
		.amdhsa_exception_fp_ieee_div_zero 0
		.amdhsa_exception_fp_ieee_overflow 0
		.amdhsa_exception_fp_ieee_underflow 0
		.amdhsa_exception_fp_ieee_inexact 0
		.amdhsa_exception_int_div_zero 0
	.end_amdhsa_kernel
	.section	.text._ZN7rocprim17ROCPRIM_400000_NS6detail17trampoline_kernelINS0_14default_configENS1_21merge_config_selectorINS0_5tupleIJttEEENS0_10empty_typeEEEZNS1_10merge_implIS3_NS0_12zip_iteratorINS5_IJN6thrust23THRUST_200600_302600_NS6detail15normal_iteratorINSC_10device_ptrIKtEEEESI_EEEEESK_NSA_INS5_IJNSC_16discard_iteratorINSC_11use_defaultEEESN_EEEEEPS7_SQ_SQ_NSC_11hip_rocprim7__merge17predicate_wrapperIttNSC_4lessItEEEEEE10hipError_tPvRmT0_T1_T2_T3_T4_T5_mmT6_P12ihipStream_tbEUlT_E_NS1_11comp_targetILNS1_3genE3ELNS1_11target_archE908ELNS1_3gpuE7ELNS1_3repE0EEENS1_30default_config_static_selectorELNS0_4arch9wavefront6targetE0EEEvS11_,"axG",@progbits,_ZN7rocprim17ROCPRIM_400000_NS6detail17trampoline_kernelINS0_14default_configENS1_21merge_config_selectorINS0_5tupleIJttEEENS0_10empty_typeEEEZNS1_10merge_implIS3_NS0_12zip_iteratorINS5_IJN6thrust23THRUST_200600_302600_NS6detail15normal_iteratorINSC_10device_ptrIKtEEEESI_EEEEESK_NSA_INS5_IJNSC_16discard_iteratorINSC_11use_defaultEEESN_EEEEEPS7_SQ_SQ_NSC_11hip_rocprim7__merge17predicate_wrapperIttNSC_4lessItEEEEEE10hipError_tPvRmT0_T1_T2_T3_T4_T5_mmT6_P12ihipStream_tbEUlT_E_NS1_11comp_targetILNS1_3genE3ELNS1_11target_archE908ELNS1_3gpuE7ELNS1_3repE0EEENS1_30default_config_static_selectorELNS0_4arch9wavefront6targetE0EEEvS11_,comdat
.Lfunc_end554:
	.size	_ZN7rocprim17ROCPRIM_400000_NS6detail17trampoline_kernelINS0_14default_configENS1_21merge_config_selectorINS0_5tupleIJttEEENS0_10empty_typeEEEZNS1_10merge_implIS3_NS0_12zip_iteratorINS5_IJN6thrust23THRUST_200600_302600_NS6detail15normal_iteratorINSC_10device_ptrIKtEEEESI_EEEEESK_NSA_INS5_IJNSC_16discard_iteratorINSC_11use_defaultEEESN_EEEEEPS7_SQ_SQ_NSC_11hip_rocprim7__merge17predicate_wrapperIttNSC_4lessItEEEEEE10hipError_tPvRmT0_T1_T2_T3_T4_T5_mmT6_P12ihipStream_tbEUlT_E_NS1_11comp_targetILNS1_3genE3ELNS1_11target_archE908ELNS1_3gpuE7ELNS1_3repE0EEENS1_30default_config_static_selectorELNS0_4arch9wavefront6targetE0EEEvS11_, .Lfunc_end554-_ZN7rocprim17ROCPRIM_400000_NS6detail17trampoline_kernelINS0_14default_configENS1_21merge_config_selectorINS0_5tupleIJttEEENS0_10empty_typeEEEZNS1_10merge_implIS3_NS0_12zip_iteratorINS5_IJN6thrust23THRUST_200600_302600_NS6detail15normal_iteratorINSC_10device_ptrIKtEEEESI_EEEEESK_NSA_INS5_IJNSC_16discard_iteratorINSC_11use_defaultEEESN_EEEEEPS7_SQ_SQ_NSC_11hip_rocprim7__merge17predicate_wrapperIttNSC_4lessItEEEEEE10hipError_tPvRmT0_T1_T2_T3_T4_T5_mmT6_P12ihipStream_tbEUlT_E_NS1_11comp_targetILNS1_3genE3ELNS1_11target_archE908ELNS1_3gpuE7ELNS1_3repE0EEENS1_30default_config_static_selectorELNS0_4arch9wavefront6targetE0EEEvS11_
                                        ; -- End function
	.set _ZN7rocprim17ROCPRIM_400000_NS6detail17trampoline_kernelINS0_14default_configENS1_21merge_config_selectorINS0_5tupleIJttEEENS0_10empty_typeEEEZNS1_10merge_implIS3_NS0_12zip_iteratorINS5_IJN6thrust23THRUST_200600_302600_NS6detail15normal_iteratorINSC_10device_ptrIKtEEEESI_EEEEESK_NSA_INS5_IJNSC_16discard_iteratorINSC_11use_defaultEEESN_EEEEEPS7_SQ_SQ_NSC_11hip_rocprim7__merge17predicate_wrapperIttNSC_4lessItEEEEEE10hipError_tPvRmT0_T1_T2_T3_T4_T5_mmT6_P12ihipStream_tbEUlT_E_NS1_11comp_targetILNS1_3genE3ELNS1_11target_archE908ELNS1_3gpuE7ELNS1_3repE0EEENS1_30default_config_static_selectorELNS0_4arch9wavefront6targetE0EEEvS11_.num_vgpr, 0
	.set _ZN7rocprim17ROCPRIM_400000_NS6detail17trampoline_kernelINS0_14default_configENS1_21merge_config_selectorINS0_5tupleIJttEEENS0_10empty_typeEEEZNS1_10merge_implIS3_NS0_12zip_iteratorINS5_IJN6thrust23THRUST_200600_302600_NS6detail15normal_iteratorINSC_10device_ptrIKtEEEESI_EEEEESK_NSA_INS5_IJNSC_16discard_iteratorINSC_11use_defaultEEESN_EEEEEPS7_SQ_SQ_NSC_11hip_rocprim7__merge17predicate_wrapperIttNSC_4lessItEEEEEE10hipError_tPvRmT0_T1_T2_T3_T4_T5_mmT6_P12ihipStream_tbEUlT_E_NS1_11comp_targetILNS1_3genE3ELNS1_11target_archE908ELNS1_3gpuE7ELNS1_3repE0EEENS1_30default_config_static_selectorELNS0_4arch9wavefront6targetE0EEEvS11_.num_agpr, 0
	.set _ZN7rocprim17ROCPRIM_400000_NS6detail17trampoline_kernelINS0_14default_configENS1_21merge_config_selectorINS0_5tupleIJttEEENS0_10empty_typeEEEZNS1_10merge_implIS3_NS0_12zip_iteratorINS5_IJN6thrust23THRUST_200600_302600_NS6detail15normal_iteratorINSC_10device_ptrIKtEEEESI_EEEEESK_NSA_INS5_IJNSC_16discard_iteratorINSC_11use_defaultEEESN_EEEEEPS7_SQ_SQ_NSC_11hip_rocprim7__merge17predicate_wrapperIttNSC_4lessItEEEEEE10hipError_tPvRmT0_T1_T2_T3_T4_T5_mmT6_P12ihipStream_tbEUlT_E_NS1_11comp_targetILNS1_3genE3ELNS1_11target_archE908ELNS1_3gpuE7ELNS1_3repE0EEENS1_30default_config_static_selectorELNS0_4arch9wavefront6targetE0EEEvS11_.numbered_sgpr, 0
	.set _ZN7rocprim17ROCPRIM_400000_NS6detail17trampoline_kernelINS0_14default_configENS1_21merge_config_selectorINS0_5tupleIJttEEENS0_10empty_typeEEEZNS1_10merge_implIS3_NS0_12zip_iteratorINS5_IJN6thrust23THRUST_200600_302600_NS6detail15normal_iteratorINSC_10device_ptrIKtEEEESI_EEEEESK_NSA_INS5_IJNSC_16discard_iteratorINSC_11use_defaultEEESN_EEEEEPS7_SQ_SQ_NSC_11hip_rocprim7__merge17predicate_wrapperIttNSC_4lessItEEEEEE10hipError_tPvRmT0_T1_T2_T3_T4_T5_mmT6_P12ihipStream_tbEUlT_E_NS1_11comp_targetILNS1_3genE3ELNS1_11target_archE908ELNS1_3gpuE7ELNS1_3repE0EEENS1_30default_config_static_selectorELNS0_4arch9wavefront6targetE0EEEvS11_.num_named_barrier, 0
	.set _ZN7rocprim17ROCPRIM_400000_NS6detail17trampoline_kernelINS0_14default_configENS1_21merge_config_selectorINS0_5tupleIJttEEENS0_10empty_typeEEEZNS1_10merge_implIS3_NS0_12zip_iteratorINS5_IJN6thrust23THRUST_200600_302600_NS6detail15normal_iteratorINSC_10device_ptrIKtEEEESI_EEEEESK_NSA_INS5_IJNSC_16discard_iteratorINSC_11use_defaultEEESN_EEEEEPS7_SQ_SQ_NSC_11hip_rocprim7__merge17predicate_wrapperIttNSC_4lessItEEEEEE10hipError_tPvRmT0_T1_T2_T3_T4_T5_mmT6_P12ihipStream_tbEUlT_E_NS1_11comp_targetILNS1_3genE3ELNS1_11target_archE908ELNS1_3gpuE7ELNS1_3repE0EEENS1_30default_config_static_selectorELNS0_4arch9wavefront6targetE0EEEvS11_.private_seg_size, 0
	.set _ZN7rocprim17ROCPRIM_400000_NS6detail17trampoline_kernelINS0_14default_configENS1_21merge_config_selectorINS0_5tupleIJttEEENS0_10empty_typeEEEZNS1_10merge_implIS3_NS0_12zip_iteratorINS5_IJN6thrust23THRUST_200600_302600_NS6detail15normal_iteratorINSC_10device_ptrIKtEEEESI_EEEEESK_NSA_INS5_IJNSC_16discard_iteratorINSC_11use_defaultEEESN_EEEEEPS7_SQ_SQ_NSC_11hip_rocprim7__merge17predicate_wrapperIttNSC_4lessItEEEEEE10hipError_tPvRmT0_T1_T2_T3_T4_T5_mmT6_P12ihipStream_tbEUlT_E_NS1_11comp_targetILNS1_3genE3ELNS1_11target_archE908ELNS1_3gpuE7ELNS1_3repE0EEENS1_30default_config_static_selectorELNS0_4arch9wavefront6targetE0EEEvS11_.uses_vcc, 0
	.set _ZN7rocprim17ROCPRIM_400000_NS6detail17trampoline_kernelINS0_14default_configENS1_21merge_config_selectorINS0_5tupleIJttEEENS0_10empty_typeEEEZNS1_10merge_implIS3_NS0_12zip_iteratorINS5_IJN6thrust23THRUST_200600_302600_NS6detail15normal_iteratorINSC_10device_ptrIKtEEEESI_EEEEESK_NSA_INS5_IJNSC_16discard_iteratorINSC_11use_defaultEEESN_EEEEEPS7_SQ_SQ_NSC_11hip_rocprim7__merge17predicate_wrapperIttNSC_4lessItEEEEEE10hipError_tPvRmT0_T1_T2_T3_T4_T5_mmT6_P12ihipStream_tbEUlT_E_NS1_11comp_targetILNS1_3genE3ELNS1_11target_archE908ELNS1_3gpuE7ELNS1_3repE0EEENS1_30default_config_static_selectorELNS0_4arch9wavefront6targetE0EEEvS11_.uses_flat_scratch, 0
	.set _ZN7rocprim17ROCPRIM_400000_NS6detail17trampoline_kernelINS0_14default_configENS1_21merge_config_selectorINS0_5tupleIJttEEENS0_10empty_typeEEEZNS1_10merge_implIS3_NS0_12zip_iteratorINS5_IJN6thrust23THRUST_200600_302600_NS6detail15normal_iteratorINSC_10device_ptrIKtEEEESI_EEEEESK_NSA_INS5_IJNSC_16discard_iteratorINSC_11use_defaultEEESN_EEEEEPS7_SQ_SQ_NSC_11hip_rocprim7__merge17predicate_wrapperIttNSC_4lessItEEEEEE10hipError_tPvRmT0_T1_T2_T3_T4_T5_mmT6_P12ihipStream_tbEUlT_E_NS1_11comp_targetILNS1_3genE3ELNS1_11target_archE908ELNS1_3gpuE7ELNS1_3repE0EEENS1_30default_config_static_selectorELNS0_4arch9wavefront6targetE0EEEvS11_.has_dyn_sized_stack, 0
	.set _ZN7rocprim17ROCPRIM_400000_NS6detail17trampoline_kernelINS0_14default_configENS1_21merge_config_selectorINS0_5tupleIJttEEENS0_10empty_typeEEEZNS1_10merge_implIS3_NS0_12zip_iteratorINS5_IJN6thrust23THRUST_200600_302600_NS6detail15normal_iteratorINSC_10device_ptrIKtEEEESI_EEEEESK_NSA_INS5_IJNSC_16discard_iteratorINSC_11use_defaultEEESN_EEEEEPS7_SQ_SQ_NSC_11hip_rocprim7__merge17predicate_wrapperIttNSC_4lessItEEEEEE10hipError_tPvRmT0_T1_T2_T3_T4_T5_mmT6_P12ihipStream_tbEUlT_E_NS1_11comp_targetILNS1_3genE3ELNS1_11target_archE908ELNS1_3gpuE7ELNS1_3repE0EEENS1_30default_config_static_selectorELNS0_4arch9wavefront6targetE0EEEvS11_.has_recursion, 0
	.set _ZN7rocprim17ROCPRIM_400000_NS6detail17trampoline_kernelINS0_14default_configENS1_21merge_config_selectorINS0_5tupleIJttEEENS0_10empty_typeEEEZNS1_10merge_implIS3_NS0_12zip_iteratorINS5_IJN6thrust23THRUST_200600_302600_NS6detail15normal_iteratorINSC_10device_ptrIKtEEEESI_EEEEESK_NSA_INS5_IJNSC_16discard_iteratorINSC_11use_defaultEEESN_EEEEEPS7_SQ_SQ_NSC_11hip_rocprim7__merge17predicate_wrapperIttNSC_4lessItEEEEEE10hipError_tPvRmT0_T1_T2_T3_T4_T5_mmT6_P12ihipStream_tbEUlT_E_NS1_11comp_targetILNS1_3genE3ELNS1_11target_archE908ELNS1_3gpuE7ELNS1_3repE0EEENS1_30default_config_static_selectorELNS0_4arch9wavefront6targetE0EEEvS11_.has_indirect_call, 0
	.section	.AMDGPU.csdata,"",@progbits
; Kernel info:
; codeLenInByte = 0
; TotalNumSgprs: 0
; NumVgprs: 0
; ScratchSize: 0
; MemoryBound: 0
; FloatMode: 240
; IeeeMode: 1
; LDSByteSize: 0 bytes/workgroup (compile time only)
; SGPRBlocks: 0
; VGPRBlocks: 0
; NumSGPRsForWavesPerEU: 1
; NumVGPRsForWavesPerEU: 1
; NamedBarCnt: 0
; Occupancy: 16
; WaveLimiterHint : 0
; COMPUTE_PGM_RSRC2:SCRATCH_EN: 0
; COMPUTE_PGM_RSRC2:USER_SGPR: 2
; COMPUTE_PGM_RSRC2:TRAP_HANDLER: 0
; COMPUTE_PGM_RSRC2:TGID_X_EN: 1
; COMPUTE_PGM_RSRC2:TGID_Y_EN: 0
; COMPUTE_PGM_RSRC2:TGID_Z_EN: 0
; COMPUTE_PGM_RSRC2:TIDIG_COMP_CNT: 0
	.section	.text._ZN7rocprim17ROCPRIM_400000_NS6detail17trampoline_kernelINS0_14default_configENS1_21merge_config_selectorINS0_5tupleIJttEEENS0_10empty_typeEEEZNS1_10merge_implIS3_NS0_12zip_iteratorINS5_IJN6thrust23THRUST_200600_302600_NS6detail15normal_iteratorINSC_10device_ptrIKtEEEESI_EEEEESK_NSA_INS5_IJNSC_16discard_iteratorINSC_11use_defaultEEESN_EEEEEPS7_SQ_SQ_NSC_11hip_rocprim7__merge17predicate_wrapperIttNSC_4lessItEEEEEE10hipError_tPvRmT0_T1_T2_T3_T4_T5_mmT6_P12ihipStream_tbEUlT_E_NS1_11comp_targetILNS1_3genE2ELNS1_11target_archE906ELNS1_3gpuE6ELNS1_3repE0EEENS1_30default_config_static_selectorELNS0_4arch9wavefront6targetE0EEEvS11_,"axG",@progbits,_ZN7rocprim17ROCPRIM_400000_NS6detail17trampoline_kernelINS0_14default_configENS1_21merge_config_selectorINS0_5tupleIJttEEENS0_10empty_typeEEEZNS1_10merge_implIS3_NS0_12zip_iteratorINS5_IJN6thrust23THRUST_200600_302600_NS6detail15normal_iteratorINSC_10device_ptrIKtEEEESI_EEEEESK_NSA_INS5_IJNSC_16discard_iteratorINSC_11use_defaultEEESN_EEEEEPS7_SQ_SQ_NSC_11hip_rocprim7__merge17predicate_wrapperIttNSC_4lessItEEEEEE10hipError_tPvRmT0_T1_T2_T3_T4_T5_mmT6_P12ihipStream_tbEUlT_E_NS1_11comp_targetILNS1_3genE2ELNS1_11target_archE906ELNS1_3gpuE6ELNS1_3repE0EEENS1_30default_config_static_selectorELNS0_4arch9wavefront6targetE0EEEvS11_,comdat
	.protected	_ZN7rocprim17ROCPRIM_400000_NS6detail17trampoline_kernelINS0_14default_configENS1_21merge_config_selectorINS0_5tupleIJttEEENS0_10empty_typeEEEZNS1_10merge_implIS3_NS0_12zip_iteratorINS5_IJN6thrust23THRUST_200600_302600_NS6detail15normal_iteratorINSC_10device_ptrIKtEEEESI_EEEEESK_NSA_INS5_IJNSC_16discard_iteratorINSC_11use_defaultEEESN_EEEEEPS7_SQ_SQ_NSC_11hip_rocprim7__merge17predicate_wrapperIttNSC_4lessItEEEEEE10hipError_tPvRmT0_T1_T2_T3_T4_T5_mmT6_P12ihipStream_tbEUlT_E_NS1_11comp_targetILNS1_3genE2ELNS1_11target_archE906ELNS1_3gpuE6ELNS1_3repE0EEENS1_30default_config_static_selectorELNS0_4arch9wavefront6targetE0EEEvS11_ ; -- Begin function _ZN7rocprim17ROCPRIM_400000_NS6detail17trampoline_kernelINS0_14default_configENS1_21merge_config_selectorINS0_5tupleIJttEEENS0_10empty_typeEEEZNS1_10merge_implIS3_NS0_12zip_iteratorINS5_IJN6thrust23THRUST_200600_302600_NS6detail15normal_iteratorINSC_10device_ptrIKtEEEESI_EEEEESK_NSA_INS5_IJNSC_16discard_iteratorINSC_11use_defaultEEESN_EEEEEPS7_SQ_SQ_NSC_11hip_rocprim7__merge17predicate_wrapperIttNSC_4lessItEEEEEE10hipError_tPvRmT0_T1_T2_T3_T4_T5_mmT6_P12ihipStream_tbEUlT_E_NS1_11comp_targetILNS1_3genE2ELNS1_11target_archE906ELNS1_3gpuE6ELNS1_3repE0EEENS1_30default_config_static_selectorELNS0_4arch9wavefront6targetE0EEEvS11_
	.globl	_ZN7rocprim17ROCPRIM_400000_NS6detail17trampoline_kernelINS0_14default_configENS1_21merge_config_selectorINS0_5tupleIJttEEENS0_10empty_typeEEEZNS1_10merge_implIS3_NS0_12zip_iteratorINS5_IJN6thrust23THRUST_200600_302600_NS6detail15normal_iteratorINSC_10device_ptrIKtEEEESI_EEEEESK_NSA_INS5_IJNSC_16discard_iteratorINSC_11use_defaultEEESN_EEEEEPS7_SQ_SQ_NSC_11hip_rocprim7__merge17predicate_wrapperIttNSC_4lessItEEEEEE10hipError_tPvRmT0_T1_T2_T3_T4_T5_mmT6_P12ihipStream_tbEUlT_E_NS1_11comp_targetILNS1_3genE2ELNS1_11target_archE906ELNS1_3gpuE6ELNS1_3repE0EEENS1_30default_config_static_selectorELNS0_4arch9wavefront6targetE0EEEvS11_
	.p2align	8
	.type	_ZN7rocprim17ROCPRIM_400000_NS6detail17trampoline_kernelINS0_14default_configENS1_21merge_config_selectorINS0_5tupleIJttEEENS0_10empty_typeEEEZNS1_10merge_implIS3_NS0_12zip_iteratorINS5_IJN6thrust23THRUST_200600_302600_NS6detail15normal_iteratorINSC_10device_ptrIKtEEEESI_EEEEESK_NSA_INS5_IJNSC_16discard_iteratorINSC_11use_defaultEEESN_EEEEEPS7_SQ_SQ_NSC_11hip_rocprim7__merge17predicate_wrapperIttNSC_4lessItEEEEEE10hipError_tPvRmT0_T1_T2_T3_T4_T5_mmT6_P12ihipStream_tbEUlT_E_NS1_11comp_targetILNS1_3genE2ELNS1_11target_archE906ELNS1_3gpuE6ELNS1_3repE0EEENS1_30default_config_static_selectorELNS0_4arch9wavefront6targetE0EEEvS11_,@function
_ZN7rocprim17ROCPRIM_400000_NS6detail17trampoline_kernelINS0_14default_configENS1_21merge_config_selectorINS0_5tupleIJttEEENS0_10empty_typeEEEZNS1_10merge_implIS3_NS0_12zip_iteratorINS5_IJN6thrust23THRUST_200600_302600_NS6detail15normal_iteratorINSC_10device_ptrIKtEEEESI_EEEEESK_NSA_INS5_IJNSC_16discard_iteratorINSC_11use_defaultEEESN_EEEEEPS7_SQ_SQ_NSC_11hip_rocprim7__merge17predicate_wrapperIttNSC_4lessItEEEEEE10hipError_tPvRmT0_T1_T2_T3_T4_T5_mmT6_P12ihipStream_tbEUlT_E_NS1_11comp_targetILNS1_3genE2ELNS1_11target_archE906ELNS1_3gpuE6ELNS1_3repE0EEENS1_30default_config_static_selectorELNS0_4arch9wavefront6targetE0EEEvS11_: ; @_ZN7rocprim17ROCPRIM_400000_NS6detail17trampoline_kernelINS0_14default_configENS1_21merge_config_selectorINS0_5tupleIJttEEENS0_10empty_typeEEEZNS1_10merge_implIS3_NS0_12zip_iteratorINS5_IJN6thrust23THRUST_200600_302600_NS6detail15normal_iteratorINSC_10device_ptrIKtEEEESI_EEEEESK_NSA_INS5_IJNSC_16discard_iteratorINSC_11use_defaultEEESN_EEEEEPS7_SQ_SQ_NSC_11hip_rocprim7__merge17predicate_wrapperIttNSC_4lessItEEEEEE10hipError_tPvRmT0_T1_T2_T3_T4_T5_mmT6_P12ihipStream_tbEUlT_E_NS1_11comp_targetILNS1_3genE2ELNS1_11target_archE906ELNS1_3gpuE6ELNS1_3repE0EEENS1_30default_config_static_selectorELNS0_4arch9wavefront6targetE0EEEvS11_
; %bb.0:
	.section	.rodata,"a",@progbits
	.p2align	6, 0x0
	.amdhsa_kernel _ZN7rocprim17ROCPRIM_400000_NS6detail17trampoline_kernelINS0_14default_configENS1_21merge_config_selectorINS0_5tupleIJttEEENS0_10empty_typeEEEZNS1_10merge_implIS3_NS0_12zip_iteratorINS5_IJN6thrust23THRUST_200600_302600_NS6detail15normal_iteratorINSC_10device_ptrIKtEEEESI_EEEEESK_NSA_INS5_IJNSC_16discard_iteratorINSC_11use_defaultEEESN_EEEEEPS7_SQ_SQ_NSC_11hip_rocprim7__merge17predicate_wrapperIttNSC_4lessItEEEEEE10hipError_tPvRmT0_T1_T2_T3_T4_T5_mmT6_P12ihipStream_tbEUlT_E_NS1_11comp_targetILNS1_3genE2ELNS1_11target_archE906ELNS1_3gpuE6ELNS1_3repE0EEENS1_30default_config_static_selectorELNS0_4arch9wavefront6targetE0EEEvS11_
		.amdhsa_group_segment_fixed_size 0
		.amdhsa_private_segment_fixed_size 0
		.amdhsa_kernarg_size 64
		.amdhsa_user_sgpr_count 2
		.amdhsa_user_sgpr_dispatch_ptr 0
		.amdhsa_user_sgpr_queue_ptr 0
		.amdhsa_user_sgpr_kernarg_segment_ptr 1
		.amdhsa_user_sgpr_dispatch_id 0
		.amdhsa_user_sgpr_kernarg_preload_length 0
		.amdhsa_user_sgpr_kernarg_preload_offset 0
		.amdhsa_user_sgpr_private_segment_size 0
		.amdhsa_wavefront_size32 1
		.amdhsa_uses_dynamic_stack 0
		.amdhsa_enable_private_segment 0
		.amdhsa_system_sgpr_workgroup_id_x 1
		.amdhsa_system_sgpr_workgroup_id_y 0
		.amdhsa_system_sgpr_workgroup_id_z 0
		.amdhsa_system_sgpr_workgroup_info 0
		.amdhsa_system_vgpr_workitem_id 0
		.amdhsa_next_free_vgpr 1
		.amdhsa_next_free_sgpr 1
		.amdhsa_named_barrier_count 0
		.amdhsa_reserve_vcc 0
		.amdhsa_float_round_mode_32 0
		.amdhsa_float_round_mode_16_64 0
		.amdhsa_float_denorm_mode_32 3
		.amdhsa_float_denorm_mode_16_64 3
		.amdhsa_fp16_overflow 0
		.amdhsa_memory_ordered 1
		.amdhsa_forward_progress 1
		.amdhsa_inst_pref_size 0
		.amdhsa_round_robin_scheduling 0
		.amdhsa_exception_fp_ieee_invalid_op 0
		.amdhsa_exception_fp_denorm_src 0
		.amdhsa_exception_fp_ieee_div_zero 0
		.amdhsa_exception_fp_ieee_overflow 0
		.amdhsa_exception_fp_ieee_underflow 0
		.amdhsa_exception_fp_ieee_inexact 0
		.amdhsa_exception_int_div_zero 0
	.end_amdhsa_kernel
	.section	.text._ZN7rocprim17ROCPRIM_400000_NS6detail17trampoline_kernelINS0_14default_configENS1_21merge_config_selectorINS0_5tupleIJttEEENS0_10empty_typeEEEZNS1_10merge_implIS3_NS0_12zip_iteratorINS5_IJN6thrust23THRUST_200600_302600_NS6detail15normal_iteratorINSC_10device_ptrIKtEEEESI_EEEEESK_NSA_INS5_IJNSC_16discard_iteratorINSC_11use_defaultEEESN_EEEEEPS7_SQ_SQ_NSC_11hip_rocprim7__merge17predicate_wrapperIttNSC_4lessItEEEEEE10hipError_tPvRmT0_T1_T2_T3_T4_T5_mmT6_P12ihipStream_tbEUlT_E_NS1_11comp_targetILNS1_3genE2ELNS1_11target_archE906ELNS1_3gpuE6ELNS1_3repE0EEENS1_30default_config_static_selectorELNS0_4arch9wavefront6targetE0EEEvS11_,"axG",@progbits,_ZN7rocprim17ROCPRIM_400000_NS6detail17trampoline_kernelINS0_14default_configENS1_21merge_config_selectorINS0_5tupleIJttEEENS0_10empty_typeEEEZNS1_10merge_implIS3_NS0_12zip_iteratorINS5_IJN6thrust23THRUST_200600_302600_NS6detail15normal_iteratorINSC_10device_ptrIKtEEEESI_EEEEESK_NSA_INS5_IJNSC_16discard_iteratorINSC_11use_defaultEEESN_EEEEEPS7_SQ_SQ_NSC_11hip_rocprim7__merge17predicate_wrapperIttNSC_4lessItEEEEEE10hipError_tPvRmT0_T1_T2_T3_T4_T5_mmT6_P12ihipStream_tbEUlT_E_NS1_11comp_targetILNS1_3genE2ELNS1_11target_archE906ELNS1_3gpuE6ELNS1_3repE0EEENS1_30default_config_static_selectorELNS0_4arch9wavefront6targetE0EEEvS11_,comdat
.Lfunc_end555:
	.size	_ZN7rocprim17ROCPRIM_400000_NS6detail17trampoline_kernelINS0_14default_configENS1_21merge_config_selectorINS0_5tupleIJttEEENS0_10empty_typeEEEZNS1_10merge_implIS3_NS0_12zip_iteratorINS5_IJN6thrust23THRUST_200600_302600_NS6detail15normal_iteratorINSC_10device_ptrIKtEEEESI_EEEEESK_NSA_INS5_IJNSC_16discard_iteratorINSC_11use_defaultEEESN_EEEEEPS7_SQ_SQ_NSC_11hip_rocprim7__merge17predicate_wrapperIttNSC_4lessItEEEEEE10hipError_tPvRmT0_T1_T2_T3_T4_T5_mmT6_P12ihipStream_tbEUlT_E_NS1_11comp_targetILNS1_3genE2ELNS1_11target_archE906ELNS1_3gpuE6ELNS1_3repE0EEENS1_30default_config_static_selectorELNS0_4arch9wavefront6targetE0EEEvS11_, .Lfunc_end555-_ZN7rocprim17ROCPRIM_400000_NS6detail17trampoline_kernelINS0_14default_configENS1_21merge_config_selectorINS0_5tupleIJttEEENS0_10empty_typeEEEZNS1_10merge_implIS3_NS0_12zip_iteratorINS5_IJN6thrust23THRUST_200600_302600_NS6detail15normal_iteratorINSC_10device_ptrIKtEEEESI_EEEEESK_NSA_INS5_IJNSC_16discard_iteratorINSC_11use_defaultEEESN_EEEEEPS7_SQ_SQ_NSC_11hip_rocprim7__merge17predicate_wrapperIttNSC_4lessItEEEEEE10hipError_tPvRmT0_T1_T2_T3_T4_T5_mmT6_P12ihipStream_tbEUlT_E_NS1_11comp_targetILNS1_3genE2ELNS1_11target_archE906ELNS1_3gpuE6ELNS1_3repE0EEENS1_30default_config_static_selectorELNS0_4arch9wavefront6targetE0EEEvS11_
                                        ; -- End function
	.set _ZN7rocprim17ROCPRIM_400000_NS6detail17trampoline_kernelINS0_14default_configENS1_21merge_config_selectorINS0_5tupleIJttEEENS0_10empty_typeEEEZNS1_10merge_implIS3_NS0_12zip_iteratorINS5_IJN6thrust23THRUST_200600_302600_NS6detail15normal_iteratorINSC_10device_ptrIKtEEEESI_EEEEESK_NSA_INS5_IJNSC_16discard_iteratorINSC_11use_defaultEEESN_EEEEEPS7_SQ_SQ_NSC_11hip_rocprim7__merge17predicate_wrapperIttNSC_4lessItEEEEEE10hipError_tPvRmT0_T1_T2_T3_T4_T5_mmT6_P12ihipStream_tbEUlT_E_NS1_11comp_targetILNS1_3genE2ELNS1_11target_archE906ELNS1_3gpuE6ELNS1_3repE0EEENS1_30default_config_static_selectorELNS0_4arch9wavefront6targetE0EEEvS11_.num_vgpr, 0
	.set _ZN7rocprim17ROCPRIM_400000_NS6detail17trampoline_kernelINS0_14default_configENS1_21merge_config_selectorINS0_5tupleIJttEEENS0_10empty_typeEEEZNS1_10merge_implIS3_NS0_12zip_iteratorINS5_IJN6thrust23THRUST_200600_302600_NS6detail15normal_iteratorINSC_10device_ptrIKtEEEESI_EEEEESK_NSA_INS5_IJNSC_16discard_iteratorINSC_11use_defaultEEESN_EEEEEPS7_SQ_SQ_NSC_11hip_rocprim7__merge17predicate_wrapperIttNSC_4lessItEEEEEE10hipError_tPvRmT0_T1_T2_T3_T4_T5_mmT6_P12ihipStream_tbEUlT_E_NS1_11comp_targetILNS1_3genE2ELNS1_11target_archE906ELNS1_3gpuE6ELNS1_3repE0EEENS1_30default_config_static_selectorELNS0_4arch9wavefront6targetE0EEEvS11_.num_agpr, 0
	.set _ZN7rocprim17ROCPRIM_400000_NS6detail17trampoline_kernelINS0_14default_configENS1_21merge_config_selectorINS0_5tupleIJttEEENS0_10empty_typeEEEZNS1_10merge_implIS3_NS0_12zip_iteratorINS5_IJN6thrust23THRUST_200600_302600_NS6detail15normal_iteratorINSC_10device_ptrIKtEEEESI_EEEEESK_NSA_INS5_IJNSC_16discard_iteratorINSC_11use_defaultEEESN_EEEEEPS7_SQ_SQ_NSC_11hip_rocprim7__merge17predicate_wrapperIttNSC_4lessItEEEEEE10hipError_tPvRmT0_T1_T2_T3_T4_T5_mmT6_P12ihipStream_tbEUlT_E_NS1_11comp_targetILNS1_3genE2ELNS1_11target_archE906ELNS1_3gpuE6ELNS1_3repE0EEENS1_30default_config_static_selectorELNS0_4arch9wavefront6targetE0EEEvS11_.numbered_sgpr, 0
	.set _ZN7rocprim17ROCPRIM_400000_NS6detail17trampoline_kernelINS0_14default_configENS1_21merge_config_selectorINS0_5tupleIJttEEENS0_10empty_typeEEEZNS1_10merge_implIS3_NS0_12zip_iteratorINS5_IJN6thrust23THRUST_200600_302600_NS6detail15normal_iteratorINSC_10device_ptrIKtEEEESI_EEEEESK_NSA_INS5_IJNSC_16discard_iteratorINSC_11use_defaultEEESN_EEEEEPS7_SQ_SQ_NSC_11hip_rocprim7__merge17predicate_wrapperIttNSC_4lessItEEEEEE10hipError_tPvRmT0_T1_T2_T3_T4_T5_mmT6_P12ihipStream_tbEUlT_E_NS1_11comp_targetILNS1_3genE2ELNS1_11target_archE906ELNS1_3gpuE6ELNS1_3repE0EEENS1_30default_config_static_selectorELNS0_4arch9wavefront6targetE0EEEvS11_.num_named_barrier, 0
	.set _ZN7rocprim17ROCPRIM_400000_NS6detail17trampoline_kernelINS0_14default_configENS1_21merge_config_selectorINS0_5tupleIJttEEENS0_10empty_typeEEEZNS1_10merge_implIS3_NS0_12zip_iteratorINS5_IJN6thrust23THRUST_200600_302600_NS6detail15normal_iteratorINSC_10device_ptrIKtEEEESI_EEEEESK_NSA_INS5_IJNSC_16discard_iteratorINSC_11use_defaultEEESN_EEEEEPS7_SQ_SQ_NSC_11hip_rocprim7__merge17predicate_wrapperIttNSC_4lessItEEEEEE10hipError_tPvRmT0_T1_T2_T3_T4_T5_mmT6_P12ihipStream_tbEUlT_E_NS1_11comp_targetILNS1_3genE2ELNS1_11target_archE906ELNS1_3gpuE6ELNS1_3repE0EEENS1_30default_config_static_selectorELNS0_4arch9wavefront6targetE0EEEvS11_.private_seg_size, 0
	.set _ZN7rocprim17ROCPRIM_400000_NS6detail17trampoline_kernelINS0_14default_configENS1_21merge_config_selectorINS0_5tupleIJttEEENS0_10empty_typeEEEZNS1_10merge_implIS3_NS0_12zip_iteratorINS5_IJN6thrust23THRUST_200600_302600_NS6detail15normal_iteratorINSC_10device_ptrIKtEEEESI_EEEEESK_NSA_INS5_IJNSC_16discard_iteratorINSC_11use_defaultEEESN_EEEEEPS7_SQ_SQ_NSC_11hip_rocprim7__merge17predicate_wrapperIttNSC_4lessItEEEEEE10hipError_tPvRmT0_T1_T2_T3_T4_T5_mmT6_P12ihipStream_tbEUlT_E_NS1_11comp_targetILNS1_3genE2ELNS1_11target_archE906ELNS1_3gpuE6ELNS1_3repE0EEENS1_30default_config_static_selectorELNS0_4arch9wavefront6targetE0EEEvS11_.uses_vcc, 0
	.set _ZN7rocprim17ROCPRIM_400000_NS6detail17trampoline_kernelINS0_14default_configENS1_21merge_config_selectorINS0_5tupleIJttEEENS0_10empty_typeEEEZNS1_10merge_implIS3_NS0_12zip_iteratorINS5_IJN6thrust23THRUST_200600_302600_NS6detail15normal_iteratorINSC_10device_ptrIKtEEEESI_EEEEESK_NSA_INS5_IJNSC_16discard_iteratorINSC_11use_defaultEEESN_EEEEEPS7_SQ_SQ_NSC_11hip_rocprim7__merge17predicate_wrapperIttNSC_4lessItEEEEEE10hipError_tPvRmT0_T1_T2_T3_T4_T5_mmT6_P12ihipStream_tbEUlT_E_NS1_11comp_targetILNS1_3genE2ELNS1_11target_archE906ELNS1_3gpuE6ELNS1_3repE0EEENS1_30default_config_static_selectorELNS0_4arch9wavefront6targetE0EEEvS11_.uses_flat_scratch, 0
	.set _ZN7rocprim17ROCPRIM_400000_NS6detail17trampoline_kernelINS0_14default_configENS1_21merge_config_selectorINS0_5tupleIJttEEENS0_10empty_typeEEEZNS1_10merge_implIS3_NS0_12zip_iteratorINS5_IJN6thrust23THRUST_200600_302600_NS6detail15normal_iteratorINSC_10device_ptrIKtEEEESI_EEEEESK_NSA_INS5_IJNSC_16discard_iteratorINSC_11use_defaultEEESN_EEEEEPS7_SQ_SQ_NSC_11hip_rocprim7__merge17predicate_wrapperIttNSC_4lessItEEEEEE10hipError_tPvRmT0_T1_T2_T3_T4_T5_mmT6_P12ihipStream_tbEUlT_E_NS1_11comp_targetILNS1_3genE2ELNS1_11target_archE906ELNS1_3gpuE6ELNS1_3repE0EEENS1_30default_config_static_selectorELNS0_4arch9wavefront6targetE0EEEvS11_.has_dyn_sized_stack, 0
	.set _ZN7rocprim17ROCPRIM_400000_NS6detail17trampoline_kernelINS0_14default_configENS1_21merge_config_selectorINS0_5tupleIJttEEENS0_10empty_typeEEEZNS1_10merge_implIS3_NS0_12zip_iteratorINS5_IJN6thrust23THRUST_200600_302600_NS6detail15normal_iteratorINSC_10device_ptrIKtEEEESI_EEEEESK_NSA_INS5_IJNSC_16discard_iteratorINSC_11use_defaultEEESN_EEEEEPS7_SQ_SQ_NSC_11hip_rocprim7__merge17predicate_wrapperIttNSC_4lessItEEEEEE10hipError_tPvRmT0_T1_T2_T3_T4_T5_mmT6_P12ihipStream_tbEUlT_E_NS1_11comp_targetILNS1_3genE2ELNS1_11target_archE906ELNS1_3gpuE6ELNS1_3repE0EEENS1_30default_config_static_selectorELNS0_4arch9wavefront6targetE0EEEvS11_.has_recursion, 0
	.set _ZN7rocprim17ROCPRIM_400000_NS6detail17trampoline_kernelINS0_14default_configENS1_21merge_config_selectorINS0_5tupleIJttEEENS0_10empty_typeEEEZNS1_10merge_implIS3_NS0_12zip_iteratorINS5_IJN6thrust23THRUST_200600_302600_NS6detail15normal_iteratorINSC_10device_ptrIKtEEEESI_EEEEESK_NSA_INS5_IJNSC_16discard_iteratorINSC_11use_defaultEEESN_EEEEEPS7_SQ_SQ_NSC_11hip_rocprim7__merge17predicate_wrapperIttNSC_4lessItEEEEEE10hipError_tPvRmT0_T1_T2_T3_T4_T5_mmT6_P12ihipStream_tbEUlT_E_NS1_11comp_targetILNS1_3genE2ELNS1_11target_archE906ELNS1_3gpuE6ELNS1_3repE0EEENS1_30default_config_static_selectorELNS0_4arch9wavefront6targetE0EEEvS11_.has_indirect_call, 0
	.section	.AMDGPU.csdata,"",@progbits
; Kernel info:
; codeLenInByte = 0
; TotalNumSgprs: 0
; NumVgprs: 0
; ScratchSize: 0
; MemoryBound: 0
; FloatMode: 240
; IeeeMode: 1
; LDSByteSize: 0 bytes/workgroup (compile time only)
; SGPRBlocks: 0
; VGPRBlocks: 0
; NumSGPRsForWavesPerEU: 1
; NumVGPRsForWavesPerEU: 1
; NamedBarCnt: 0
; Occupancy: 16
; WaveLimiterHint : 0
; COMPUTE_PGM_RSRC2:SCRATCH_EN: 0
; COMPUTE_PGM_RSRC2:USER_SGPR: 2
; COMPUTE_PGM_RSRC2:TRAP_HANDLER: 0
; COMPUTE_PGM_RSRC2:TGID_X_EN: 1
; COMPUTE_PGM_RSRC2:TGID_Y_EN: 0
; COMPUTE_PGM_RSRC2:TGID_Z_EN: 0
; COMPUTE_PGM_RSRC2:TIDIG_COMP_CNT: 0
	.section	.text._ZN7rocprim17ROCPRIM_400000_NS6detail17trampoline_kernelINS0_14default_configENS1_21merge_config_selectorINS0_5tupleIJttEEENS0_10empty_typeEEEZNS1_10merge_implIS3_NS0_12zip_iteratorINS5_IJN6thrust23THRUST_200600_302600_NS6detail15normal_iteratorINSC_10device_ptrIKtEEEESI_EEEEESK_NSA_INS5_IJNSC_16discard_iteratorINSC_11use_defaultEEESN_EEEEEPS7_SQ_SQ_NSC_11hip_rocprim7__merge17predicate_wrapperIttNSC_4lessItEEEEEE10hipError_tPvRmT0_T1_T2_T3_T4_T5_mmT6_P12ihipStream_tbEUlT_E_NS1_11comp_targetILNS1_3genE10ELNS1_11target_archE1201ELNS1_3gpuE5ELNS1_3repE0EEENS1_30default_config_static_selectorELNS0_4arch9wavefront6targetE0EEEvS11_,"axG",@progbits,_ZN7rocprim17ROCPRIM_400000_NS6detail17trampoline_kernelINS0_14default_configENS1_21merge_config_selectorINS0_5tupleIJttEEENS0_10empty_typeEEEZNS1_10merge_implIS3_NS0_12zip_iteratorINS5_IJN6thrust23THRUST_200600_302600_NS6detail15normal_iteratorINSC_10device_ptrIKtEEEESI_EEEEESK_NSA_INS5_IJNSC_16discard_iteratorINSC_11use_defaultEEESN_EEEEEPS7_SQ_SQ_NSC_11hip_rocprim7__merge17predicate_wrapperIttNSC_4lessItEEEEEE10hipError_tPvRmT0_T1_T2_T3_T4_T5_mmT6_P12ihipStream_tbEUlT_E_NS1_11comp_targetILNS1_3genE10ELNS1_11target_archE1201ELNS1_3gpuE5ELNS1_3repE0EEENS1_30default_config_static_selectorELNS0_4arch9wavefront6targetE0EEEvS11_,comdat
	.protected	_ZN7rocprim17ROCPRIM_400000_NS6detail17trampoline_kernelINS0_14default_configENS1_21merge_config_selectorINS0_5tupleIJttEEENS0_10empty_typeEEEZNS1_10merge_implIS3_NS0_12zip_iteratorINS5_IJN6thrust23THRUST_200600_302600_NS6detail15normal_iteratorINSC_10device_ptrIKtEEEESI_EEEEESK_NSA_INS5_IJNSC_16discard_iteratorINSC_11use_defaultEEESN_EEEEEPS7_SQ_SQ_NSC_11hip_rocprim7__merge17predicate_wrapperIttNSC_4lessItEEEEEE10hipError_tPvRmT0_T1_T2_T3_T4_T5_mmT6_P12ihipStream_tbEUlT_E_NS1_11comp_targetILNS1_3genE10ELNS1_11target_archE1201ELNS1_3gpuE5ELNS1_3repE0EEENS1_30default_config_static_selectorELNS0_4arch9wavefront6targetE0EEEvS11_ ; -- Begin function _ZN7rocprim17ROCPRIM_400000_NS6detail17trampoline_kernelINS0_14default_configENS1_21merge_config_selectorINS0_5tupleIJttEEENS0_10empty_typeEEEZNS1_10merge_implIS3_NS0_12zip_iteratorINS5_IJN6thrust23THRUST_200600_302600_NS6detail15normal_iteratorINSC_10device_ptrIKtEEEESI_EEEEESK_NSA_INS5_IJNSC_16discard_iteratorINSC_11use_defaultEEESN_EEEEEPS7_SQ_SQ_NSC_11hip_rocprim7__merge17predicate_wrapperIttNSC_4lessItEEEEEE10hipError_tPvRmT0_T1_T2_T3_T4_T5_mmT6_P12ihipStream_tbEUlT_E_NS1_11comp_targetILNS1_3genE10ELNS1_11target_archE1201ELNS1_3gpuE5ELNS1_3repE0EEENS1_30default_config_static_selectorELNS0_4arch9wavefront6targetE0EEEvS11_
	.globl	_ZN7rocprim17ROCPRIM_400000_NS6detail17trampoline_kernelINS0_14default_configENS1_21merge_config_selectorINS0_5tupleIJttEEENS0_10empty_typeEEEZNS1_10merge_implIS3_NS0_12zip_iteratorINS5_IJN6thrust23THRUST_200600_302600_NS6detail15normal_iteratorINSC_10device_ptrIKtEEEESI_EEEEESK_NSA_INS5_IJNSC_16discard_iteratorINSC_11use_defaultEEESN_EEEEEPS7_SQ_SQ_NSC_11hip_rocprim7__merge17predicate_wrapperIttNSC_4lessItEEEEEE10hipError_tPvRmT0_T1_T2_T3_T4_T5_mmT6_P12ihipStream_tbEUlT_E_NS1_11comp_targetILNS1_3genE10ELNS1_11target_archE1201ELNS1_3gpuE5ELNS1_3repE0EEENS1_30default_config_static_selectorELNS0_4arch9wavefront6targetE0EEEvS11_
	.p2align	8
	.type	_ZN7rocprim17ROCPRIM_400000_NS6detail17trampoline_kernelINS0_14default_configENS1_21merge_config_selectorINS0_5tupleIJttEEENS0_10empty_typeEEEZNS1_10merge_implIS3_NS0_12zip_iteratorINS5_IJN6thrust23THRUST_200600_302600_NS6detail15normal_iteratorINSC_10device_ptrIKtEEEESI_EEEEESK_NSA_INS5_IJNSC_16discard_iteratorINSC_11use_defaultEEESN_EEEEEPS7_SQ_SQ_NSC_11hip_rocprim7__merge17predicate_wrapperIttNSC_4lessItEEEEEE10hipError_tPvRmT0_T1_T2_T3_T4_T5_mmT6_P12ihipStream_tbEUlT_E_NS1_11comp_targetILNS1_3genE10ELNS1_11target_archE1201ELNS1_3gpuE5ELNS1_3repE0EEENS1_30default_config_static_selectorELNS0_4arch9wavefront6targetE0EEEvS11_,@function
_ZN7rocprim17ROCPRIM_400000_NS6detail17trampoline_kernelINS0_14default_configENS1_21merge_config_selectorINS0_5tupleIJttEEENS0_10empty_typeEEEZNS1_10merge_implIS3_NS0_12zip_iteratorINS5_IJN6thrust23THRUST_200600_302600_NS6detail15normal_iteratorINSC_10device_ptrIKtEEEESI_EEEEESK_NSA_INS5_IJNSC_16discard_iteratorINSC_11use_defaultEEESN_EEEEEPS7_SQ_SQ_NSC_11hip_rocprim7__merge17predicate_wrapperIttNSC_4lessItEEEEEE10hipError_tPvRmT0_T1_T2_T3_T4_T5_mmT6_P12ihipStream_tbEUlT_E_NS1_11comp_targetILNS1_3genE10ELNS1_11target_archE1201ELNS1_3gpuE5ELNS1_3repE0EEENS1_30default_config_static_selectorELNS0_4arch9wavefront6targetE0EEEvS11_: ; @_ZN7rocprim17ROCPRIM_400000_NS6detail17trampoline_kernelINS0_14default_configENS1_21merge_config_selectorINS0_5tupleIJttEEENS0_10empty_typeEEEZNS1_10merge_implIS3_NS0_12zip_iteratorINS5_IJN6thrust23THRUST_200600_302600_NS6detail15normal_iteratorINSC_10device_ptrIKtEEEESI_EEEEESK_NSA_INS5_IJNSC_16discard_iteratorINSC_11use_defaultEEESN_EEEEEPS7_SQ_SQ_NSC_11hip_rocprim7__merge17predicate_wrapperIttNSC_4lessItEEEEEE10hipError_tPvRmT0_T1_T2_T3_T4_T5_mmT6_P12ihipStream_tbEUlT_E_NS1_11comp_targetILNS1_3genE10ELNS1_11target_archE1201ELNS1_3gpuE5ELNS1_3repE0EEENS1_30default_config_static_selectorELNS0_4arch9wavefront6targetE0EEEvS11_
; %bb.0:
	.section	.rodata,"a",@progbits
	.p2align	6, 0x0
	.amdhsa_kernel _ZN7rocprim17ROCPRIM_400000_NS6detail17trampoline_kernelINS0_14default_configENS1_21merge_config_selectorINS0_5tupleIJttEEENS0_10empty_typeEEEZNS1_10merge_implIS3_NS0_12zip_iteratorINS5_IJN6thrust23THRUST_200600_302600_NS6detail15normal_iteratorINSC_10device_ptrIKtEEEESI_EEEEESK_NSA_INS5_IJNSC_16discard_iteratorINSC_11use_defaultEEESN_EEEEEPS7_SQ_SQ_NSC_11hip_rocprim7__merge17predicate_wrapperIttNSC_4lessItEEEEEE10hipError_tPvRmT0_T1_T2_T3_T4_T5_mmT6_P12ihipStream_tbEUlT_E_NS1_11comp_targetILNS1_3genE10ELNS1_11target_archE1201ELNS1_3gpuE5ELNS1_3repE0EEENS1_30default_config_static_selectorELNS0_4arch9wavefront6targetE0EEEvS11_
		.amdhsa_group_segment_fixed_size 0
		.amdhsa_private_segment_fixed_size 0
		.amdhsa_kernarg_size 64
		.amdhsa_user_sgpr_count 2
		.amdhsa_user_sgpr_dispatch_ptr 0
		.amdhsa_user_sgpr_queue_ptr 0
		.amdhsa_user_sgpr_kernarg_segment_ptr 1
		.amdhsa_user_sgpr_dispatch_id 0
		.amdhsa_user_sgpr_kernarg_preload_length 0
		.amdhsa_user_sgpr_kernarg_preload_offset 0
		.amdhsa_user_sgpr_private_segment_size 0
		.amdhsa_wavefront_size32 1
		.amdhsa_uses_dynamic_stack 0
		.amdhsa_enable_private_segment 0
		.amdhsa_system_sgpr_workgroup_id_x 1
		.amdhsa_system_sgpr_workgroup_id_y 0
		.amdhsa_system_sgpr_workgroup_id_z 0
		.amdhsa_system_sgpr_workgroup_info 0
		.amdhsa_system_vgpr_workitem_id 0
		.amdhsa_next_free_vgpr 1
		.amdhsa_next_free_sgpr 1
		.amdhsa_named_barrier_count 0
		.amdhsa_reserve_vcc 0
		.amdhsa_float_round_mode_32 0
		.amdhsa_float_round_mode_16_64 0
		.amdhsa_float_denorm_mode_32 3
		.amdhsa_float_denorm_mode_16_64 3
		.amdhsa_fp16_overflow 0
		.amdhsa_memory_ordered 1
		.amdhsa_forward_progress 1
		.amdhsa_inst_pref_size 0
		.amdhsa_round_robin_scheduling 0
		.amdhsa_exception_fp_ieee_invalid_op 0
		.amdhsa_exception_fp_denorm_src 0
		.amdhsa_exception_fp_ieee_div_zero 0
		.amdhsa_exception_fp_ieee_overflow 0
		.amdhsa_exception_fp_ieee_underflow 0
		.amdhsa_exception_fp_ieee_inexact 0
		.amdhsa_exception_int_div_zero 0
	.end_amdhsa_kernel
	.section	.text._ZN7rocprim17ROCPRIM_400000_NS6detail17trampoline_kernelINS0_14default_configENS1_21merge_config_selectorINS0_5tupleIJttEEENS0_10empty_typeEEEZNS1_10merge_implIS3_NS0_12zip_iteratorINS5_IJN6thrust23THRUST_200600_302600_NS6detail15normal_iteratorINSC_10device_ptrIKtEEEESI_EEEEESK_NSA_INS5_IJNSC_16discard_iteratorINSC_11use_defaultEEESN_EEEEEPS7_SQ_SQ_NSC_11hip_rocprim7__merge17predicate_wrapperIttNSC_4lessItEEEEEE10hipError_tPvRmT0_T1_T2_T3_T4_T5_mmT6_P12ihipStream_tbEUlT_E_NS1_11comp_targetILNS1_3genE10ELNS1_11target_archE1201ELNS1_3gpuE5ELNS1_3repE0EEENS1_30default_config_static_selectorELNS0_4arch9wavefront6targetE0EEEvS11_,"axG",@progbits,_ZN7rocprim17ROCPRIM_400000_NS6detail17trampoline_kernelINS0_14default_configENS1_21merge_config_selectorINS0_5tupleIJttEEENS0_10empty_typeEEEZNS1_10merge_implIS3_NS0_12zip_iteratorINS5_IJN6thrust23THRUST_200600_302600_NS6detail15normal_iteratorINSC_10device_ptrIKtEEEESI_EEEEESK_NSA_INS5_IJNSC_16discard_iteratorINSC_11use_defaultEEESN_EEEEEPS7_SQ_SQ_NSC_11hip_rocprim7__merge17predicate_wrapperIttNSC_4lessItEEEEEE10hipError_tPvRmT0_T1_T2_T3_T4_T5_mmT6_P12ihipStream_tbEUlT_E_NS1_11comp_targetILNS1_3genE10ELNS1_11target_archE1201ELNS1_3gpuE5ELNS1_3repE0EEENS1_30default_config_static_selectorELNS0_4arch9wavefront6targetE0EEEvS11_,comdat
.Lfunc_end556:
	.size	_ZN7rocprim17ROCPRIM_400000_NS6detail17trampoline_kernelINS0_14default_configENS1_21merge_config_selectorINS0_5tupleIJttEEENS0_10empty_typeEEEZNS1_10merge_implIS3_NS0_12zip_iteratorINS5_IJN6thrust23THRUST_200600_302600_NS6detail15normal_iteratorINSC_10device_ptrIKtEEEESI_EEEEESK_NSA_INS5_IJNSC_16discard_iteratorINSC_11use_defaultEEESN_EEEEEPS7_SQ_SQ_NSC_11hip_rocprim7__merge17predicate_wrapperIttNSC_4lessItEEEEEE10hipError_tPvRmT0_T1_T2_T3_T4_T5_mmT6_P12ihipStream_tbEUlT_E_NS1_11comp_targetILNS1_3genE10ELNS1_11target_archE1201ELNS1_3gpuE5ELNS1_3repE0EEENS1_30default_config_static_selectorELNS0_4arch9wavefront6targetE0EEEvS11_, .Lfunc_end556-_ZN7rocprim17ROCPRIM_400000_NS6detail17trampoline_kernelINS0_14default_configENS1_21merge_config_selectorINS0_5tupleIJttEEENS0_10empty_typeEEEZNS1_10merge_implIS3_NS0_12zip_iteratorINS5_IJN6thrust23THRUST_200600_302600_NS6detail15normal_iteratorINSC_10device_ptrIKtEEEESI_EEEEESK_NSA_INS5_IJNSC_16discard_iteratorINSC_11use_defaultEEESN_EEEEEPS7_SQ_SQ_NSC_11hip_rocprim7__merge17predicate_wrapperIttNSC_4lessItEEEEEE10hipError_tPvRmT0_T1_T2_T3_T4_T5_mmT6_P12ihipStream_tbEUlT_E_NS1_11comp_targetILNS1_3genE10ELNS1_11target_archE1201ELNS1_3gpuE5ELNS1_3repE0EEENS1_30default_config_static_selectorELNS0_4arch9wavefront6targetE0EEEvS11_
                                        ; -- End function
	.set _ZN7rocprim17ROCPRIM_400000_NS6detail17trampoline_kernelINS0_14default_configENS1_21merge_config_selectorINS0_5tupleIJttEEENS0_10empty_typeEEEZNS1_10merge_implIS3_NS0_12zip_iteratorINS5_IJN6thrust23THRUST_200600_302600_NS6detail15normal_iteratorINSC_10device_ptrIKtEEEESI_EEEEESK_NSA_INS5_IJNSC_16discard_iteratorINSC_11use_defaultEEESN_EEEEEPS7_SQ_SQ_NSC_11hip_rocprim7__merge17predicate_wrapperIttNSC_4lessItEEEEEE10hipError_tPvRmT0_T1_T2_T3_T4_T5_mmT6_P12ihipStream_tbEUlT_E_NS1_11comp_targetILNS1_3genE10ELNS1_11target_archE1201ELNS1_3gpuE5ELNS1_3repE0EEENS1_30default_config_static_selectorELNS0_4arch9wavefront6targetE0EEEvS11_.num_vgpr, 0
	.set _ZN7rocprim17ROCPRIM_400000_NS6detail17trampoline_kernelINS0_14default_configENS1_21merge_config_selectorINS0_5tupleIJttEEENS0_10empty_typeEEEZNS1_10merge_implIS3_NS0_12zip_iteratorINS5_IJN6thrust23THRUST_200600_302600_NS6detail15normal_iteratorINSC_10device_ptrIKtEEEESI_EEEEESK_NSA_INS5_IJNSC_16discard_iteratorINSC_11use_defaultEEESN_EEEEEPS7_SQ_SQ_NSC_11hip_rocprim7__merge17predicate_wrapperIttNSC_4lessItEEEEEE10hipError_tPvRmT0_T1_T2_T3_T4_T5_mmT6_P12ihipStream_tbEUlT_E_NS1_11comp_targetILNS1_3genE10ELNS1_11target_archE1201ELNS1_3gpuE5ELNS1_3repE0EEENS1_30default_config_static_selectorELNS0_4arch9wavefront6targetE0EEEvS11_.num_agpr, 0
	.set _ZN7rocprim17ROCPRIM_400000_NS6detail17trampoline_kernelINS0_14default_configENS1_21merge_config_selectorINS0_5tupleIJttEEENS0_10empty_typeEEEZNS1_10merge_implIS3_NS0_12zip_iteratorINS5_IJN6thrust23THRUST_200600_302600_NS6detail15normal_iteratorINSC_10device_ptrIKtEEEESI_EEEEESK_NSA_INS5_IJNSC_16discard_iteratorINSC_11use_defaultEEESN_EEEEEPS7_SQ_SQ_NSC_11hip_rocprim7__merge17predicate_wrapperIttNSC_4lessItEEEEEE10hipError_tPvRmT0_T1_T2_T3_T4_T5_mmT6_P12ihipStream_tbEUlT_E_NS1_11comp_targetILNS1_3genE10ELNS1_11target_archE1201ELNS1_3gpuE5ELNS1_3repE0EEENS1_30default_config_static_selectorELNS0_4arch9wavefront6targetE0EEEvS11_.numbered_sgpr, 0
	.set _ZN7rocprim17ROCPRIM_400000_NS6detail17trampoline_kernelINS0_14default_configENS1_21merge_config_selectorINS0_5tupleIJttEEENS0_10empty_typeEEEZNS1_10merge_implIS3_NS0_12zip_iteratorINS5_IJN6thrust23THRUST_200600_302600_NS6detail15normal_iteratorINSC_10device_ptrIKtEEEESI_EEEEESK_NSA_INS5_IJNSC_16discard_iteratorINSC_11use_defaultEEESN_EEEEEPS7_SQ_SQ_NSC_11hip_rocprim7__merge17predicate_wrapperIttNSC_4lessItEEEEEE10hipError_tPvRmT0_T1_T2_T3_T4_T5_mmT6_P12ihipStream_tbEUlT_E_NS1_11comp_targetILNS1_3genE10ELNS1_11target_archE1201ELNS1_3gpuE5ELNS1_3repE0EEENS1_30default_config_static_selectorELNS0_4arch9wavefront6targetE0EEEvS11_.num_named_barrier, 0
	.set _ZN7rocprim17ROCPRIM_400000_NS6detail17trampoline_kernelINS0_14default_configENS1_21merge_config_selectorINS0_5tupleIJttEEENS0_10empty_typeEEEZNS1_10merge_implIS3_NS0_12zip_iteratorINS5_IJN6thrust23THRUST_200600_302600_NS6detail15normal_iteratorINSC_10device_ptrIKtEEEESI_EEEEESK_NSA_INS5_IJNSC_16discard_iteratorINSC_11use_defaultEEESN_EEEEEPS7_SQ_SQ_NSC_11hip_rocprim7__merge17predicate_wrapperIttNSC_4lessItEEEEEE10hipError_tPvRmT0_T1_T2_T3_T4_T5_mmT6_P12ihipStream_tbEUlT_E_NS1_11comp_targetILNS1_3genE10ELNS1_11target_archE1201ELNS1_3gpuE5ELNS1_3repE0EEENS1_30default_config_static_selectorELNS0_4arch9wavefront6targetE0EEEvS11_.private_seg_size, 0
	.set _ZN7rocprim17ROCPRIM_400000_NS6detail17trampoline_kernelINS0_14default_configENS1_21merge_config_selectorINS0_5tupleIJttEEENS0_10empty_typeEEEZNS1_10merge_implIS3_NS0_12zip_iteratorINS5_IJN6thrust23THRUST_200600_302600_NS6detail15normal_iteratorINSC_10device_ptrIKtEEEESI_EEEEESK_NSA_INS5_IJNSC_16discard_iteratorINSC_11use_defaultEEESN_EEEEEPS7_SQ_SQ_NSC_11hip_rocprim7__merge17predicate_wrapperIttNSC_4lessItEEEEEE10hipError_tPvRmT0_T1_T2_T3_T4_T5_mmT6_P12ihipStream_tbEUlT_E_NS1_11comp_targetILNS1_3genE10ELNS1_11target_archE1201ELNS1_3gpuE5ELNS1_3repE0EEENS1_30default_config_static_selectorELNS0_4arch9wavefront6targetE0EEEvS11_.uses_vcc, 0
	.set _ZN7rocprim17ROCPRIM_400000_NS6detail17trampoline_kernelINS0_14default_configENS1_21merge_config_selectorINS0_5tupleIJttEEENS0_10empty_typeEEEZNS1_10merge_implIS3_NS0_12zip_iteratorINS5_IJN6thrust23THRUST_200600_302600_NS6detail15normal_iteratorINSC_10device_ptrIKtEEEESI_EEEEESK_NSA_INS5_IJNSC_16discard_iteratorINSC_11use_defaultEEESN_EEEEEPS7_SQ_SQ_NSC_11hip_rocprim7__merge17predicate_wrapperIttNSC_4lessItEEEEEE10hipError_tPvRmT0_T1_T2_T3_T4_T5_mmT6_P12ihipStream_tbEUlT_E_NS1_11comp_targetILNS1_3genE10ELNS1_11target_archE1201ELNS1_3gpuE5ELNS1_3repE0EEENS1_30default_config_static_selectorELNS0_4arch9wavefront6targetE0EEEvS11_.uses_flat_scratch, 0
	.set _ZN7rocprim17ROCPRIM_400000_NS6detail17trampoline_kernelINS0_14default_configENS1_21merge_config_selectorINS0_5tupleIJttEEENS0_10empty_typeEEEZNS1_10merge_implIS3_NS0_12zip_iteratorINS5_IJN6thrust23THRUST_200600_302600_NS6detail15normal_iteratorINSC_10device_ptrIKtEEEESI_EEEEESK_NSA_INS5_IJNSC_16discard_iteratorINSC_11use_defaultEEESN_EEEEEPS7_SQ_SQ_NSC_11hip_rocprim7__merge17predicate_wrapperIttNSC_4lessItEEEEEE10hipError_tPvRmT0_T1_T2_T3_T4_T5_mmT6_P12ihipStream_tbEUlT_E_NS1_11comp_targetILNS1_3genE10ELNS1_11target_archE1201ELNS1_3gpuE5ELNS1_3repE0EEENS1_30default_config_static_selectorELNS0_4arch9wavefront6targetE0EEEvS11_.has_dyn_sized_stack, 0
	.set _ZN7rocprim17ROCPRIM_400000_NS6detail17trampoline_kernelINS0_14default_configENS1_21merge_config_selectorINS0_5tupleIJttEEENS0_10empty_typeEEEZNS1_10merge_implIS3_NS0_12zip_iteratorINS5_IJN6thrust23THRUST_200600_302600_NS6detail15normal_iteratorINSC_10device_ptrIKtEEEESI_EEEEESK_NSA_INS5_IJNSC_16discard_iteratorINSC_11use_defaultEEESN_EEEEEPS7_SQ_SQ_NSC_11hip_rocprim7__merge17predicate_wrapperIttNSC_4lessItEEEEEE10hipError_tPvRmT0_T1_T2_T3_T4_T5_mmT6_P12ihipStream_tbEUlT_E_NS1_11comp_targetILNS1_3genE10ELNS1_11target_archE1201ELNS1_3gpuE5ELNS1_3repE0EEENS1_30default_config_static_selectorELNS0_4arch9wavefront6targetE0EEEvS11_.has_recursion, 0
	.set _ZN7rocprim17ROCPRIM_400000_NS6detail17trampoline_kernelINS0_14default_configENS1_21merge_config_selectorINS0_5tupleIJttEEENS0_10empty_typeEEEZNS1_10merge_implIS3_NS0_12zip_iteratorINS5_IJN6thrust23THRUST_200600_302600_NS6detail15normal_iteratorINSC_10device_ptrIKtEEEESI_EEEEESK_NSA_INS5_IJNSC_16discard_iteratorINSC_11use_defaultEEESN_EEEEEPS7_SQ_SQ_NSC_11hip_rocprim7__merge17predicate_wrapperIttNSC_4lessItEEEEEE10hipError_tPvRmT0_T1_T2_T3_T4_T5_mmT6_P12ihipStream_tbEUlT_E_NS1_11comp_targetILNS1_3genE10ELNS1_11target_archE1201ELNS1_3gpuE5ELNS1_3repE0EEENS1_30default_config_static_selectorELNS0_4arch9wavefront6targetE0EEEvS11_.has_indirect_call, 0
	.section	.AMDGPU.csdata,"",@progbits
; Kernel info:
; codeLenInByte = 0
; TotalNumSgprs: 0
; NumVgprs: 0
; ScratchSize: 0
; MemoryBound: 0
; FloatMode: 240
; IeeeMode: 1
; LDSByteSize: 0 bytes/workgroup (compile time only)
; SGPRBlocks: 0
; VGPRBlocks: 0
; NumSGPRsForWavesPerEU: 1
; NumVGPRsForWavesPerEU: 1
; NamedBarCnt: 0
; Occupancy: 16
; WaveLimiterHint : 0
; COMPUTE_PGM_RSRC2:SCRATCH_EN: 0
; COMPUTE_PGM_RSRC2:USER_SGPR: 2
; COMPUTE_PGM_RSRC2:TRAP_HANDLER: 0
; COMPUTE_PGM_RSRC2:TGID_X_EN: 1
; COMPUTE_PGM_RSRC2:TGID_Y_EN: 0
; COMPUTE_PGM_RSRC2:TGID_Z_EN: 0
; COMPUTE_PGM_RSRC2:TIDIG_COMP_CNT: 0
	.section	.text._ZN7rocprim17ROCPRIM_400000_NS6detail17trampoline_kernelINS0_14default_configENS1_21merge_config_selectorINS0_5tupleIJttEEENS0_10empty_typeEEEZNS1_10merge_implIS3_NS0_12zip_iteratorINS5_IJN6thrust23THRUST_200600_302600_NS6detail15normal_iteratorINSC_10device_ptrIKtEEEESI_EEEEESK_NSA_INS5_IJNSC_16discard_iteratorINSC_11use_defaultEEESN_EEEEEPS7_SQ_SQ_NSC_11hip_rocprim7__merge17predicate_wrapperIttNSC_4lessItEEEEEE10hipError_tPvRmT0_T1_T2_T3_T4_T5_mmT6_P12ihipStream_tbEUlT_E_NS1_11comp_targetILNS1_3genE10ELNS1_11target_archE1200ELNS1_3gpuE4ELNS1_3repE0EEENS1_30default_config_static_selectorELNS0_4arch9wavefront6targetE0EEEvS11_,"axG",@progbits,_ZN7rocprim17ROCPRIM_400000_NS6detail17trampoline_kernelINS0_14default_configENS1_21merge_config_selectorINS0_5tupleIJttEEENS0_10empty_typeEEEZNS1_10merge_implIS3_NS0_12zip_iteratorINS5_IJN6thrust23THRUST_200600_302600_NS6detail15normal_iteratorINSC_10device_ptrIKtEEEESI_EEEEESK_NSA_INS5_IJNSC_16discard_iteratorINSC_11use_defaultEEESN_EEEEEPS7_SQ_SQ_NSC_11hip_rocprim7__merge17predicate_wrapperIttNSC_4lessItEEEEEE10hipError_tPvRmT0_T1_T2_T3_T4_T5_mmT6_P12ihipStream_tbEUlT_E_NS1_11comp_targetILNS1_3genE10ELNS1_11target_archE1200ELNS1_3gpuE4ELNS1_3repE0EEENS1_30default_config_static_selectorELNS0_4arch9wavefront6targetE0EEEvS11_,comdat
	.protected	_ZN7rocprim17ROCPRIM_400000_NS6detail17trampoline_kernelINS0_14default_configENS1_21merge_config_selectorINS0_5tupleIJttEEENS0_10empty_typeEEEZNS1_10merge_implIS3_NS0_12zip_iteratorINS5_IJN6thrust23THRUST_200600_302600_NS6detail15normal_iteratorINSC_10device_ptrIKtEEEESI_EEEEESK_NSA_INS5_IJNSC_16discard_iteratorINSC_11use_defaultEEESN_EEEEEPS7_SQ_SQ_NSC_11hip_rocprim7__merge17predicate_wrapperIttNSC_4lessItEEEEEE10hipError_tPvRmT0_T1_T2_T3_T4_T5_mmT6_P12ihipStream_tbEUlT_E_NS1_11comp_targetILNS1_3genE10ELNS1_11target_archE1200ELNS1_3gpuE4ELNS1_3repE0EEENS1_30default_config_static_selectorELNS0_4arch9wavefront6targetE0EEEvS11_ ; -- Begin function _ZN7rocprim17ROCPRIM_400000_NS6detail17trampoline_kernelINS0_14default_configENS1_21merge_config_selectorINS0_5tupleIJttEEENS0_10empty_typeEEEZNS1_10merge_implIS3_NS0_12zip_iteratorINS5_IJN6thrust23THRUST_200600_302600_NS6detail15normal_iteratorINSC_10device_ptrIKtEEEESI_EEEEESK_NSA_INS5_IJNSC_16discard_iteratorINSC_11use_defaultEEESN_EEEEEPS7_SQ_SQ_NSC_11hip_rocprim7__merge17predicate_wrapperIttNSC_4lessItEEEEEE10hipError_tPvRmT0_T1_T2_T3_T4_T5_mmT6_P12ihipStream_tbEUlT_E_NS1_11comp_targetILNS1_3genE10ELNS1_11target_archE1200ELNS1_3gpuE4ELNS1_3repE0EEENS1_30default_config_static_selectorELNS0_4arch9wavefront6targetE0EEEvS11_
	.globl	_ZN7rocprim17ROCPRIM_400000_NS6detail17trampoline_kernelINS0_14default_configENS1_21merge_config_selectorINS0_5tupleIJttEEENS0_10empty_typeEEEZNS1_10merge_implIS3_NS0_12zip_iteratorINS5_IJN6thrust23THRUST_200600_302600_NS6detail15normal_iteratorINSC_10device_ptrIKtEEEESI_EEEEESK_NSA_INS5_IJNSC_16discard_iteratorINSC_11use_defaultEEESN_EEEEEPS7_SQ_SQ_NSC_11hip_rocprim7__merge17predicate_wrapperIttNSC_4lessItEEEEEE10hipError_tPvRmT0_T1_T2_T3_T4_T5_mmT6_P12ihipStream_tbEUlT_E_NS1_11comp_targetILNS1_3genE10ELNS1_11target_archE1200ELNS1_3gpuE4ELNS1_3repE0EEENS1_30default_config_static_selectorELNS0_4arch9wavefront6targetE0EEEvS11_
	.p2align	8
	.type	_ZN7rocprim17ROCPRIM_400000_NS6detail17trampoline_kernelINS0_14default_configENS1_21merge_config_selectorINS0_5tupleIJttEEENS0_10empty_typeEEEZNS1_10merge_implIS3_NS0_12zip_iteratorINS5_IJN6thrust23THRUST_200600_302600_NS6detail15normal_iteratorINSC_10device_ptrIKtEEEESI_EEEEESK_NSA_INS5_IJNSC_16discard_iteratorINSC_11use_defaultEEESN_EEEEEPS7_SQ_SQ_NSC_11hip_rocprim7__merge17predicate_wrapperIttNSC_4lessItEEEEEE10hipError_tPvRmT0_T1_T2_T3_T4_T5_mmT6_P12ihipStream_tbEUlT_E_NS1_11comp_targetILNS1_3genE10ELNS1_11target_archE1200ELNS1_3gpuE4ELNS1_3repE0EEENS1_30default_config_static_selectorELNS0_4arch9wavefront6targetE0EEEvS11_,@function
_ZN7rocprim17ROCPRIM_400000_NS6detail17trampoline_kernelINS0_14default_configENS1_21merge_config_selectorINS0_5tupleIJttEEENS0_10empty_typeEEEZNS1_10merge_implIS3_NS0_12zip_iteratorINS5_IJN6thrust23THRUST_200600_302600_NS6detail15normal_iteratorINSC_10device_ptrIKtEEEESI_EEEEESK_NSA_INS5_IJNSC_16discard_iteratorINSC_11use_defaultEEESN_EEEEEPS7_SQ_SQ_NSC_11hip_rocprim7__merge17predicate_wrapperIttNSC_4lessItEEEEEE10hipError_tPvRmT0_T1_T2_T3_T4_T5_mmT6_P12ihipStream_tbEUlT_E_NS1_11comp_targetILNS1_3genE10ELNS1_11target_archE1200ELNS1_3gpuE4ELNS1_3repE0EEENS1_30default_config_static_selectorELNS0_4arch9wavefront6targetE0EEEvS11_: ; @_ZN7rocprim17ROCPRIM_400000_NS6detail17trampoline_kernelINS0_14default_configENS1_21merge_config_selectorINS0_5tupleIJttEEENS0_10empty_typeEEEZNS1_10merge_implIS3_NS0_12zip_iteratorINS5_IJN6thrust23THRUST_200600_302600_NS6detail15normal_iteratorINSC_10device_ptrIKtEEEESI_EEEEESK_NSA_INS5_IJNSC_16discard_iteratorINSC_11use_defaultEEESN_EEEEEPS7_SQ_SQ_NSC_11hip_rocprim7__merge17predicate_wrapperIttNSC_4lessItEEEEEE10hipError_tPvRmT0_T1_T2_T3_T4_T5_mmT6_P12ihipStream_tbEUlT_E_NS1_11comp_targetILNS1_3genE10ELNS1_11target_archE1200ELNS1_3gpuE4ELNS1_3repE0EEENS1_30default_config_static_selectorELNS0_4arch9wavefront6targetE0EEEvS11_
; %bb.0:
	.section	.rodata,"a",@progbits
	.p2align	6, 0x0
	.amdhsa_kernel _ZN7rocprim17ROCPRIM_400000_NS6detail17trampoline_kernelINS0_14default_configENS1_21merge_config_selectorINS0_5tupleIJttEEENS0_10empty_typeEEEZNS1_10merge_implIS3_NS0_12zip_iteratorINS5_IJN6thrust23THRUST_200600_302600_NS6detail15normal_iteratorINSC_10device_ptrIKtEEEESI_EEEEESK_NSA_INS5_IJNSC_16discard_iteratorINSC_11use_defaultEEESN_EEEEEPS7_SQ_SQ_NSC_11hip_rocprim7__merge17predicate_wrapperIttNSC_4lessItEEEEEE10hipError_tPvRmT0_T1_T2_T3_T4_T5_mmT6_P12ihipStream_tbEUlT_E_NS1_11comp_targetILNS1_3genE10ELNS1_11target_archE1200ELNS1_3gpuE4ELNS1_3repE0EEENS1_30default_config_static_selectorELNS0_4arch9wavefront6targetE0EEEvS11_
		.amdhsa_group_segment_fixed_size 0
		.amdhsa_private_segment_fixed_size 0
		.amdhsa_kernarg_size 64
		.amdhsa_user_sgpr_count 2
		.amdhsa_user_sgpr_dispatch_ptr 0
		.amdhsa_user_sgpr_queue_ptr 0
		.amdhsa_user_sgpr_kernarg_segment_ptr 1
		.amdhsa_user_sgpr_dispatch_id 0
		.amdhsa_user_sgpr_kernarg_preload_length 0
		.amdhsa_user_sgpr_kernarg_preload_offset 0
		.amdhsa_user_sgpr_private_segment_size 0
		.amdhsa_wavefront_size32 1
		.amdhsa_uses_dynamic_stack 0
		.amdhsa_enable_private_segment 0
		.amdhsa_system_sgpr_workgroup_id_x 1
		.amdhsa_system_sgpr_workgroup_id_y 0
		.amdhsa_system_sgpr_workgroup_id_z 0
		.amdhsa_system_sgpr_workgroup_info 0
		.amdhsa_system_vgpr_workitem_id 0
		.amdhsa_next_free_vgpr 1
		.amdhsa_next_free_sgpr 1
		.amdhsa_named_barrier_count 0
		.amdhsa_reserve_vcc 0
		.amdhsa_float_round_mode_32 0
		.amdhsa_float_round_mode_16_64 0
		.amdhsa_float_denorm_mode_32 3
		.amdhsa_float_denorm_mode_16_64 3
		.amdhsa_fp16_overflow 0
		.amdhsa_memory_ordered 1
		.amdhsa_forward_progress 1
		.amdhsa_inst_pref_size 0
		.amdhsa_round_robin_scheduling 0
		.amdhsa_exception_fp_ieee_invalid_op 0
		.amdhsa_exception_fp_denorm_src 0
		.amdhsa_exception_fp_ieee_div_zero 0
		.amdhsa_exception_fp_ieee_overflow 0
		.amdhsa_exception_fp_ieee_underflow 0
		.amdhsa_exception_fp_ieee_inexact 0
		.amdhsa_exception_int_div_zero 0
	.end_amdhsa_kernel
	.section	.text._ZN7rocprim17ROCPRIM_400000_NS6detail17trampoline_kernelINS0_14default_configENS1_21merge_config_selectorINS0_5tupleIJttEEENS0_10empty_typeEEEZNS1_10merge_implIS3_NS0_12zip_iteratorINS5_IJN6thrust23THRUST_200600_302600_NS6detail15normal_iteratorINSC_10device_ptrIKtEEEESI_EEEEESK_NSA_INS5_IJNSC_16discard_iteratorINSC_11use_defaultEEESN_EEEEEPS7_SQ_SQ_NSC_11hip_rocprim7__merge17predicate_wrapperIttNSC_4lessItEEEEEE10hipError_tPvRmT0_T1_T2_T3_T4_T5_mmT6_P12ihipStream_tbEUlT_E_NS1_11comp_targetILNS1_3genE10ELNS1_11target_archE1200ELNS1_3gpuE4ELNS1_3repE0EEENS1_30default_config_static_selectorELNS0_4arch9wavefront6targetE0EEEvS11_,"axG",@progbits,_ZN7rocprim17ROCPRIM_400000_NS6detail17trampoline_kernelINS0_14default_configENS1_21merge_config_selectorINS0_5tupleIJttEEENS0_10empty_typeEEEZNS1_10merge_implIS3_NS0_12zip_iteratorINS5_IJN6thrust23THRUST_200600_302600_NS6detail15normal_iteratorINSC_10device_ptrIKtEEEESI_EEEEESK_NSA_INS5_IJNSC_16discard_iteratorINSC_11use_defaultEEESN_EEEEEPS7_SQ_SQ_NSC_11hip_rocprim7__merge17predicate_wrapperIttNSC_4lessItEEEEEE10hipError_tPvRmT0_T1_T2_T3_T4_T5_mmT6_P12ihipStream_tbEUlT_E_NS1_11comp_targetILNS1_3genE10ELNS1_11target_archE1200ELNS1_3gpuE4ELNS1_3repE0EEENS1_30default_config_static_selectorELNS0_4arch9wavefront6targetE0EEEvS11_,comdat
.Lfunc_end557:
	.size	_ZN7rocprim17ROCPRIM_400000_NS6detail17trampoline_kernelINS0_14default_configENS1_21merge_config_selectorINS0_5tupleIJttEEENS0_10empty_typeEEEZNS1_10merge_implIS3_NS0_12zip_iteratorINS5_IJN6thrust23THRUST_200600_302600_NS6detail15normal_iteratorINSC_10device_ptrIKtEEEESI_EEEEESK_NSA_INS5_IJNSC_16discard_iteratorINSC_11use_defaultEEESN_EEEEEPS7_SQ_SQ_NSC_11hip_rocprim7__merge17predicate_wrapperIttNSC_4lessItEEEEEE10hipError_tPvRmT0_T1_T2_T3_T4_T5_mmT6_P12ihipStream_tbEUlT_E_NS1_11comp_targetILNS1_3genE10ELNS1_11target_archE1200ELNS1_3gpuE4ELNS1_3repE0EEENS1_30default_config_static_selectorELNS0_4arch9wavefront6targetE0EEEvS11_, .Lfunc_end557-_ZN7rocprim17ROCPRIM_400000_NS6detail17trampoline_kernelINS0_14default_configENS1_21merge_config_selectorINS0_5tupleIJttEEENS0_10empty_typeEEEZNS1_10merge_implIS3_NS0_12zip_iteratorINS5_IJN6thrust23THRUST_200600_302600_NS6detail15normal_iteratorINSC_10device_ptrIKtEEEESI_EEEEESK_NSA_INS5_IJNSC_16discard_iteratorINSC_11use_defaultEEESN_EEEEEPS7_SQ_SQ_NSC_11hip_rocprim7__merge17predicate_wrapperIttNSC_4lessItEEEEEE10hipError_tPvRmT0_T1_T2_T3_T4_T5_mmT6_P12ihipStream_tbEUlT_E_NS1_11comp_targetILNS1_3genE10ELNS1_11target_archE1200ELNS1_3gpuE4ELNS1_3repE0EEENS1_30default_config_static_selectorELNS0_4arch9wavefront6targetE0EEEvS11_
                                        ; -- End function
	.set _ZN7rocprim17ROCPRIM_400000_NS6detail17trampoline_kernelINS0_14default_configENS1_21merge_config_selectorINS0_5tupleIJttEEENS0_10empty_typeEEEZNS1_10merge_implIS3_NS0_12zip_iteratorINS5_IJN6thrust23THRUST_200600_302600_NS6detail15normal_iteratorINSC_10device_ptrIKtEEEESI_EEEEESK_NSA_INS5_IJNSC_16discard_iteratorINSC_11use_defaultEEESN_EEEEEPS7_SQ_SQ_NSC_11hip_rocprim7__merge17predicate_wrapperIttNSC_4lessItEEEEEE10hipError_tPvRmT0_T1_T2_T3_T4_T5_mmT6_P12ihipStream_tbEUlT_E_NS1_11comp_targetILNS1_3genE10ELNS1_11target_archE1200ELNS1_3gpuE4ELNS1_3repE0EEENS1_30default_config_static_selectorELNS0_4arch9wavefront6targetE0EEEvS11_.num_vgpr, 0
	.set _ZN7rocprim17ROCPRIM_400000_NS6detail17trampoline_kernelINS0_14default_configENS1_21merge_config_selectorINS0_5tupleIJttEEENS0_10empty_typeEEEZNS1_10merge_implIS3_NS0_12zip_iteratorINS5_IJN6thrust23THRUST_200600_302600_NS6detail15normal_iteratorINSC_10device_ptrIKtEEEESI_EEEEESK_NSA_INS5_IJNSC_16discard_iteratorINSC_11use_defaultEEESN_EEEEEPS7_SQ_SQ_NSC_11hip_rocprim7__merge17predicate_wrapperIttNSC_4lessItEEEEEE10hipError_tPvRmT0_T1_T2_T3_T4_T5_mmT6_P12ihipStream_tbEUlT_E_NS1_11comp_targetILNS1_3genE10ELNS1_11target_archE1200ELNS1_3gpuE4ELNS1_3repE0EEENS1_30default_config_static_selectorELNS0_4arch9wavefront6targetE0EEEvS11_.num_agpr, 0
	.set _ZN7rocprim17ROCPRIM_400000_NS6detail17trampoline_kernelINS0_14default_configENS1_21merge_config_selectorINS0_5tupleIJttEEENS0_10empty_typeEEEZNS1_10merge_implIS3_NS0_12zip_iteratorINS5_IJN6thrust23THRUST_200600_302600_NS6detail15normal_iteratorINSC_10device_ptrIKtEEEESI_EEEEESK_NSA_INS5_IJNSC_16discard_iteratorINSC_11use_defaultEEESN_EEEEEPS7_SQ_SQ_NSC_11hip_rocprim7__merge17predicate_wrapperIttNSC_4lessItEEEEEE10hipError_tPvRmT0_T1_T2_T3_T4_T5_mmT6_P12ihipStream_tbEUlT_E_NS1_11comp_targetILNS1_3genE10ELNS1_11target_archE1200ELNS1_3gpuE4ELNS1_3repE0EEENS1_30default_config_static_selectorELNS0_4arch9wavefront6targetE0EEEvS11_.numbered_sgpr, 0
	.set _ZN7rocprim17ROCPRIM_400000_NS6detail17trampoline_kernelINS0_14default_configENS1_21merge_config_selectorINS0_5tupleIJttEEENS0_10empty_typeEEEZNS1_10merge_implIS3_NS0_12zip_iteratorINS5_IJN6thrust23THRUST_200600_302600_NS6detail15normal_iteratorINSC_10device_ptrIKtEEEESI_EEEEESK_NSA_INS5_IJNSC_16discard_iteratorINSC_11use_defaultEEESN_EEEEEPS7_SQ_SQ_NSC_11hip_rocprim7__merge17predicate_wrapperIttNSC_4lessItEEEEEE10hipError_tPvRmT0_T1_T2_T3_T4_T5_mmT6_P12ihipStream_tbEUlT_E_NS1_11comp_targetILNS1_3genE10ELNS1_11target_archE1200ELNS1_3gpuE4ELNS1_3repE0EEENS1_30default_config_static_selectorELNS0_4arch9wavefront6targetE0EEEvS11_.num_named_barrier, 0
	.set _ZN7rocprim17ROCPRIM_400000_NS6detail17trampoline_kernelINS0_14default_configENS1_21merge_config_selectorINS0_5tupleIJttEEENS0_10empty_typeEEEZNS1_10merge_implIS3_NS0_12zip_iteratorINS5_IJN6thrust23THRUST_200600_302600_NS6detail15normal_iteratorINSC_10device_ptrIKtEEEESI_EEEEESK_NSA_INS5_IJNSC_16discard_iteratorINSC_11use_defaultEEESN_EEEEEPS7_SQ_SQ_NSC_11hip_rocprim7__merge17predicate_wrapperIttNSC_4lessItEEEEEE10hipError_tPvRmT0_T1_T2_T3_T4_T5_mmT6_P12ihipStream_tbEUlT_E_NS1_11comp_targetILNS1_3genE10ELNS1_11target_archE1200ELNS1_3gpuE4ELNS1_3repE0EEENS1_30default_config_static_selectorELNS0_4arch9wavefront6targetE0EEEvS11_.private_seg_size, 0
	.set _ZN7rocprim17ROCPRIM_400000_NS6detail17trampoline_kernelINS0_14default_configENS1_21merge_config_selectorINS0_5tupleIJttEEENS0_10empty_typeEEEZNS1_10merge_implIS3_NS0_12zip_iteratorINS5_IJN6thrust23THRUST_200600_302600_NS6detail15normal_iteratorINSC_10device_ptrIKtEEEESI_EEEEESK_NSA_INS5_IJNSC_16discard_iteratorINSC_11use_defaultEEESN_EEEEEPS7_SQ_SQ_NSC_11hip_rocprim7__merge17predicate_wrapperIttNSC_4lessItEEEEEE10hipError_tPvRmT0_T1_T2_T3_T4_T5_mmT6_P12ihipStream_tbEUlT_E_NS1_11comp_targetILNS1_3genE10ELNS1_11target_archE1200ELNS1_3gpuE4ELNS1_3repE0EEENS1_30default_config_static_selectorELNS0_4arch9wavefront6targetE0EEEvS11_.uses_vcc, 0
	.set _ZN7rocprim17ROCPRIM_400000_NS6detail17trampoline_kernelINS0_14default_configENS1_21merge_config_selectorINS0_5tupleIJttEEENS0_10empty_typeEEEZNS1_10merge_implIS3_NS0_12zip_iteratorINS5_IJN6thrust23THRUST_200600_302600_NS6detail15normal_iteratorINSC_10device_ptrIKtEEEESI_EEEEESK_NSA_INS5_IJNSC_16discard_iteratorINSC_11use_defaultEEESN_EEEEEPS7_SQ_SQ_NSC_11hip_rocprim7__merge17predicate_wrapperIttNSC_4lessItEEEEEE10hipError_tPvRmT0_T1_T2_T3_T4_T5_mmT6_P12ihipStream_tbEUlT_E_NS1_11comp_targetILNS1_3genE10ELNS1_11target_archE1200ELNS1_3gpuE4ELNS1_3repE0EEENS1_30default_config_static_selectorELNS0_4arch9wavefront6targetE0EEEvS11_.uses_flat_scratch, 0
	.set _ZN7rocprim17ROCPRIM_400000_NS6detail17trampoline_kernelINS0_14default_configENS1_21merge_config_selectorINS0_5tupleIJttEEENS0_10empty_typeEEEZNS1_10merge_implIS3_NS0_12zip_iteratorINS5_IJN6thrust23THRUST_200600_302600_NS6detail15normal_iteratorINSC_10device_ptrIKtEEEESI_EEEEESK_NSA_INS5_IJNSC_16discard_iteratorINSC_11use_defaultEEESN_EEEEEPS7_SQ_SQ_NSC_11hip_rocprim7__merge17predicate_wrapperIttNSC_4lessItEEEEEE10hipError_tPvRmT0_T1_T2_T3_T4_T5_mmT6_P12ihipStream_tbEUlT_E_NS1_11comp_targetILNS1_3genE10ELNS1_11target_archE1200ELNS1_3gpuE4ELNS1_3repE0EEENS1_30default_config_static_selectorELNS0_4arch9wavefront6targetE0EEEvS11_.has_dyn_sized_stack, 0
	.set _ZN7rocprim17ROCPRIM_400000_NS6detail17trampoline_kernelINS0_14default_configENS1_21merge_config_selectorINS0_5tupleIJttEEENS0_10empty_typeEEEZNS1_10merge_implIS3_NS0_12zip_iteratorINS5_IJN6thrust23THRUST_200600_302600_NS6detail15normal_iteratorINSC_10device_ptrIKtEEEESI_EEEEESK_NSA_INS5_IJNSC_16discard_iteratorINSC_11use_defaultEEESN_EEEEEPS7_SQ_SQ_NSC_11hip_rocprim7__merge17predicate_wrapperIttNSC_4lessItEEEEEE10hipError_tPvRmT0_T1_T2_T3_T4_T5_mmT6_P12ihipStream_tbEUlT_E_NS1_11comp_targetILNS1_3genE10ELNS1_11target_archE1200ELNS1_3gpuE4ELNS1_3repE0EEENS1_30default_config_static_selectorELNS0_4arch9wavefront6targetE0EEEvS11_.has_recursion, 0
	.set _ZN7rocprim17ROCPRIM_400000_NS6detail17trampoline_kernelINS0_14default_configENS1_21merge_config_selectorINS0_5tupleIJttEEENS0_10empty_typeEEEZNS1_10merge_implIS3_NS0_12zip_iteratorINS5_IJN6thrust23THRUST_200600_302600_NS6detail15normal_iteratorINSC_10device_ptrIKtEEEESI_EEEEESK_NSA_INS5_IJNSC_16discard_iteratorINSC_11use_defaultEEESN_EEEEEPS7_SQ_SQ_NSC_11hip_rocprim7__merge17predicate_wrapperIttNSC_4lessItEEEEEE10hipError_tPvRmT0_T1_T2_T3_T4_T5_mmT6_P12ihipStream_tbEUlT_E_NS1_11comp_targetILNS1_3genE10ELNS1_11target_archE1200ELNS1_3gpuE4ELNS1_3repE0EEENS1_30default_config_static_selectorELNS0_4arch9wavefront6targetE0EEEvS11_.has_indirect_call, 0
	.section	.AMDGPU.csdata,"",@progbits
; Kernel info:
; codeLenInByte = 0
; TotalNumSgprs: 0
; NumVgprs: 0
; ScratchSize: 0
; MemoryBound: 0
; FloatMode: 240
; IeeeMode: 1
; LDSByteSize: 0 bytes/workgroup (compile time only)
; SGPRBlocks: 0
; VGPRBlocks: 0
; NumSGPRsForWavesPerEU: 1
; NumVGPRsForWavesPerEU: 1
; NamedBarCnt: 0
; Occupancy: 16
; WaveLimiterHint : 0
; COMPUTE_PGM_RSRC2:SCRATCH_EN: 0
; COMPUTE_PGM_RSRC2:USER_SGPR: 2
; COMPUTE_PGM_RSRC2:TRAP_HANDLER: 0
; COMPUTE_PGM_RSRC2:TGID_X_EN: 1
; COMPUTE_PGM_RSRC2:TGID_Y_EN: 0
; COMPUTE_PGM_RSRC2:TGID_Z_EN: 0
; COMPUTE_PGM_RSRC2:TIDIG_COMP_CNT: 0
	.section	.text._ZN7rocprim17ROCPRIM_400000_NS6detail17trampoline_kernelINS0_14default_configENS1_21merge_config_selectorINS0_5tupleIJttEEENS0_10empty_typeEEEZNS1_10merge_implIS3_NS0_12zip_iteratorINS5_IJN6thrust23THRUST_200600_302600_NS6detail15normal_iteratorINSC_10device_ptrIKtEEEESI_EEEEESK_NSA_INS5_IJNSC_16discard_iteratorINSC_11use_defaultEEESN_EEEEEPS7_SQ_SQ_NSC_11hip_rocprim7__merge17predicate_wrapperIttNSC_4lessItEEEEEE10hipError_tPvRmT0_T1_T2_T3_T4_T5_mmT6_P12ihipStream_tbEUlT_E_NS1_11comp_targetILNS1_3genE9ELNS1_11target_archE1100ELNS1_3gpuE3ELNS1_3repE0EEENS1_30default_config_static_selectorELNS0_4arch9wavefront6targetE0EEEvS11_,"axG",@progbits,_ZN7rocprim17ROCPRIM_400000_NS6detail17trampoline_kernelINS0_14default_configENS1_21merge_config_selectorINS0_5tupleIJttEEENS0_10empty_typeEEEZNS1_10merge_implIS3_NS0_12zip_iteratorINS5_IJN6thrust23THRUST_200600_302600_NS6detail15normal_iteratorINSC_10device_ptrIKtEEEESI_EEEEESK_NSA_INS5_IJNSC_16discard_iteratorINSC_11use_defaultEEESN_EEEEEPS7_SQ_SQ_NSC_11hip_rocprim7__merge17predicate_wrapperIttNSC_4lessItEEEEEE10hipError_tPvRmT0_T1_T2_T3_T4_T5_mmT6_P12ihipStream_tbEUlT_E_NS1_11comp_targetILNS1_3genE9ELNS1_11target_archE1100ELNS1_3gpuE3ELNS1_3repE0EEENS1_30default_config_static_selectorELNS0_4arch9wavefront6targetE0EEEvS11_,comdat
	.protected	_ZN7rocprim17ROCPRIM_400000_NS6detail17trampoline_kernelINS0_14default_configENS1_21merge_config_selectorINS0_5tupleIJttEEENS0_10empty_typeEEEZNS1_10merge_implIS3_NS0_12zip_iteratorINS5_IJN6thrust23THRUST_200600_302600_NS6detail15normal_iteratorINSC_10device_ptrIKtEEEESI_EEEEESK_NSA_INS5_IJNSC_16discard_iteratorINSC_11use_defaultEEESN_EEEEEPS7_SQ_SQ_NSC_11hip_rocprim7__merge17predicate_wrapperIttNSC_4lessItEEEEEE10hipError_tPvRmT0_T1_T2_T3_T4_T5_mmT6_P12ihipStream_tbEUlT_E_NS1_11comp_targetILNS1_3genE9ELNS1_11target_archE1100ELNS1_3gpuE3ELNS1_3repE0EEENS1_30default_config_static_selectorELNS0_4arch9wavefront6targetE0EEEvS11_ ; -- Begin function _ZN7rocprim17ROCPRIM_400000_NS6detail17trampoline_kernelINS0_14default_configENS1_21merge_config_selectorINS0_5tupleIJttEEENS0_10empty_typeEEEZNS1_10merge_implIS3_NS0_12zip_iteratorINS5_IJN6thrust23THRUST_200600_302600_NS6detail15normal_iteratorINSC_10device_ptrIKtEEEESI_EEEEESK_NSA_INS5_IJNSC_16discard_iteratorINSC_11use_defaultEEESN_EEEEEPS7_SQ_SQ_NSC_11hip_rocprim7__merge17predicate_wrapperIttNSC_4lessItEEEEEE10hipError_tPvRmT0_T1_T2_T3_T4_T5_mmT6_P12ihipStream_tbEUlT_E_NS1_11comp_targetILNS1_3genE9ELNS1_11target_archE1100ELNS1_3gpuE3ELNS1_3repE0EEENS1_30default_config_static_selectorELNS0_4arch9wavefront6targetE0EEEvS11_
	.globl	_ZN7rocprim17ROCPRIM_400000_NS6detail17trampoline_kernelINS0_14default_configENS1_21merge_config_selectorINS0_5tupleIJttEEENS0_10empty_typeEEEZNS1_10merge_implIS3_NS0_12zip_iteratorINS5_IJN6thrust23THRUST_200600_302600_NS6detail15normal_iteratorINSC_10device_ptrIKtEEEESI_EEEEESK_NSA_INS5_IJNSC_16discard_iteratorINSC_11use_defaultEEESN_EEEEEPS7_SQ_SQ_NSC_11hip_rocprim7__merge17predicate_wrapperIttNSC_4lessItEEEEEE10hipError_tPvRmT0_T1_T2_T3_T4_T5_mmT6_P12ihipStream_tbEUlT_E_NS1_11comp_targetILNS1_3genE9ELNS1_11target_archE1100ELNS1_3gpuE3ELNS1_3repE0EEENS1_30default_config_static_selectorELNS0_4arch9wavefront6targetE0EEEvS11_
	.p2align	8
	.type	_ZN7rocprim17ROCPRIM_400000_NS6detail17trampoline_kernelINS0_14default_configENS1_21merge_config_selectorINS0_5tupleIJttEEENS0_10empty_typeEEEZNS1_10merge_implIS3_NS0_12zip_iteratorINS5_IJN6thrust23THRUST_200600_302600_NS6detail15normal_iteratorINSC_10device_ptrIKtEEEESI_EEEEESK_NSA_INS5_IJNSC_16discard_iteratorINSC_11use_defaultEEESN_EEEEEPS7_SQ_SQ_NSC_11hip_rocprim7__merge17predicate_wrapperIttNSC_4lessItEEEEEE10hipError_tPvRmT0_T1_T2_T3_T4_T5_mmT6_P12ihipStream_tbEUlT_E_NS1_11comp_targetILNS1_3genE9ELNS1_11target_archE1100ELNS1_3gpuE3ELNS1_3repE0EEENS1_30default_config_static_selectorELNS0_4arch9wavefront6targetE0EEEvS11_,@function
_ZN7rocprim17ROCPRIM_400000_NS6detail17trampoline_kernelINS0_14default_configENS1_21merge_config_selectorINS0_5tupleIJttEEENS0_10empty_typeEEEZNS1_10merge_implIS3_NS0_12zip_iteratorINS5_IJN6thrust23THRUST_200600_302600_NS6detail15normal_iteratorINSC_10device_ptrIKtEEEESI_EEEEESK_NSA_INS5_IJNSC_16discard_iteratorINSC_11use_defaultEEESN_EEEEEPS7_SQ_SQ_NSC_11hip_rocprim7__merge17predicate_wrapperIttNSC_4lessItEEEEEE10hipError_tPvRmT0_T1_T2_T3_T4_T5_mmT6_P12ihipStream_tbEUlT_E_NS1_11comp_targetILNS1_3genE9ELNS1_11target_archE1100ELNS1_3gpuE3ELNS1_3repE0EEENS1_30default_config_static_selectorELNS0_4arch9wavefront6targetE0EEEvS11_: ; @_ZN7rocprim17ROCPRIM_400000_NS6detail17trampoline_kernelINS0_14default_configENS1_21merge_config_selectorINS0_5tupleIJttEEENS0_10empty_typeEEEZNS1_10merge_implIS3_NS0_12zip_iteratorINS5_IJN6thrust23THRUST_200600_302600_NS6detail15normal_iteratorINSC_10device_ptrIKtEEEESI_EEEEESK_NSA_INS5_IJNSC_16discard_iteratorINSC_11use_defaultEEESN_EEEEEPS7_SQ_SQ_NSC_11hip_rocprim7__merge17predicate_wrapperIttNSC_4lessItEEEEEE10hipError_tPvRmT0_T1_T2_T3_T4_T5_mmT6_P12ihipStream_tbEUlT_E_NS1_11comp_targetILNS1_3genE9ELNS1_11target_archE1100ELNS1_3gpuE3ELNS1_3repE0EEENS1_30default_config_static_selectorELNS0_4arch9wavefront6targetE0EEEvS11_
; %bb.0:
	.section	.rodata,"a",@progbits
	.p2align	6, 0x0
	.amdhsa_kernel _ZN7rocprim17ROCPRIM_400000_NS6detail17trampoline_kernelINS0_14default_configENS1_21merge_config_selectorINS0_5tupleIJttEEENS0_10empty_typeEEEZNS1_10merge_implIS3_NS0_12zip_iteratorINS5_IJN6thrust23THRUST_200600_302600_NS6detail15normal_iteratorINSC_10device_ptrIKtEEEESI_EEEEESK_NSA_INS5_IJNSC_16discard_iteratorINSC_11use_defaultEEESN_EEEEEPS7_SQ_SQ_NSC_11hip_rocprim7__merge17predicate_wrapperIttNSC_4lessItEEEEEE10hipError_tPvRmT0_T1_T2_T3_T4_T5_mmT6_P12ihipStream_tbEUlT_E_NS1_11comp_targetILNS1_3genE9ELNS1_11target_archE1100ELNS1_3gpuE3ELNS1_3repE0EEENS1_30default_config_static_selectorELNS0_4arch9wavefront6targetE0EEEvS11_
		.amdhsa_group_segment_fixed_size 0
		.amdhsa_private_segment_fixed_size 0
		.amdhsa_kernarg_size 64
		.amdhsa_user_sgpr_count 2
		.amdhsa_user_sgpr_dispatch_ptr 0
		.amdhsa_user_sgpr_queue_ptr 0
		.amdhsa_user_sgpr_kernarg_segment_ptr 1
		.amdhsa_user_sgpr_dispatch_id 0
		.amdhsa_user_sgpr_kernarg_preload_length 0
		.amdhsa_user_sgpr_kernarg_preload_offset 0
		.amdhsa_user_sgpr_private_segment_size 0
		.amdhsa_wavefront_size32 1
		.amdhsa_uses_dynamic_stack 0
		.amdhsa_enable_private_segment 0
		.amdhsa_system_sgpr_workgroup_id_x 1
		.amdhsa_system_sgpr_workgroup_id_y 0
		.amdhsa_system_sgpr_workgroup_id_z 0
		.amdhsa_system_sgpr_workgroup_info 0
		.amdhsa_system_vgpr_workitem_id 0
		.amdhsa_next_free_vgpr 1
		.amdhsa_next_free_sgpr 1
		.amdhsa_named_barrier_count 0
		.amdhsa_reserve_vcc 0
		.amdhsa_float_round_mode_32 0
		.amdhsa_float_round_mode_16_64 0
		.amdhsa_float_denorm_mode_32 3
		.amdhsa_float_denorm_mode_16_64 3
		.amdhsa_fp16_overflow 0
		.amdhsa_memory_ordered 1
		.amdhsa_forward_progress 1
		.amdhsa_inst_pref_size 0
		.amdhsa_round_robin_scheduling 0
		.amdhsa_exception_fp_ieee_invalid_op 0
		.amdhsa_exception_fp_denorm_src 0
		.amdhsa_exception_fp_ieee_div_zero 0
		.amdhsa_exception_fp_ieee_overflow 0
		.amdhsa_exception_fp_ieee_underflow 0
		.amdhsa_exception_fp_ieee_inexact 0
		.amdhsa_exception_int_div_zero 0
	.end_amdhsa_kernel
	.section	.text._ZN7rocprim17ROCPRIM_400000_NS6detail17trampoline_kernelINS0_14default_configENS1_21merge_config_selectorINS0_5tupleIJttEEENS0_10empty_typeEEEZNS1_10merge_implIS3_NS0_12zip_iteratorINS5_IJN6thrust23THRUST_200600_302600_NS6detail15normal_iteratorINSC_10device_ptrIKtEEEESI_EEEEESK_NSA_INS5_IJNSC_16discard_iteratorINSC_11use_defaultEEESN_EEEEEPS7_SQ_SQ_NSC_11hip_rocprim7__merge17predicate_wrapperIttNSC_4lessItEEEEEE10hipError_tPvRmT0_T1_T2_T3_T4_T5_mmT6_P12ihipStream_tbEUlT_E_NS1_11comp_targetILNS1_3genE9ELNS1_11target_archE1100ELNS1_3gpuE3ELNS1_3repE0EEENS1_30default_config_static_selectorELNS0_4arch9wavefront6targetE0EEEvS11_,"axG",@progbits,_ZN7rocprim17ROCPRIM_400000_NS6detail17trampoline_kernelINS0_14default_configENS1_21merge_config_selectorINS0_5tupleIJttEEENS0_10empty_typeEEEZNS1_10merge_implIS3_NS0_12zip_iteratorINS5_IJN6thrust23THRUST_200600_302600_NS6detail15normal_iteratorINSC_10device_ptrIKtEEEESI_EEEEESK_NSA_INS5_IJNSC_16discard_iteratorINSC_11use_defaultEEESN_EEEEEPS7_SQ_SQ_NSC_11hip_rocprim7__merge17predicate_wrapperIttNSC_4lessItEEEEEE10hipError_tPvRmT0_T1_T2_T3_T4_T5_mmT6_P12ihipStream_tbEUlT_E_NS1_11comp_targetILNS1_3genE9ELNS1_11target_archE1100ELNS1_3gpuE3ELNS1_3repE0EEENS1_30default_config_static_selectorELNS0_4arch9wavefront6targetE0EEEvS11_,comdat
.Lfunc_end558:
	.size	_ZN7rocprim17ROCPRIM_400000_NS6detail17trampoline_kernelINS0_14default_configENS1_21merge_config_selectorINS0_5tupleIJttEEENS0_10empty_typeEEEZNS1_10merge_implIS3_NS0_12zip_iteratorINS5_IJN6thrust23THRUST_200600_302600_NS6detail15normal_iteratorINSC_10device_ptrIKtEEEESI_EEEEESK_NSA_INS5_IJNSC_16discard_iteratorINSC_11use_defaultEEESN_EEEEEPS7_SQ_SQ_NSC_11hip_rocprim7__merge17predicate_wrapperIttNSC_4lessItEEEEEE10hipError_tPvRmT0_T1_T2_T3_T4_T5_mmT6_P12ihipStream_tbEUlT_E_NS1_11comp_targetILNS1_3genE9ELNS1_11target_archE1100ELNS1_3gpuE3ELNS1_3repE0EEENS1_30default_config_static_selectorELNS0_4arch9wavefront6targetE0EEEvS11_, .Lfunc_end558-_ZN7rocprim17ROCPRIM_400000_NS6detail17trampoline_kernelINS0_14default_configENS1_21merge_config_selectorINS0_5tupleIJttEEENS0_10empty_typeEEEZNS1_10merge_implIS3_NS0_12zip_iteratorINS5_IJN6thrust23THRUST_200600_302600_NS6detail15normal_iteratorINSC_10device_ptrIKtEEEESI_EEEEESK_NSA_INS5_IJNSC_16discard_iteratorINSC_11use_defaultEEESN_EEEEEPS7_SQ_SQ_NSC_11hip_rocprim7__merge17predicate_wrapperIttNSC_4lessItEEEEEE10hipError_tPvRmT0_T1_T2_T3_T4_T5_mmT6_P12ihipStream_tbEUlT_E_NS1_11comp_targetILNS1_3genE9ELNS1_11target_archE1100ELNS1_3gpuE3ELNS1_3repE0EEENS1_30default_config_static_selectorELNS0_4arch9wavefront6targetE0EEEvS11_
                                        ; -- End function
	.set _ZN7rocprim17ROCPRIM_400000_NS6detail17trampoline_kernelINS0_14default_configENS1_21merge_config_selectorINS0_5tupleIJttEEENS0_10empty_typeEEEZNS1_10merge_implIS3_NS0_12zip_iteratorINS5_IJN6thrust23THRUST_200600_302600_NS6detail15normal_iteratorINSC_10device_ptrIKtEEEESI_EEEEESK_NSA_INS5_IJNSC_16discard_iteratorINSC_11use_defaultEEESN_EEEEEPS7_SQ_SQ_NSC_11hip_rocprim7__merge17predicate_wrapperIttNSC_4lessItEEEEEE10hipError_tPvRmT0_T1_T2_T3_T4_T5_mmT6_P12ihipStream_tbEUlT_E_NS1_11comp_targetILNS1_3genE9ELNS1_11target_archE1100ELNS1_3gpuE3ELNS1_3repE0EEENS1_30default_config_static_selectorELNS0_4arch9wavefront6targetE0EEEvS11_.num_vgpr, 0
	.set _ZN7rocprim17ROCPRIM_400000_NS6detail17trampoline_kernelINS0_14default_configENS1_21merge_config_selectorINS0_5tupleIJttEEENS0_10empty_typeEEEZNS1_10merge_implIS3_NS0_12zip_iteratorINS5_IJN6thrust23THRUST_200600_302600_NS6detail15normal_iteratorINSC_10device_ptrIKtEEEESI_EEEEESK_NSA_INS5_IJNSC_16discard_iteratorINSC_11use_defaultEEESN_EEEEEPS7_SQ_SQ_NSC_11hip_rocprim7__merge17predicate_wrapperIttNSC_4lessItEEEEEE10hipError_tPvRmT0_T1_T2_T3_T4_T5_mmT6_P12ihipStream_tbEUlT_E_NS1_11comp_targetILNS1_3genE9ELNS1_11target_archE1100ELNS1_3gpuE3ELNS1_3repE0EEENS1_30default_config_static_selectorELNS0_4arch9wavefront6targetE0EEEvS11_.num_agpr, 0
	.set _ZN7rocprim17ROCPRIM_400000_NS6detail17trampoline_kernelINS0_14default_configENS1_21merge_config_selectorINS0_5tupleIJttEEENS0_10empty_typeEEEZNS1_10merge_implIS3_NS0_12zip_iteratorINS5_IJN6thrust23THRUST_200600_302600_NS6detail15normal_iteratorINSC_10device_ptrIKtEEEESI_EEEEESK_NSA_INS5_IJNSC_16discard_iteratorINSC_11use_defaultEEESN_EEEEEPS7_SQ_SQ_NSC_11hip_rocprim7__merge17predicate_wrapperIttNSC_4lessItEEEEEE10hipError_tPvRmT0_T1_T2_T3_T4_T5_mmT6_P12ihipStream_tbEUlT_E_NS1_11comp_targetILNS1_3genE9ELNS1_11target_archE1100ELNS1_3gpuE3ELNS1_3repE0EEENS1_30default_config_static_selectorELNS0_4arch9wavefront6targetE0EEEvS11_.numbered_sgpr, 0
	.set _ZN7rocprim17ROCPRIM_400000_NS6detail17trampoline_kernelINS0_14default_configENS1_21merge_config_selectorINS0_5tupleIJttEEENS0_10empty_typeEEEZNS1_10merge_implIS3_NS0_12zip_iteratorINS5_IJN6thrust23THRUST_200600_302600_NS6detail15normal_iteratorINSC_10device_ptrIKtEEEESI_EEEEESK_NSA_INS5_IJNSC_16discard_iteratorINSC_11use_defaultEEESN_EEEEEPS7_SQ_SQ_NSC_11hip_rocprim7__merge17predicate_wrapperIttNSC_4lessItEEEEEE10hipError_tPvRmT0_T1_T2_T3_T4_T5_mmT6_P12ihipStream_tbEUlT_E_NS1_11comp_targetILNS1_3genE9ELNS1_11target_archE1100ELNS1_3gpuE3ELNS1_3repE0EEENS1_30default_config_static_selectorELNS0_4arch9wavefront6targetE0EEEvS11_.num_named_barrier, 0
	.set _ZN7rocprim17ROCPRIM_400000_NS6detail17trampoline_kernelINS0_14default_configENS1_21merge_config_selectorINS0_5tupleIJttEEENS0_10empty_typeEEEZNS1_10merge_implIS3_NS0_12zip_iteratorINS5_IJN6thrust23THRUST_200600_302600_NS6detail15normal_iteratorINSC_10device_ptrIKtEEEESI_EEEEESK_NSA_INS5_IJNSC_16discard_iteratorINSC_11use_defaultEEESN_EEEEEPS7_SQ_SQ_NSC_11hip_rocprim7__merge17predicate_wrapperIttNSC_4lessItEEEEEE10hipError_tPvRmT0_T1_T2_T3_T4_T5_mmT6_P12ihipStream_tbEUlT_E_NS1_11comp_targetILNS1_3genE9ELNS1_11target_archE1100ELNS1_3gpuE3ELNS1_3repE0EEENS1_30default_config_static_selectorELNS0_4arch9wavefront6targetE0EEEvS11_.private_seg_size, 0
	.set _ZN7rocprim17ROCPRIM_400000_NS6detail17trampoline_kernelINS0_14default_configENS1_21merge_config_selectorINS0_5tupleIJttEEENS0_10empty_typeEEEZNS1_10merge_implIS3_NS0_12zip_iteratorINS5_IJN6thrust23THRUST_200600_302600_NS6detail15normal_iteratorINSC_10device_ptrIKtEEEESI_EEEEESK_NSA_INS5_IJNSC_16discard_iteratorINSC_11use_defaultEEESN_EEEEEPS7_SQ_SQ_NSC_11hip_rocprim7__merge17predicate_wrapperIttNSC_4lessItEEEEEE10hipError_tPvRmT0_T1_T2_T3_T4_T5_mmT6_P12ihipStream_tbEUlT_E_NS1_11comp_targetILNS1_3genE9ELNS1_11target_archE1100ELNS1_3gpuE3ELNS1_3repE0EEENS1_30default_config_static_selectorELNS0_4arch9wavefront6targetE0EEEvS11_.uses_vcc, 0
	.set _ZN7rocprim17ROCPRIM_400000_NS6detail17trampoline_kernelINS0_14default_configENS1_21merge_config_selectorINS0_5tupleIJttEEENS0_10empty_typeEEEZNS1_10merge_implIS3_NS0_12zip_iteratorINS5_IJN6thrust23THRUST_200600_302600_NS6detail15normal_iteratorINSC_10device_ptrIKtEEEESI_EEEEESK_NSA_INS5_IJNSC_16discard_iteratorINSC_11use_defaultEEESN_EEEEEPS7_SQ_SQ_NSC_11hip_rocprim7__merge17predicate_wrapperIttNSC_4lessItEEEEEE10hipError_tPvRmT0_T1_T2_T3_T4_T5_mmT6_P12ihipStream_tbEUlT_E_NS1_11comp_targetILNS1_3genE9ELNS1_11target_archE1100ELNS1_3gpuE3ELNS1_3repE0EEENS1_30default_config_static_selectorELNS0_4arch9wavefront6targetE0EEEvS11_.uses_flat_scratch, 0
	.set _ZN7rocprim17ROCPRIM_400000_NS6detail17trampoline_kernelINS0_14default_configENS1_21merge_config_selectorINS0_5tupleIJttEEENS0_10empty_typeEEEZNS1_10merge_implIS3_NS0_12zip_iteratorINS5_IJN6thrust23THRUST_200600_302600_NS6detail15normal_iteratorINSC_10device_ptrIKtEEEESI_EEEEESK_NSA_INS5_IJNSC_16discard_iteratorINSC_11use_defaultEEESN_EEEEEPS7_SQ_SQ_NSC_11hip_rocprim7__merge17predicate_wrapperIttNSC_4lessItEEEEEE10hipError_tPvRmT0_T1_T2_T3_T4_T5_mmT6_P12ihipStream_tbEUlT_E_NS1_11comp_targetILNS1_3genE9ELNS1_11target_archE1100ELNS1_3gpuE3ELNS1_3repE0EEENS1_30default_config_static_selectorELNS0_4arch9wavefront6targetE0EEEvS11_.has_dyn_sized_stack, 0
	.set _ZN7rocprim17ROCPRIM_400000_NS6detail17trampoline_kernelINS0_14default_configENS1_21merge_config_selectorINS0_5tupleIJttEEENS0_10empty_typeEEEZNS1_10merge_implIS3_NS0_12zip_iteratorINS5_IJN6thrust23THRUST_200600_302600_NS6detail15normal_iteratorINSC_10device_ptrIKtEEEESI_EEEEESK_NSA_INS5_IJNSC_16discard_iteratorINSC_11use_defaultEEESN_EEEEEPS7_SQ_SQ_NSC_11hip_rocprim7__merge17predicate_wrapperIttNSC_4lessItEEEEEE10hipError_tPvRmT0_T1_T2_T3_T4_T5_mmT6_P12ihipStream_tbEUlT_E_NS1_11comp_targetILNS1_3genE9ELNS1_11target_archE1100ELNS1_3gpuE3ELNS1_3repE0EEENS1_30default_config_static_selectorELNS0_4arch9wavefront6targetE0EEEvS11_.has_recursion, 0
	.set _ZN7rocprim17ROCPRIM_400000_NS6detail17trampoline_kernelINS0_14default_configENS1_21merge_config_selectorINS0_5tupleIJttEEENS0_10empty_typeEEEZNS1_10merge_implIS3_NS0_12zip_iteratorINS5_IJN6thrust23THRUST_200600_302600_NS6detail15normal_iteratorINSC_10device_ptrIKtEEEESI_EEEEESK_NSA_INS5_IJNSC_16discard_iteratorINSC_11use_defaultEEESN_EEEEEPS7_SQ_SQ_NSC_11hip_rocprim7__merge17predicate_wrapperIttNSC_4lessItEEEEEE10hipError_tPvRmT0_T1_T2_T3_T4_T5_mmT6_P12ihipStream_tbEUlT_E_NS1_11comp_targetILNS1_3genE9ELNS1_11target_archE1100ELNS1_3gpuE3ELNS1_3repE0EEENS1_30default_config_static_selectorELNS0_4arch9wavefront6targetE0EEEvS11_.has_indirect_call, 0
	.section	.AMDGPU.csdata,"",@progbits
; Kernel info:
; codeLenInByte = 0
; TotalNumSgprs: 0
; NumVgprs: 0
; ScratchSize: 0
; MemoryBound: 0
; FloatMode: 240
; IeeeMode: 1
; LDSByteSize: 0 bytes/workgroup (compile time only)
; SGPRBlocks: 0
; VGPRBlocks: 0
; NumSGPRsForWavesPerEU: 1
; NumVGPRsForWavesPerEU: 1
; NamedBarCnt: 0
; Occupancy: 16
; WaveLimiterHint : 0
; COMPUTE_PGM_RSRC2:SCRATCH_EN: 0
; COMPUTE_PGM_RSRC2:USER_SGPR: 2
; COMPUTE_PGM_RSRC2:TRAP_HANDLER: 0
; COMPUTE_PGM_RSRC2:TGID_X_EN: 1
; COMPUTE_PGM_RSRC2:TGID_Y_EN: 0
; COMPUTE_PGM_RSRC2:TGID_Z_EN: 0
; COMPUTE_PGM_RSRC2:TIDIG_COMP_CNT: 0
	.section	.text._ZN7rocprim17ROCPRIM_400000_NS6detail17trampoline_kernelINS0_14default_configENS1_21merge_config_selectorINS0_5tupleIJttEEENS0_10empty_typeEEEZNS1_10merge_implIS3_NS0_12zip_iteratorINS5_IJN6thrust23THRUST_200600_302600_NS6detail15normal_iteratorINSC_10device_ptrIKtEEEESI_EEEEESK_NSA_INS5_IJNSC_16discard_iteratorINSC_11use_defaultEEESN_EEEEEPS7_SQ_SQ_NSC_11hip_rocprim7__merge17predicate_wrapperIttNSC_4lessItEEEEEE10hipError_tPvRmT0_T1_T2_T3_T4_T5_mmT6_P12ihipStream_tbEUlT_E_NS1_11comp_targetILNS1_3genE8ELNS1_11target_archE1030ELNS1_3gpuE2ELNS1_3repE0EEENS1_30default_config_static_selectorELNS0_4arch9wavefront6targetE0EEEvS11_,"axG",@progbits,_ZN7rocprim17ROCPRIM_400000_NS6detail17trampoline_kernelINS0_14default_configENS1_21merge_config_selectorINS0_5tupleIJttEEENS0_10empty_typeEEEZNS1_10merge_implIS3_NS0_12zip_iteratorINS5_IJN6thrust23THRUST_200600_302600_NS6detail15normal_iteratorINSC_10device_ptrIKtEEEESI_EEEEESK_NSA_INS5_IJNSC_16discard_iteratorINSC_11use_defaultEEESN_EEEEEPS7_SQ_SQ_NSC_11hip_rocprim7__merge17predicate_wrapperIttNSC_4lessItEEEEEE10hipError_tPvRmT0_T1_T2_T3_T4_T5_mmT6_P12ihipStream_tbEUlT_E_NS1_11comp_targetILNS1_3genE8ELNS1_11target_archE1030ELNS1_3gpuE2ELNS1_3repE0EEENS1_30default_config_static_selectorELNS0_4arch9wavefront6targetE0EEEvS11_,comdat
	.protected	_ZN7rocprim17ROCPRIM_400000_NS6detail17trampoline_kernelINS0_14default_configENS1_21merge_config_selectorINS0_5tupleIJttEEENS0_10empty_typeEEEZNS1_10merge_implIS3_NS0_12zip_iteratorINS5_IJN6thrust23THRUST_200600_302600_NS6detail15normal_iteratorINSC_10device_ptrIKtEEEESI_EEEEESK_NSA_INS5_IJNSC_16discard_iteratorINSC_11use_defaultEEESN_EEEEEPS7_SQ_SQ_NSC_11hip_rocprim7__merge17predicate_wrapperIttNSC_4lessItEEEEEE10hipError_tPvRmT0_T1_T2_T3_T4_T5_mmT6_P12ihipStream_tbEUlT_E_NS1_11comp_targetILNS1_3genE8ELNS1_11target_archE1030ELNS1_3gpuE2ELNS1_3repE0EEENS1_30default_config_static_selectorELNS0_4arch9wavefront6targetE0EEEvS11_ ; -- Begin function _ZN7rocprim17ROCPRIM_400000_NS6detail17trampoline_kernelINS0_14default_configENS1_21merge_config_selectorINS0_5tupleIJttEEENS0_10empty_typeEEEZNS1_10merge_implIS3_NS0_12zip_iteratorINS5_IJN6thrust23THRUST_200600_302600_NS6detail15normal_iteratorINSC_10device_ptrIKtEEEESI_EEEEESK_NSA_INS5_IJNSC_16discard_iteratorINSC_11use_defaultEEESN_EEEEEPS7_SQ_SQ_NSC_11hip_rocprim7__merge17predicate_wrapperIttNSC_4lessItEEEEEE10hipError_tPvRmT0_T1_T2_T3_T4_T5_mmT6_P12ihipStream_tbEUlT_E_NS1_11comp_targetILNS1_3genE8ELNS1_11target_archE1030ELNS1_3gpuE2ELNS1_3repE0EEENS1_30default_config_static_selectorELNS0_4arch9wavefront6targetE0EEEvS11_
	.globl	_ZN7rocprim17ROCPRIM_400000_NS6detail17trampoline_kernelINS0_14default_configENS1_21merge_config_selectorINS0_5tupleIJttEEENS0_10empty_typeEEEZNS1_10merge_implIS3_NS0_12zip_iteratorINS5_IJN6thrust23THRUST_200600_302600_NS6detail15normal_iteratorINSC_10device_ptrIKtEEEESI_EEEEESK_NSA_INS5_IJNSC_16discard_iteratorINSC_11use_defaultEEESN_EEEEEPS7_SQ_SQ_NSC_11hip_rocprim7__merge17predicate_wrapperIttNSC_4lessItEEEEEE10hipError_tPvRmT0_T1_T2_T3_T4_T5_mmT6_P12ihipStream_tbEUlT_E_NS1_11comp_targetILNS1_3genE8ELNS1_11target_archE1030ELNS1_3gpuE2ELNS1_3repE0EEENS1_30default_config_static_selectorELNS0_4arch9wavefront6targetE0EEEvS11_
	.p2align	8
	.type	_ZN7rocprim17ROCPRIM_400000_NS6detail17trampoline_kernelINS0_14default_configENS1_21merge_config_selectorINS0_5tupleIJttEEENS0_10empty_typeEEEZNS1_10merge_implIS3_NS0_12zip_iteratorINS5_IJN6thrust23THRUST_200600_302600_NS6detail15normal_iteratorINSC_10device_ptrIKtEEEESI_EEEEESK_NSA_INS5_IJNSC_16discard_iteratorINSC_11use_defaultEEESN_EEEEEPS7_SQ_SQ_NSC_11hip_rocprim7__merge17predicate_wrapperIttNSC_4lessItEEEEEE10hipError_tPvRmT0_T1_T2_T3_T4_T5_mmT6_P12ihipStream_tbEUlT_E_NS1_11comp_targetILNS1_3genE8ELNS1_11target_archE1030ELNS1_3gpuE2ELNS1_3repE0EEENS1_30default_config_static_selectorELNS0_4arch9wavefront6targetE0EEEvS11_,@function
_ZN7rocprim17ROCPRIM_400000_NS6detail17trampoline_kernelINS0_14default_configENS1_21merge_config_selectorINS0_5tupleIJttEEENS0_10empty_typeEEEZNS1_10merge_implIS3_NS0_12zip_iteratorINS5_IJN6thrust23THRUST_200600_302600_NS6detail15normal_iteratorINSC_10device_ptrIKtEEEESI_EEEEESK_NSA_INS5_IJNSC_16discard_iteratorINSC_11use_defaultEEESN_EEEEEPS7_SQ_SQ_NSC_11hip_rocprim7__merge17predicate_wrapperIttNSC_4lessItEEEEEE10hipError_tPvRmT0_T1_T2_T3_T4_T5_mmT6_P12ihipStream_tbEUlT_E_NS1_11comp_targetILNS1_3genE8ELNS1_11target_archE1030ELNS1_3gpuE2ELNS1_3repE0EEENS1_30default_config_static_selectorELNS0_4arch9wavefront6targetE0EEEvS11_: ; @_ZN7rocprim17ROCPRIM_400000_NS6detail17trampoline_kernelINS0_14default_configENS1_21merge_config_selectorINS0_5tupleIJttEEENS0_10empty_typeEEEZNS1_10merge_implIS3_NS0_12zip_iteratorINS5_IJN6thrust23THRUST_200600_302600_NS6detail15normal_iteratorINSC_10device_ptrIKtEEEESI_EEEEESK_NSA_INS5_IJNSC_16discard_iteratorINSC_11use_defaultEEESN_EEEEEPS7_SQ_SQ_NSC_11hip_rocprim7__merge17predicate_wrapperIttNSC_4lessItEEEEEE10hipError_tPvRmT0_T1_T2_T3_T4_T5_mmT6_P12ihipStream_tbEUlT_E_NS1_11comp_targetILNS1_3genE8ELNS1_11target_archE1030ELNS1_3gpuE2ELNS1_3repE0EEENS1_30default_config_static_selectorELNS0_4arch9wavefront6targetE0EEEvS11_
; %bb.0:
	.section	.rodata,"a",@progbits
	.p2align	6, 0x0
	.amdhsa_kernel _ZN7rocprim17ROCPRIM_400000_NS6detail17trampoline_kernelINS0_14default_configENS1_21merge_config_selectorINS0_5tupleIJttEEENS0_10empty_typeEEEZNS1_10merge_implIS3_NS0_12zip_iteratorINS5_IJN6thrust23THRUST_200600_302600_NS6detail15normal_iteratorINSC_10device_ptrIKtEEEESI_EEEEESK_NSA_INS5_IJNSC_16discard_iteratorINSC_11use_defaultEEESN_EEEEEPS7_SQ_SQ_NSC_11hip_rocprim7__merge17predicate_wrapperIttNSC_4lessItEEEEEE10hipError_tPvRmT0_T1_T2_T3_T4_T5_mmT6_P12ihipStream_tbEUlT_E_NS1_11comp_targetILNS1_3genE8ELNS1_11target_archE1030ELNS1_3gpuE2ELNS1_3repE0EEENS1_30default_config_static_selectorELNS0_4arch9wavefront6targetE0EEEvS11_
		.amdhsa_group_segment_fixed_size 0
		.amdhsa_private_segment_fixed_size 0
		.amdhsa_kernarg_size 64
		.amdhsa_user_sgpr_count 2
		.amdhsa_user_sgpr_dispatch_ptr 0
		.amdhsa_user_sgpr_queue_ptr 0
		.amdhsa_user_sgpr_kernarg_segment_ptr 1
		.amdhsa_user_sgpr_dispatch_id 0
		.amdhsa_user_sgpr_kernarg_preload_length 0
		.amdhsa_user_sgpr_kernarg_preload_offset 0
		.amdhsa_user_sgpr_private_segment_size 0
		.amdhsa_wavefront_size32 1
		.amdhsa_uses_dynamic_stack 0
		.amdhsa_enable_private_segment 0
		.amdhsa_system_sgpr_workgroup_id_x 1
		.amdhsa_system_sgpr_workgroup_id_y 0
		.amdhsa_system_sgpr_workgroup_id_z 0
		.amdhsa_system_sgpr_workgroup_info 0
		.amdhsa_system_vgpr_workitem_id 0
		.amdhsa_next_free_vgpr 1
		.amdhsa_next_free_sgpr 1
		.amdhsa_named_barrier_count 0
		.amdhsa_reserve_vcc 0
		.amdhsa_float_round_mode_32 0
		.amdhsa_float_round_mode_16_64 0
		.amdhsa_float_denorm_mode_32 3
		.amdhsa_float_denorm_mode_16_64 3
		.amdhsa_fp16_overflow 0
		.amdhsa_memory_ordered 1
		.amdhsa_forward_progress 1
		.amdhsa_inst_pref_size 0
		.amdhsa_round_robin_scheduling 0
		.amdhsa_exception_fp_ieee_invalid_op 0
		.amdhsa_exception_fp_denorm_src 0
		.amdhsa_exception_fp_ieee_div_zero 0
		.amdhsa_exception_fp_ieee_overflow 0
		.amdhsa_exception_fp_ieee_underflow 0
		.amdhsa_exception_fp_ieee_inexact 0
		.amdhsa_exception_int_div_zero 0
	.end_amdhsa_kernel
	.section	.text._ZN7rocprim17ROCPRIM_400000_NS6detail17trampoline_kernelINS0_14default_configENS1_21merge_config_selectorINS0_5tupleIJttEEENS0_10empty_typeEEEZNS1_10merge_implIS3_NS0_12zip_iteratorINS5_IJN6thrust23THRUST_200600_302600_NS6detail15normal_iteratorINSC_10device_ptrIKtEEEESI_EEEEESK_NSA_INS5_IJNSC_16discard_iteratorINSC_11use_defaultEEESN_EEEEEPS7_SQ_SQ_NSC_11hip_rocprim7__merge17predicate_wrapperIttNSC_4lessItEEEEEE10hipError_tPvRmT0_T1_T2_T3_T4_T5_mmT6_P12ihipStream_tbEUlT_E_NS1_11comp_targetILNS1_3genE8ELNS1_11target_archE1030ELNS1_3gpuE2ELNS1_3repE0EEENS1_30default_config_static_selectorELNS0_4arch9wavefront6targetE0EEEvS11_,"axG",@progbits,_ZN7rocprim17ROCPRIM_400000_NS6detail17trampoline_kernelINS0_14default_configENS1_21merge_config_selectorINS0_5tupleIJttEEENS0_10empty_typeEEEZNS1_10merge_implIS3_NS0_12zip_iteratorINS5_IJN6thrust23THRUST_200600_302600_NS6detail15normal_iteratorINSC_10device_ptrIKtEEEESI_EEEEESK_NSA_INS5_IJNSC_16discard_iteratorINSC_11use_defaultEEESN_EEEEEPS7_SQ_SQ_NSC_11hip_rocprim7__merge17predicate_wrapperIttNSC_4lessItEEEEEE10hipError_tPvRmT0_T1_T2_T3_T4_T5_mmT6_P12ihipStream_tbEUlT_E_NS1_11comp_targetILNS1_3genE8ELNS1_11target_archE1030ELNS1_3gpuE2ELNS1_3repE0EEENS1_30default_config_static_selectorELNS0_4arch9wavefront6targetE0EEEvS11_,comdat
.Lfunc_end559:
	.size	_ZN7rocprim17ROCPRIM_400000_NS6detail17trampoline_kernelINS0_14default_configENS1_21merge_config_selectorINS0_5tupleIJttEEENS0_10empty_typeEEEZNS1_10merge_implIS3_NS0_12zip_iteratorINS5_IJN6thrust23THRUST_200600_302600_NS6detail15normal_iteratorINSC_10device_ptrIKtEEEESI_EEEEESK_NSA_INS5_IJNSC_16discard_iteratorINSC_11use_defaultEEESN_EEEEEPS7_SQ_SQ_NSC_11hip_rocprim7__merge17predicate_wrapperIttNSC_4lessItEEEEEE10hipError_tPvRmT0_T1_T2_T3_T4_T5_mmT6_P12ihipStream_tbEUlT_E_NS1_11comp_targetILNS1_3genE8ELNS1_11target_archE1030ELNS1_3gpuE2ELNS1_3repE0EEENS1_30default_config_static_selectorELNS0_4arch9wavefront6targetE0EEEvS11_, .Lfunc_end559-_ZN7rocprim17ROCPRIM_400000_NS6detail17trampoline_kernelINS0_14default_configENS1_21merge_config_selectorINS0_5tupleIJttEEENS0_10empty_typeEEEZNS1_10merge_implIS3_NS0_12zip_iteratorINS5_IJN6thrust23THRUST_200600_302600_NS6detail15normal_iteratorINSC_10device_ptrIKtEEEESI_EEEEESK_NSA_INS5_IJNSC_16discard_iteratorINSC_11use_defaultEEESN_EEEEEPS7_SQ_SQ_NSC_11hip_rocprim7__merge17predicate_wrapperIttNSC_4lessItEEEEEE10hipError_tPvRmT0_T1_T2_T3_T4_T5_mmT6_P12ihipStream_tbEUlT_E_NS1_11comp_targetILNS1_3genE8ELNS1_11target_archE1030ELNS1_3gpuE2ELNS1_3repE0EEENS1_30default_config_static_selectorELNS0_4arch9wavefront6targetE0EEEvS11_
                                        ; -- End function
	.set _ZN7rocprim17ROCPRIM_400000_NS6detail17trampoline_kernelINS0_14default_configENS1_21merge_config_selectorINS0_5tupleIJttEEENS0_10empty_typeEEEZNS1_10merge_implIS3_NS0_12zip_iteratorINS5_IJN6thrust23THRUST_200600_302600_NS6detail15normal_iteratorINSC_10device_ptrIKtEEEESI_EEEEESK_NSA_INS5_IJNSC_16discard_iteratorINSC_11use_defaultEEESN_EEEEEPS7_SQ_SQ_NSC_11hip_rocprim7__merge17predicate_wrapperIttNSC_4lessItEEEEEE10hipError_tPvRmT0_T1_T2_T3_T4_T5_mmT6_P12ihipStream_tbEUlT_E_NS1_11comp_targetILNS1_3genE8ELNS1_11target_archE1030ELNS1_3gpuE2ELNS1_3repE0EEENS1_30default_config_static_selectorELNS0_4arch9wavefront6targetE0EEEvS11_.num_vgpr, 0
	.set _ZN7rocprim17ROCPRIM_400000_NS6detail17trampoline_kernelINS0_14default_configENS1_21merge_config_selectorINS0_5tupleIJttEEENS0_10empty_typeEEEZNS1_10merge_implIS3_NS0_12zip_iteratorINS5_IJN6thrust23THRUST_200600_302600_NS6detail15normal_iteratorINSC_10device_ptrIKtEEEESI_EEEEESK_NSA_INS5_IJNSC_16discard_iteratorINSC_11use_defaultEEESN_EEEEEPS7_SQ_SQ_NSC_11hip_rocprim7__merge17predicate_wrapperIttNSC_4lessItEEEEEE10hipError_tPvRmT0_T1_T2_T3_T4_T5_mmT6_P12ihipStream_tbEUlT_E_NS1_11comp_targetILNS1_3genE8ELNS1_11target_archE1030ELNS1_3gpuE2ELNS1_3repE0EEENS1_30default_config_static_selectorELNS0_4arch9wavefront6targetE0EEEvS11_.num_agpr, 0
	.set _ZN7rocprim17ROCPRIM_400000_NS6detail17trampoline_kernelINS0_14default_configENS1_21merge_config_selectorINS0_5tupleIJttEEENS0_10empty_typeEEEZNS1_10merge_implIS3_NS0_12zip_iteratorINS5_IJN6thrust23THRUST_200600_302600_NS6detail15normal_iteratorINSC_10device_ptrIKtEEEESI_EEEEESK_NSA_INS5_IJNSC_16discard_iteratorINSC_11use_defaultEEESN_EEEEEPS7_SQ_SQ_NSC_11hip_rocprim7__merge17predicate_wrapperIttNSC_4lessItEEEEEE10hipError_tPvRmT0_T1_T2_T3_T4_T5_mmT6_P12ihipStream_tbEUlT_E_NS1_11comp_targetILNS1_3genE8ELNS1_11target_archE1030ELNS1_3gpuE2ELNS1_3repE0EEENS1_30default_config_static_selectorELNS0_4arch9wavefront6targetE0EEEvS11_.numbered_sgpr, 0
	.set _ZN7rocprim17ROCPRIM_400000_NS6detail17trampoline_kernelINS0_14default_configENS1_21merge_config_selectorINS0_5tupleIJttEEENS0_10empty_typeEEEZNS1_10merge_implIS3_NS0_12zip_iteratorINS5_IJN6thrust23THRUST_200600_302600_NS6detail15normal_iteratorINSC_10device_ptrIKtEEEESI_EEEEESK_NSA_INS5_IJNSC_16discard_iteratorINSC_11use_defaultEEESN_EEEEEPS7_SQ_SQ_NSC_11hip_rocprim7__merge17predicate_wrapperIttNSC_4lessItEEEEEE10hipError_tPvRmT0_T1_T2_T3_T4_T5_mmT6_P12ihipStream_tbEUlT_E_NS1_11comp_targetILNS1_3genE8ELNS1_11target_archE1030ELNS1_3gpuE2ELNS1_3repE0EEENS1_30default_config_static_selectorELNS0_4arch9wavefront6targetE0EEEvS11_.num_named_barrier, 0
	.set _ZN7rocprim17ROCPRIM_400000_NS6detail17trampoline_kernelINS0_14default_configENS1_21merge_config_selectorINS0_5tupleIJttEEENS0_10empty_typeEEEZNS1_10merge_implIS3_NS0_12zip_iteratorINS5_IJN6thrust23THRUST_200600_302600_NS6detail15normal_iteratorINSC_10device_ptrIKtEEEESI_EEEEESK_NSA_INS5_IJNSC_16discard_iteratorINSC_11use_defaultEEESN_EEEEEPS7_SQ_SQ_NSC_11hip_rocprim7__merge17predicate_wrapperIttNSC_4lessItEEEEEE10hipError_tPvRmT0_T1_T2_T3_T4_T5_mmT6_P12ihipStream_tbEUlT_E_NS1_11comp_targetILNS1_3genE8ELNS1_11target_archE1030ELNS1_3gpuE2ELNS1_3repE0EEENS1_30default_config_static_selectorELNS0_4arch9wavefront6targetE0EEEvS11_.private_seg_size, 0
	.set _ZN7rocprim17ROCPRIM_400000_NS6detail17trampoline_kernelINS0_14default_configENS1_21merge_config_selectorINS0_5tupleIJttEEENS0_10empty_typeEEEZNS1_10merge_implIS3_NS0_12zip_iteratorINS5_IJN6thrust23THRUST_200600_302600_NS6detail15normal_iteratorINSC_10device_ptrIKtEEEESI_EEEEESK_NSA_INS5_IJNSC_16discard_iteratorINSC_11use_defaultEEESN_EEEEEPS7_SQ_SQ_NSC_11hip_rocprim7__merge17predicate_wrapperIttNSC_4lessItEEEEEE10hipError_tPvRmT0_T1_T2_T3_T4_T5_mmT6_P12ihipStream_tbEUlT_E_NS1_11comp_targetILNS1_3genE8ELNS1_11target_archE1030ELNS1_3gpuE2ELNS1_3repE0EEENS1_30default_config_static_selectorELNS0_4arch9wavefront6targetE0EEEvS11_.uses_vcc, 0
	.set _ZN7rocprim17ROCPRIM_400000_NS6detail17trampoline_kernelINS0_14default_configENS1_21merge_config_selectorINS0_5tupleIJttEEENS0_10empty_typeEEEZNS1_10merge_implIS3_NS0_12zip_iteratorINS5_IJN6thrust23THRUST_200600_302600_NS6detail15normal_iteratorINSC_10device_ptrIKtEEEESI_EEEEESK_NSA_INS5_IJNSC_16discard_iteratorINSC_11use_defaultEEESN_EEEEEPS7_SQ_SQ_NSC_11hip_rocprim7__merge17predicate_wrapperIttNSC_4lessItEEEEEE10hipError_tPvRmT0_T1_T2_T3_T4_T5_mmT6_P12ihipStream_tbEUlT_E_NS1_11comp_targetILNS1_3genE8ELNS1_11target_archE1030ELNS1_3gpuE2ELNS1_3repE0EEENS1_30default_config_static_selectorELNS0_4arch9wavefront6targetE0EEEvS11_.uses_flat_scratch, 0
	.set _ZN7rocprim17ROCPRIM_400000_NS6detail17trampoline_kernelINS0_14default_configENS1_21merge_config_selectorINS0_5tupleIJttEEENS0_10empty_typeEEEZNS1_10merge_implIS3_NS0_12zip_iteratorINS5_IJN6thrust23THRUST_200600_302600_NS6detail15normal_iteratorINSC_10device_ptrIKtEEEESI_EEEEESK_NSA_INS5_IJNSC_16discard_iteratorINSC_11use_defaultEEESN_EEEEEPS7_SQ_SQ_NSC_11hip_rocprim7__merge17predicate_wrapperIttNSC_4lessItEEEEEE10hipError_tPvRmT0_T1_T2_T3_T4_T5_mmT6_P12ihipStream_tbEUlT_E_NS1_11comp_targetILNS1_3genE8ELNS1_11target_archE1030ELNS1_3gpuE2ELNS1_3repE0EEENS1_30default_config_static_selectorELNS0_4arch9wavefront6targetE0EEEvS11_.has_dyn_sized_stack, 0
	.set _ZN7rocprim17ROCPRIM_400000_NS6detail17trampoline_kernelINS0_14default_configENS1_21merge_config_selectorINS0_5tupleIJttEEENS0_10empty_typeEEEZNS1_10merge_implIS3_NS0_12zip_iteratorINS5_IJN6thrust23THRUST_200600_302600_NS6detail15normal_iteratorINSC_10device_ptrIKtEEEESI_EEEEESK_NSA_INS5_IJNSC_16discard_iteratorINSC_11use_defaultEEESN_EEEEEPS7_SQ_SQ_NSC_11hip_rocprim7__merge17predicate_wrapperIttNSC_4lessItEEEEEE10hipError_tPvRmT0_T1_T2_T3_T4_T5_mmT6_P12ihipStream_tbEUlT_E_NS1_11comp_targetILNS1_3genE8ELNS1_11target_archE1030ELNS1_3gpuE2ELNS1_3repE0EEENS1_30default_config_static_selectorELNS0_4arch9wavefront6targetE0EEEvS11_.has_recursion, 0
	.set _ZN7rocprim17ROCPRIM_400000_NS6detail17trampoline_kernelINS0_14default_configENS1_21merge_config_selectorINS0_5tupleIJttEEENS0_10empty_typeEEEZNS1_10merge_implIS3_NS0_12zip_iteratorINS5_IJN6thrust23THRUST_200600_302600_NS6detail15normal_iteratorINSC_10device_ptrIKtEEEESI_EEEEESK_NSA_INS5_IJNSC_16discard_iteratorINSC_11use_defaultEEESN_EEEEEPS7_SQ_SQ_NSC_11hip_rocprim7__merge17predicate_wrapperIttNSC_4lessItEEEEEE10hipError_tPvRmT0_T1_T2_T3_T4_T5_mmT6_P12ihipStream_tbEUlT_E_NS1_11comp_targetILNS1_3genE8ELNS1_11target_archE1030ELNS1_3gpuE2ELNS1_3repE0EEENS1_30default_config_static_selectorELNS0_4arch9wavefront6targetE0EEEvS11_.has_indirect_call, 0
	.section	.AMDGPU.csdata,"",@progbits
; Kernel info:
; codeLenInByte = 0
; TotalNumSgprs: 0
; NumVgprs: 0
; ScratchSize: 0
; MemoryBound: 0
; FloatMode: 240
; IeeeMode: 1
; LDSByteSize: 0 bytes/workgroup (compile time only)
; SGPRBlocks: 0
; VGPRBlocks: 0
; NumSGPRsForWavesPerEU: 1
; NumVGPRsForWavesPerEU: 1
; NamedBarCnt: 0
; Occupancy: 16
; WaveLimiterHint : 0
; COMPUTE_PGM_RSRC2:SCRATCH_EN: 0
; COMPUTE_PGM_RSRC2:USER_SGPR: 2
; COMPUTE_PGM_RSRC2:TRAP_HANDLER: 0
; COMPUTE_PGM_RSRC2:TGID_X_EN: 1
; COMPUTE_PGM_RSRC2:TGID_Y_EN: 0
; COMPUTE_PGM_RSRC2:TGID_Z_EN: 0
; COMPUTE_PGM_RSRC2:TIDIG_COMP_CNT: 0
	.section	.text._ZN7rocprim17ROCPRIM_400000_NS6detail17trampoline_kernelINS0_14default_configENS1_21merge_config_selectorINS0_5tupleIJttEEENS0_10empty_typeEEEZNS1_10merge_implIS3_NS0_12zip_iteratorINS5_IJN6thrust23THRUST_200600_302600_NS6detail15normal_iteratorINSC_10device_ptrIKtEEEESI_EEEEESK_NSA_INS5_IJNSC_16discard_iteratorINSC_11use_defaultEEESN_EEEEEPS7_SQ_SQ_NSC_11hip_rocprim7__merge17predicate_wrapperIttNSC_4lessItEEEEEE10hipError_tPvRmT0_T1_T2_T3_T4_T5_mmT6_P12ihipStream_tbEUlT_E0_NS1_11comp_targetILNS1_3genE0ELNS1_11target_archE4294967295ELNS1_3gpuE0ELNS1_3repE0EEENS1_30default_config_static_selectorELNS0_4arch9wavefront6targetE0EEEvS11_,"axG",@progbits,_ZN7rocprim17ROCPRIM_400000_NS6detail17trampoline_kernelINS0_14default_configENS1_21merge_config_selectorINS0_5tupleIJttEEENS0_10empty_typeEEEZNS1_10merge_implIS3_NS0_12zip_iteratorINS5_IJN6thrust23THRUST_200600_302600_NS6detail15normal_iteratorINSC_10device_ptrIKtEEEESI_EEEEESK_NSA_INS5_IJNSC_16discard_iteratorINSC_11use_defaultEEESN_EEEEEPS7_SQ_SQ_NSC_11hip_rocprim7__merge17predicate_wrapperIttNSC_4lessItEEEEEE10hipError_tPvRmT0_T1_T2_T3_T4_T5_mmT6_P12ihipStream_tbEUlT_E0_NS1_11comp_targetILNS1_3genE0ELNS1_11target_archE4294967295ELNS1_3gpuE0ELNS1_3repE0EEENS1_30default_config_static_selectorELNS0_4arch9wavefront6targetE0EEEvS11_,comdat
	.protected	_ZN7rocprim17ROCPRIM_400000_NS6detail17trampoline_kernelINS0_14default_configENS1_21merge_config_selectorINS0_5tupleIJttEEENS0_10empty_typeEEEZNS1_10merge_implIS3_NS0_12zip_iteratorINS5_IJN6thrust23THRUST_200600_302600_NS6detail15normal_iteratorINSC_10device_ptrIKtEEEESI_EEEEESK_NSA_INS5_IJNSC_16discard_iteratorINSC_11use_defaultEEESN_EEEEEPS7_SQ_SQ_NSC_11hip_rocprim7__merge17predicate_wrapperIttNSC_4lessItEEEEEE10hipError_tPvRmT0_T1_T2_T3_T4_T5_mmT6_P12ihipStream_tbEUlT_E0_NS1_11comp_targetILNS1_3genE0ELNS1_11target_archE4294967295ELNS1_3gpuE0ELNS1_3repE0EEENS1_30default_config_static_selectorELNS0_4arch9wavefront6targetE0EEEvS11_ ; -- Begin function _ZN7rocprim17ROCPRIM_400000_NS6detail17trampoline_kernelINS0_14default_configENS1_21merge_config_selectorINS0_5tupleIJttEEENS0_10empty_typeEEEZNS1_10merge_implIS3_NS0_12zip_iteratorINS5_IJN6thrust23THRUST_200600_302600_NS6detail15normal_iteratorINSC_10device_ptrIKtEEEESI_EEEEESK_NSA_INS5_IJNSC_16discard_iteratorINSC_11use_defaultEEESN_EEEEEPS7_SQ_SQ_NSC_11hip_rocprim7__merge17predicate_wrapperIttNSC_4lessItEEEEEE10hipError_tPvRmT0_T1_T2_T3_T4_T5_mmT6_P12ihipStream_tbEUlT_E0_NS1_11comp_targetILNS1_3genE0ELNS1_11target_archE4294967295ELNS1_3gpuE0ELNS1_3repE0EEENS1_30default_config_static_selectorELNS0_4arch9wavefront6targetE0EEEvS11_
	.globl	_ZN7rocprim17ROCPRIM_400000_NS6detail17trampoline_kernelINS0_14default_configENS1_21merge_config_selectorINS0_5tupleIJttEEENS0_10empty_typeEEEZNS1_10merge_implIS3_NS0_12zip_iteratorINS5_IJN6thrust23THRUST_200600_302600_NS6detail15normal_iteratorINSC_10device_ptrIKtEEEESI_EEEEESK_NSA_INS5_IJNSC_16discard_iteratorINSC_11use_defaultEEESN_EEEEEPS7_SQ_SQ_NSC_11hip_rocprim7__merge17predicate_wrapperIttNSC_4lessItEEEEEE10hipError_tPvRmT0_T1_T2_T3_T4_T5_mmT6_P12ihipStream_tbEUlT_E0_NS1_11comp_targetILNS1_3genE0ELNS1_11target_archE4294967295ELNS1_3gpuE0ELNS1_3repE0EEENS1_30default_config_static_selectorELNS0_4arch9wavefront6targetE0EEEvS11_
	.p2align	8
	.type	_ZN7rocprim17ROCPRIM_400000_NS6detail17trampoline_kernelINS0_14default_configENS1_21merge_config_selectorINS0_5tupleIJttEEENS0_10empty_typeEEEZNS1_10merge_implIS3_NS0_12zip_iteratorINS5_IJN6thrust23THRUST_200600_302600_NS6detail15normal_iteratorINSC_10device_ptrIKtEEEESI_EEEEESK_NSA_INS5_IJNSC_16discard_iteratorINSC_11use_defaultEEESN_EEEEEPS7_SQ_SQ_NSC_11hip_rocprim7__merge17predicate_wrapperIttNSC_4lessItEEEEEE10hipError_tPvRmT0_T1_T2_T3_T4_T5_mmT6_P12ihipStream_tbEUlT_E0_NS1_11comp_targetILNS1_3genE0ELNS1_11target_archE4294967295ELNS1_3gpuE0ELNS1_3repE0EEENS1_30default_config_static_selectorELNS0_4arch9wavefront6targetE0EEEvS11_,@function
_ZN7rocprim17ROCPRIM_400000_NS6detail17trampoline_kernelINS0_14default_configENS1_21merge_config_selectorINS0_5tupleIJttEEENS0_10empty_typeEEEZNS1_10merge_implIS3_NS0_12zip_iteratorINS5_IJN6thrust23THRUST_200600_302600_NS6detail15normal_iteratorINSC_10device_ptrIKtEEEESI_EEEEESK_NSA_INS5_IJNSC_16discard_iteratorINSC_11use_defaultEEESN_EEEEEPS7_SQ_SQ_NSC_11hip_rocprim7__merge17predicate_wrapperIttNSC_4lessItEEEEEE10hipError_tPvRmT0_T1_T2_T3_T4_T5_mmT6_P12ihipStream_tbEUlT_E0_NS1_11comp_targetILNS1_3genE0ELNS1_11target_archE4294967295ELNS1_3gpuE0ELNS1_3repE0EEENS1_30default_config_static_selectorELNS0_4arch9wavefront6targetE0EEEvS11_: ; @_ZN7rocprim17ROCPRIM_400000_NS6detail17trampoline_kernelINS0_14default_configENS1_21merge_config_selectorINS0_5tupleIJttEEENS0_10empty_typeEEEZNS1_10merge_implIS3_NS0_12zip_iteratorINS5_IJN6thrust23THRUST_200600_302600_NS6detail15normal_iteratorINSC_10device_ptrIKtEEEESI_EEEEESK_NSA_INS5_IJNSC_16discard_iteratorINSC_11use_defaultEEESN_EEEEEPS7_SQ_SQ_NSC_11hip_rocprim7__merge17predicate_wrapperIttNSC_4lessItEEEEEE10hipError_tPvRmT0_T1_T2_T3_T4_T5_mmT6_P12ihipStream_tbEUlT_E0_NS1_11comp_targetILNS1_3genE0ELNS1_11target_archE4294967295ELNS1_3gpuE0ELNS1_3repE0EEENS1_30default_config_static_selectorELNS0_4arch9wavefront6targetE0EEEvS11_
; %bb.0:
	s_clause 0x1
	s_load_b128 s[12:15], s[0:1], 0x68
	s_load_b256 s[4:11], s[0:1], 0x8
	s_bfe_u32 s2, ttmp6, 0x4000c
	s_and_b32 s3, ttmp6, 15
	s_add_co_i32 s2, s2, 1
	s_wait_kmcnt 0x0
	s_getreg_b32 s13, hwreg(HW_REG_IB_STS2, 6, 4)
	s_mul_i32 s2, ttmp9, s2
	v_mov_b32_e32 v1, 0
	s_add_co_i32 s3, s3, s2
	s_cmp_eq_u32 s13, 0
	s_cselect_b32 s2, ttmp9, s3
	s_delay_alu instid0(SALU_CYCLE_1) | instskip(SKIP_3) | instid1(SALU_CYCLE_1)
	s_mul_i32 s17, s2, 0xa00
	s_add_co_i32 s16, s14, s12
	s_add_co_i32 s12, s2, 1
	;; [unrolled: 1-line block ×3, first 2 shown]
	s_mul_hi_u32 s3, s3, 0xcccccccd
	s_delay_alu instid0(SALU_CYCLE_1) | instskip(NEXT) | instid1(SALU_CYCLE_1)
	s_lshr_b32 s3, s3, 11
	s_min_u32 s13, s2, s3
	s_min_u32 s3, s12, s3
	s_clause 0x1
	s_load_b32 s12, s[4:5], s13 offset:0x0 scale_offset
	s_load_b32 s20, s[4:5], s3 offset:0x0 scale_offset
	s_load_b64 s[18:19], s[0:1], 0x28
	s_wait_xcnt 0x0
	s_mov_b32 s13, 0
	s_add_co_i32 s0, s17, 0xa00
	s_mov_b32 s1, s13
	s_min_u32 s21, s16, s0
	s_wait_kmcnt 0x0
	s_sub_co_i32 s0, s17, s12
	s_lshl_b64 s[14:15], s[12:13], 1
	s_lshl_b64 s[4:5], s[0:1], 1
	s_add_co_i32 s0, s0, s20
	s_sub_co_i32 s12, s20, s12
	s_sub_co_i32 s0, s21, s0
	s_add_nc_u64 s[2:3], s[10:11], s[4:5]
	s_add_nc_u64 s[4:5], s[18:19], s[4:5]
	;; [unrolled: 1-line block ×3, first 2 shown]
	s_mov_b32 s1, exec_lo
	v_cmpx_le_u32_e64 s12, v0
	s_xor_b32 s1, exec_lo, s1
	s_cbranch_execz .LBB560_4
; %bb.1:
	s_mov_b32 s18, exec_lo
	v_cmpx_gt_u64_e64 s[10:11], v[0:1]
	s_cbranch_execz .LBB560_3
; %bb.2:
	v_subrev_nc_u32_e32 v2, s12, v0
	s_clause 0x1
	global_load_u16 v3, v2, s[2:3] scale_offset
	global_load_u16 v4, v2, s[4:5] scale_offset
	s_wait_xcnt 0x0
	v_lshlrev_b32_e32 v2, 2, v0
	s_wait_loadcnt 0x0
	v_perm_b32 v3, v4, v3, 0x5040100
	ds_store_b32 v2, v3
.LBB560_3:
	s_or_b32 exec_lo, exec_lo, s18
.LBB560_4:
	s_or_saveexec_b32 s1, s1
	v_lshlrev_b32_e32 v4, 2, v0
	s_add_nc_u64 s[6:7], s[6:7], s[14:15]
	s_add_nc_u64 s[8:9], s[8:9], s[14:15]
	s_xor_b32 exec_lo, exec_lo, s1
	s_cbranch_execz .LBB560_6
; %bb.5:
	s_clause 0x1
	global_load_u16 v2, v0, s[6:7] scale_offset
	global_load_u16 v3, v0, s[8:9] scale_offset
	s_wait_loadcnt 0x0
	v_perm_b32 v2, v3, v2, 0x5040100
	ds_store_b32 v4, v2
.LBB560_6:
	s_or_b32 exec_lo, exec_lo, s1
	v_or_b32_e32 v2, 0x100, v0
	s_mov_b32 s1, exec_lo
	s_delay_alu instid0(VALU_DEP_1)
	v_cmpx_le_u32_e64 s12, v2
	s_xor_b32 s1, exec_lo, s1
	s_cbranch_execz .LBB560_10
; %bb.7:
	v_mov_b32_e32 v3, 0
	s_mov_b32 s14, exec_lo
	s_delay_alu instid0(VALU_DEP_1)
	v_cmpx_gt_u64_e64 s[10:11], v[2:3]
	s_cbranch_execz .LBB560_9
; %bb.8:
	v_sub_nc_u64_e64 v[2:3], v[0:1], s[12:13]
	s_delay_alu instid0(VALU_DEP_1) | instskip(NEXT) | instid1(VALU_DEP_1)
	v_lshlrev_b64_e32 v[2:3], 1, v[2:3]
	v_add_nc_u64_e32 v[6:7], s[2:3], v[2:3]
	v_add_nc_u64_e32 v[2:3], s[4:5], v[2:3]
	global_load_u16 v5, v[6:7], off offset:512
	global_load_u16 v8, v[2:3], off offset:512
	s_wait_loadcnt 0x0
	v_perm_b32 v2, v8, v5, 0x5040100
	ds_store_b32 v4, v2 offset:1024
.LBB560_9:
	s_or_b32 exec_lo, exec_lo, s14
.LBB560_10:
	s_and_not1_saveexec_b32 s1, s1
	s_cbranch_execz .LBB560_12
; %bb.11:
	s_clause 0x1
	global_load_u16 v2, v0, s[6:7] offset:512 scale_offset
	global_load_u16 v3, v0, s[8:9] offset:512 scale_offset
	s_wait_loadcnt 0x0
	v_perm_b32 v2, v3, v2, 0x5040100
	ds_store_b32 v4, v2 offset:1024
.LBB560_12:
	s_or_b32 exec_lo, exec_lo, s1
	v_or_b32_e32 v2, 0x200, v0
	s_mov_b32 s1, exec_lo
	s_delay_alu instid0(VALU_DEP_1)
	v_cmpx_le_u32_e64 s12, v2
	s_xor_b32 s1, exec_lo, s1
	s_cbranch_execz .LBB560_16
; %bb.13:
	v_mov_b32_e32 v3, 0
	s_mov_b32 s14, exec_lo
	s_delay_alu instid0(VALU_DEP_1)
	v_cmpx_gt_u64_e64 s[10:11], v[2:3]
	s_cbranch_execz .LBB560_15
; %bb.14:
	v_sub_nc_u64_e64 v[2:3], v[0:1], s[12:13]
	s_delay_alu instid0(VALU_DEP_1) | instskip(NEXT) | instid1(VALU_DEP_1)
	v_lshlrev_b64_e32 v[2:3], 1, v[2:3]
	v_add_nc_u64_e32 v[6:7], s[2:3], v[2:3]
	v_add_nc_u64_e32 v[2:3], s[4:5], v[2:3]
	global_load_u16 v5, v[6:7], off offset:1024
	global_load_u16 v8, v[2:3], off offset:1024
	s_wait_loadcnt 0x0
	v_perm_b32 v2, v8, v5, 0x5040100
	ds_store_b32 v4, v2 offset:2048
.LBB560_15:
	s_or_b32 exec_lo, exec_lo, s14
.LBB560_16:
	s_and_not1_saveexec_b32 s1, s1
	s_cbranch_execz .LBB560_18
; %bb.17:
	s_clause 0x1
	global_load_u16 v2, v0, s[6:7] offset:1024 scale_offset
	global_load_u16 v3, v0, s[8:9] offset:1024 scale_offset
	s_wait_loadcnt 0x0
	v_perm_b32 v2, v3, v2, 0x5040100
	ds_store_b32 v4, v2 offset:2048
.LBB560_18:
	;; [unrolled: 37-line block ×8, first 2 shown]
	s_or_b32 exec_lo, exec_lo, s1
	v_or_b32_e32 v2, 0x900, v0
	s_mov_b32 s1, exec_lo
	s_delay_alu instid0(VALU_DEP_1)
	v_cmpx_le_u32_e64 s12, v2
	s_xor_b32 s1, exec_lo, s1
	s_cbranch_execz .LBB560_58
; %bb.55:
	v_mov_b32_e32 v3, 0
	s_delay_alu instid0(VALU_DEP_1)
	v_cmp_gt_u64_e32 vcc_lo, s[10:11], v[2:3]
	s_and_saveexec_b32 s10, vcc_lo
	s_cbranch_execz .LBB560_57
; %bb.56:
	v_sub_nc_u64_e64 v[2:3], v[0:1], s[12:13]
	s_delay_alu instid0(VALU_DEP_1) | instskip(NEXT) | instid1(VALU_DEP_1)
	v_lshlrev_b64_e32 v[2:3], 1, v[2:3]
	v_add_nc_u64_e32 v[6:7], s[2:3], v[2:3]
	v_add_nc_u64_e32 v[2:3], s[4:5], v[2:3]
	global_load_u16 v1, v[6:7], off offset:4608
	global_load_u16 v5, v[2:3], off offset:4608
	s_wait_loadcnt 0x0
	v_perm_b32 v1, v5, v1, 0x5040100
	ds_store_b32 v4, v1 offset:9216
.LBB560_57:
	s_or_b32 exec_lo, exec_lo, s10
                                        ; implicit-def: $vgpr4
.LBB560_58:
	s_and_not1_saveexec_b32 s1, s1
	s_cbranch_execz .LBB560_60
; %bb.59:
	s_clause 0x1
	global_load_u16 v1, v0, s[6:7] offset:4608 scale_offset
	global_load_u16 v2, v0, s[8:9] offset:4608 scale_offset
	s_wait_loadcnt 0x0
	v_perm_b32 v1, v2, v1, 0x5040100
	ds_store_b32 v4, v1 offset:9216
.LBB560_60:
	s_or_b32 exec_lo, exec_lo, s1
	v_mul_u32_u24_e32 v0, 10, v0
	s_mov_b32 s1, exec_lo
	s_wait_dscnt 0x0
	s_barrier_signal -1
	s_barrier_wait -1
	v_sub_nc_u32_e64 v11, v0, s0 clamp
	v_min_u32_e32 v1, s12, v0
	v_lshlrev_b32_e32 v10, 2, v0
	s_delay_alu instid0(VALU_DEP_2)
	v_cmpx_lt_u32_e64 v11, v1
	s_cbranch_execz .LBB560_64
; %bb.61:
	s_delay_alu instid0(VALU_DEP_2)
	v_lshl_add_u32 v2, s12, 2, v10
	s_mov_b32 s2, 0
.LBB560_62:                             ; =>This Inner Loop Header: Depth=1
	v_add_nc_u32_e32 v3, v1, v11
	s_delay_alu instid0(VALU_DEP_1) | instskip(NEXT) | instid1(VALU_DEP_1)
	v_lshrrev_b32_e32 v3, 1, v3
	v_not_b32_e32 v4, v3
	v_dual_lshlrev_b32 v5, 2, v3 :: v_dual_add_nc_u32 v6, 1, v3
	s_delay_alu instid0(VALU_DEP_2)
	v_lshl_add_u32 v4, v4, 2, v2
	ds_load_b32 v5, v5
	ds_load_b32 v4, v4
	s_wait_dscnt 0x0
	v_cmp_lt_u16_e32 vcc_lo, v4, v5
	v_cndmask_b32_e32 v1, v1, v3, vcc_lo
	v_cndmask_b32_e32 v11, v6, v11, vcc_lo
	s_delay_alu instid0(VALU_DEP_1) | instskip(SKIP_1) | instid1(SALU_CYCLE_1)
	v_cmp_ge_u32_e32 vcc_lo, v11, v1
	s_or_b32 s2, vcc_lo, s2
	s_and_not1_b32 exec_lo, exec_lo, s2
	s_cbranch_execnz .LBB560_62
; %bb.63:
	s_or_b32 exec_lo, exec_lo, s2
.LBB560_64:
	s_delay_alu instid0(SALU_CYCLE_1) | instskip(SKIP_4) | instid1(VALU_DEP_3)
	s_or_b32 exec_lo, exec_lo, s1
	v_dual_add_nc_u32 v2, s12, v0 :: v_dual_mov_b32 v0, 0
	v_mov_b32_e32 v1, 0
	s_add_co_i32 s10, s0, s12
	v_cmp_ge_u32_e32 vcc_lo, s12, v11
	v_dual_sub_nc_u32 v12, v2, v11 :: v_dual_mov_b32 v2, 0
	v_dual_mov_b32 v3, 0 :: v_dual_mov_b32 v4, 0
	v_mov_b32_e32 v5, 0
	s_delay_alu instid0(VALU_DEP_3) | instskip(SKIP_3) | instid1(SALU_CYCLE_1)
	v_cmp_ge_u32_e64 s0, s10, v12
	v_dual_mov_b32 v6, 0 :: v_dual_mov_b32 v7, 0
	v_dual_mov_b32 v8, 0 :: v_dual_mov_b32 v9, 0
	s_or_b32 s0, vcc_lo, s0
	s_and_saveexec_b32 s9, s0
	s_cbranch_execz .LBB560_70
; %bb.65:
	v_cmp_gt_u32_e32 vcc_lo, s12, v11
	v_dual_mov_b32 v1, 0 :: v_dual_mov_b32 v2, 0
	v_mov_b32_e32 v0, 0
	s_and_saveexec_b32 s0, vcc_lo
	s_cbranch_execz .LBB560_67
; %bb.66:
	v_lshlrev_b32_e32 v0, 2, v11
	ds_load_b32 v2, v0
	s_wait_dscnt 0x0
	v_lshrrev_b32_e32 v0, 16, v2
.LBB560_67:
	s_or_b32 exec_lo, exec_lo, s0
	v_cmp_le_u32_e64 s0, s10, v12
	v_mov_b32_e32 v3, 0
	s_mov_b32 s2, exec_lo
	v_cmpx_gt_u32_e64 s10, v12
	s_cbranch_execz .LBB560_69
; %bb.68:
	v_lshlrev_b32_e32 v1, 2, v12
	ds_load_b32 v1, v1
	s_wait_dscnt 0x0
	v_lshrrev_b32_e32 v3, 16, v1
.LBB560_69:
	s_or_b32 exec_lo, exec_lo, s2
	v_cmp_ge_u16_e64 s1, v1, v2
	s_delay_alu instid0(VALU_DEP_2) | instskip(SKIP_1) | instid1(SALU_CYCLE_1)
	v_lshlrev_b32_e32 v29, 16, v3
	s_and_b32 s1, vcc_lo, s1
	s_or_b32 vcc_lo, s0, s1
	v_dual_mov_b32 v4, s12 :: v_dual_cndmask_b32 v5, v12, v11
	s_delay_alu instid0(VALU_DEP_1) | instskip(NEXT) | instid1(VALU_DEP_1)
	v_dual_cndmask_b32 v6, s10, v4 :: v_dual_add_nc_u32 v5, 1, v5
	v_add_min_u32_e64 v6, v6, -1, v5
	v_dual_cndmask_b32 v7, v11, v5, vcc_lo :: v_dual_cndmask_b32 v5, v5, v12, vcc_lo
	s_delay_alu instid0(VALU_DEP_2) | instskip(NEXT) | instid1(VALU_DEP_2)
	v_lshlrev_b32_e32 v6, 2, v6
	v_cmp_gt_u32_e64 s0, s12, v7
	s_delay_alu instid0(VALU_DEP_3)
	v_cmp_le_u32_e64 s2, s10, v5
	ds_load_b32 v6, v6
	s_wait_dscnt 0x0
	v_cndmask_b32_e32 v8, v6, v1, vcc_lo
	v_cndmask_b32_e32 v9, v2, v6, vcc_lo
	v_and_b32_e32 v2, 0xffff, v2
	v_and_b32_e32 v1, 0xffff, v1
	v_lshrrev_b32_e32 v6, 16, v6
	s_delay_alu instid0(VALU_DEP_4) | instskip(NEXT) | instid1(VALU_DEP_2)
	v_cmp_ge_u16_e64 s1, v8, v9
	v_dual_cndmask_b32 v3, v6, v3, vcc_lo :: v_dual_bitop2_b32 v1, v29, v1 bitop3:0x54
	v_cndmask_b32_e32 v6, v0, v6, vcc_lo
	s_and_b32 s0, s0, s1
	s_delay_alu instid0(SALU_CYCLE_1) | instskip(NEXT) | instid1(SALU_CYCLE_1)
	s_or_b32 s0, s2, s0
	v_cndmask_b32_e64 v11, v5, v7, s0
	s_delay_alu instid0(VALU_DEP_1) | instskip(NEXT) | instid1(VALU_DEP_1)
	v_dual_cndmask_b32 v12, s10, v4, s0 :: v_dual_add_nc_u32 v11, 1, v11
	v_add_min_u32_e64 v12, v12, -1, v11
	v_cndmask_b32_e64 v7, v7, v11, s0
	s_delay_alu instid0(VALU_DEP_2) | instskip(NEXT) | instid1(VALU_DEP_2)
	v_dual_cndmask_b32 v5, v11, v5, s0 :: v_dual_lshlrev_b32 v12, 2, v12
	v_cmp_gt_u32_e64 s1, s12, v7
	s_delay_alu instid0(VALU_DEP_2)
	v_cmp_le_u32_e64 s3, s10, v5
	ds_load_b32 v12, v12
	s_wait_dscnt 0x0
	v_dual_lshlrev_b32 v29, 16, v3 :: v_dual_cndmask_b32 v13, v12, v8, s0
	v_cndmask_b32_e64 v14, v9, v12, s0
	v_and_b32_e32 v9, 0xffff, v9
	v_and_b32_e32 v8, 0xffff, v8
	v_lshrrev_b32_e32 v12, 16, v12
	s_delay_alu instid0(VALU_DEP_4) | instskip(NEXT) | instid1(VALU_DEP_2)
	v_cmp_ge_u16_e64 s2, v13, v14
	v_cndmask_b32_e64 v3, v12, v3, s0
	s_and_b32 s1, s1, s2
	s_delay_alu instid0(SALU_CYCLE_1) | instskip(NEXT) | instid1(SALU_CYCLE_1)
	s_or_b32 s1, s3, s1
	v_cndmask_b32_e64 v11, v5, v7, s1
	s_delay_alu instid0(VALU_DEP_1) | instskip(NEXT) | instid1(VALU_DEP_1)
	v_dual_cndmask_b32 v15, s10, v4, s1 :: v_dual_add_nc_u32 v11, 1, v11
	v_add_min_u32_e64 v15, v15, -1, v11
	v_cndmask_b32_e64 v5, v11, v5, s1
	v_cndmask_b32_e64 v7, v7, v11, s1
	s_delay_alu instid0(VALU_DEP_3) | instskip(NEXT) | instid1(VALU_DEP_3)
	v_lshlrev_b32_e32 v15, 2, v15
	v_cmp_le_u32_e64 s4, s10, v5
	s_delay_alu instid0(VALU_DEP_3) | instskip(SKIP_3) | instid1(VALU_DEP_1)
	v_cmp_gt_u32_e64 s2, s12, v7
	ds_load_b32 v15, v15
	s_wait_dscnt 0x0
	v_dual_cndmask_b32 v16, v15, v13, s1 :: v_dual_cndmask_b32 v17, v14, v15, s1
	v_cmp_ge_u16_e64 s3, v16, v17
	s_and_b32 s2, s2, s3
	s_delay_alu instid0(SALU_CYCLE_1) | instskip(NEXT) | instid1(SALU_CYCLE_1)
	s_or_b32 s2, s4, s2
	v_cndmask_b32_e64 v11, v5, v7, s2
	s_delay_alu instid0(VALU_DEP_1) | instskip(NEXT) | instid1(VALU_DEP_1)
	v_dual_cndmask_b32 v18, s10, v4, s2 :: v_dual_add_nc_u32 v11, 1, v11
	v_add_min_u32_e64 v18, v18, -1, v11
	s_delay_alu instid0(VALU_DEP_1) | instskip(NEXT) | instid1(VALU_DEP_1)
	v_dual_cndmask_b32 v5, v11, v5, s2 :: v_dual_lshlrev_b32 v18, 2, v18
	v_cmp_le_u32_e64 s5, s10, v5
	ds_load_b32 v18, v18
	s_wait_dscnt 0x0
	v_dual_cndmask_b32 v7, v7, v11, s2 :: v_dual_cndmask_b32 v20, v17, v18, s2
	v_cndmask_b32_e64 v19, v18, v16, s2
	s_delay_alu instid0(VALU_DEP_2) | instskip(NEXT) | instid1(VALU_DEP_2)
	v_cmp_gt_u32_e64 s3, s12, v7
	v_cmp_ge_u16_e64 s4, v19, v20
	s_and_b32 s3, s3, s4
	s_delay_alu instid0(SALU_CYCLE_1) | instskip(NEXT) | instid1(SALU_CYCLE_1)
	s_or_b32 s3, s5, s3
	v_cndmask_b32_e64 v11, v5, v7, s3
	s_delay_alu instid0(VALU_DEP_1) | instskip(NEXT) | instid1(VALU_DEP_1)
	v_dual_cndmask_b32 v21, s10, v4, s3 :: v_dual_add_nc_u32 v11, 1, v11
	v_add_min_u32_e64 v21, v21, -1, v11
	v_cndmask_b32_e64 v5, v11, v5, s3
	s_delay_alu instid0(VALU_DEP_2) | instskip(NEXT) | instid1(VALU_DEP_2)
	v_lshlrev_b32_e32 v21, 2, v21
	v_cmp_le_u32_e64 s6, s10, v5
	ds_load_b32 v21, v21
	s_wait_dscnt 0x0
	v_dual_cndmask_b32 v7, v7, v11, s3 :: v_dual_cndmask_b32 v23, v20, v21, s3
	v_cndmask_b32_e64 v22, v21, v19, s3
	s_delay_alu instid0(VALU_DEP_2) | instskip(NEXT) | instid1(VALU_DEP_2)
	v_cmp_gt_u32_e64 s4, s12, v7
	v_cmp_ge_u16_e64 s5, v22, v23
	s_and_b32 s4, s4, s5
	s_delay_alu instid0(SALU_CYCLE_1) | instskip(NEXT) | instid1(SALU_CYCLE_1)
	s_or_b32 s4, s6, s4
	v_cndmask_b32_e64 v11, v5, v7, s4
	s_delay_alu instid0(VALU_DEP_1) | instskip(NEXT) | instid1(VALU_DEP_1)
	v_dual_cndmask_b32 v24, s10, v4, s4 :: v_dual_add_nc_u32 v11, 1, v11
	v_add_min_u32_e64 v24, v24, -1, v11
	s_delay_alu instid0(VALU_DEP_1) | instskip(NEXT) | instid1(VALU_DEP_1)
	v_dual_cndmask_b32 v5, v11, v5, s4 :: v_dual_lshlrev_b32 v24, 2, v24
	v_cmp_le_u32_e64 s7, s10, v5
	ds_load_b32 v24, v24
	s_wait_dscnt 0x0
	v_dual_cndmask_b32 v7, v7, v11, s4 :: v_dual_cndmask_b32 v25, v24, v22, s4
	v_cndmask_b32_e64 v26, v23, v24, s4
	s_delay_alu instid0(VALU_DEP_2) | instskip(NEXT) | instid1(VALU_DEP_2)
	v_cmp_gt_u32_e64 s5, s12, v7
	v_cmp_ge_u16_e64 s6, v25, v26
	s_and_b32 s5, s5, s6
	s_delay_alu instid0(SALU_CYCLE_1) | instskip(NEXT) | instid1(SALU_CYCLE_1)
	s_or_b32 s5, s7, s5
	v_cndmask_b32_e64 v11, v5, v7, s5
	s_delay_alu instid0(VALU_DEP_1) | instskip(NEXT) | instid1(VALU_DEP_1)
	v_dual_cndmask_b32 v27, s10, v4, s5 :: v_dual_add_nc_u32 v11, 1, v11
	v_dual_lshlrev_b32 v28, 16, v0 :: v_dual_cndmask_b32 v7, v7, v11, s5
	s_delay_alu instid0(VALU_DEP_2) | instskip(NEXT) | instid1(VALU_DEP_2)
	v_add_min_u32_e64 v27, v27, -1, v11
	v_cmp_gt_u32_e64 s6, s12, v7
	s_delay_alu instid0(VALU_DEP_2)
	v_dual_lshlrev_b32 v27, 2, v27 :: v_dual_cndmask_b32 v5, v11, v5, s5
	v_dual_lshlrev_b32 v11, 16, v6 :: v_dual_cndmask_b32 v6, v6, v12, s0
	v_and_b32_e32 v12, 0xffff, v13
	ds_load_b32 v27, v27
	v_or_b32_e32 v2, v28, v2
	v_cmp_le_u32_e64 s8, s10, v5
	s_wait_dscnt 0x0
	v_dual_cndmask_b32 v28, v27, v25, s5 :: v_dual_cndmask_b32 v30, v26, v27, s5
	s_delay_alu instid0(VALU_DEP_1) | instskip(SKIP_1) | instid1(SALU_CYCLE_1)
	v_cmp_ge_u16_e64 s7, v28, v30
	s_and_b32 s6, s6, s7
	s_or_b32 s6, s8, s6
	s_delay_alu instid0(SALU_CYCLE_1) | instskip(SKIP_1) | instid1(VALU_DEP_2)
	v_cndmask_b32_e64 v0, v5, v7, s6
	v_cndmask_b32_e64 v31, s10, v4, s6
	v_dual_add_nc_u32 v32, 1, v0 :: v_dual_cndmask_b32 v0, v1, v2, vcc_lo
	v_or_b32_e32 v1, v11, v9
	v_dual_lshrrev_b32 v11, 16, v15 :: v_dual_bitop2_b32 v2, v29, v8 bitop3:0x54
	s_delay_alu instid0(VALU_DEP_3) | instskip(SKIP_2) | instid1(VALU_DEP_4)
	v_add_min_u32_e64 v8, v31, -1, v32
	v_lshlrev_b32_e32 v13, 16, v6
	v_and_b32_e32 v9, 0xffff, v14
	v_dual_lshlrev_b32 v14, 16, v3 :: v_dual_cndmask_b32 v3, v11, v3, s1
	s_delay_alu instid0(VALU_DEP_4) | instskip(NEXT) | instid1(VALU_DEP_3)
	v_dual_lshlrev_b32 v8, 2, v8 :: v_dual_cndmask_b32 v6, v6, v11, s1
	v_or_b32_e32 v9, v13, v9
	v_and_b32_e32 v11, 0xffff, v17
	v_and_b32_e32 v15, 0xffff, v16
	ds_load_b32 v8, v8
	v_dual_lshlrev_b32 v16, 16, v6 :: v_dual_lshlrev_b32 v17, 16, v3
	v_dual_lshrrev_b32 v13, 16, v18 :: v_dual_bitop2_b32 v12, v14, v12 bitop3:0x54
	s_delay_alu instid0(VALU_DEP_2) | instskip(NEXT) | instid1(VALU_DEP_2)
	v_dual_cndmask_b32 v1, v2, v1, s0 :: v_dual_bitop2_b32 v11, v16, v11 bitop3:0x54
	v_dual_cndmask_b32 v2, v12, v9, s1 :: v_dual_bitop2_b32 v14, v17, v15 bitop3:0x54
	s_delay_alu instid0(VALU_DEP_3) | instskip(NEXT) | instid1(VALU_DEP_2)
	v_dual_cndmask_b32 v6, v6, v13, s2 :: v_dual_cndmask_b32 v9, v13, v3, s2
	v_dual_cndmask_b32 v7, v7, v32, s6 :: v_dual_cndmask_b32 v3, v14, v11, s2
	v_and_b32_e32 v11, 0xffff, v20
	s_delay_alu instid0(VALU_DEP_3) | instskip(NEXT) | instid1(VALU_DEP_3)
	v_dual_lshlrev_b32 v13, 16, v6 :: v_dual_lshlrev_b32 v14, 16, v9
	v_cmp_gt_u32_e32 vcc_lo, s12, v7
	v_and_b32_e32 v12, 0xffff, v19
	s_delay_alu instid0(VALU_DEP_3)
	v_dual_lshrrev_b32 v18, 16, v24 :: v_dual_bitop2_b32 v11, v13, v11 bitop3:0x54
	s_wait_dscnt 0x0
	v_cndmask_b32_e64 v15, v8, v28, s6
	v_dual_cndmask_b32 v16, v30, v8, s6 :: v_dual_cndmask_b32 v13, v32, v5, s6
	v_dual_lshrrev_b32 v5, 16, v21 :: v_dual_bitop2_b32 v12, v14, v12 bitop3:0x54
	v_and_b32_e32 v17, 0xffff, v22
	s_delay_alu instid0(VALU_DEP_3) | instskip(NEXT) | instid1(VALU_DEP_4)
	v_cmp_ge_u16_e64 s0, v15, v16
	v_cmp_le_u32_e64 s1, s10, v13
	s_delay_alu instid0(VALU_DEP_4) | instskip(SKIP_1) | instid1(SALU_CYCLE_1)
	v_dual_cndmask_b32 v9, v5, v9, s3 :: v_dual_lshrrev_b32 v8, 16, v8
	s_and_b32 s0, vcc_lo, s0
	s_or_b32 vcc_lo, s1, s0
	s_delay_alu instid0(SALU_CYCLE_1) | instskip(NEXT) | instid1(VALU_DEP_2)
	v_dual_cndmask_b32 v5, v6, v5, s3 :: v_dual_cndmask_b32 v14, v13, v7, vcc_lo
	v_dual_cndmask_b32 v4, s10, v4, vcc_lo :: v_dual_lshlrev_b32 v20, 16, v9
	s_delay_alu instid0(VALU_DEP_2) | instskip(NEXT) | instid1(VALU_DEP_3)
	v_dual_cndmask_b32 v9, v18, v9, s4 :: v_dual_cndmask_b32 v21, v5, v18, s4
	v_dual_lshlrev_b32 v19, 16, v5 :: v_dual_add_nc_u32 v14, 1, v14
	v_and_b32_e32 v6, 0xffff, v23
	s_delay_alu instid0(VALU_DEP_4) | instskip(NEXT) | instid1(VALU_DEP_4)
	v_or_b32_e32 v17, v20, v17
	v_lshlrev_b32_e32 v18, 16, v21
	s_delay_alu instid0(VALU_DEP_4) | instskip(NEXT) | instid1(VALU_DEP_4)
	v_add_min_u32_e64 v4, v4, -1, v14
	v_dual_lshlrev_b32 v22, 16, v9 :: v_dual_bitop2_b32 v5, v19, v6 bitop3:0x54
	v_and_b32_e32 v6, 0xffff, v26
	v_and_b32_e32 v19, 0xffff, v25
	s_delay_alu instid0(VALU_DEP_4) | instskip(NEXT) | instid1(VALU_DEP_3)
	v_dual_cndmask_b32 v13, v14, v13 :: v_dual_lshlrev_b32 v4, 2, v4
	v_dual_lshrrev_b32 v18, 16, v27 :: v_dual_bitop2_b32 v6, v18, v6 bitop3:0x54
	ds_load_b32 v20, v4
	v_dual_cndmask_b32 v5, v17, v5, s4 :: v_dual_bitop2_b32 v19, v22, v19 bitop3:0x54
	v_dual_cndmask_b32 v4, v12, v11, s3 :: v_dual_cndmask_b32 v11, v21, v18, s5
	s_delay_alu instid0(VALU_DEP_2) | instskip(SKIP_2) | instid1(VALU_DEP_4)
	v_dual_cndmask_b32 v9, v18, v9, s5 :: v_dual_cndmask_b32 v6, v19, v6, s5
	v_and_b32_e32 v17, 0xffff, v28
	v_and_b32_e32 v12, 0xffff, v30
	v_dual_cndmask_b32 v18, v11, v8, s6 :: v_dual_lshlrev_b32 v11, 16, v11
	s_delay_alu instid0(VALU_DEP_4) | instskip(SKIP_1) | instid1(VALU_DEP_3)
	v_dual_cndmask_b32 v8, v8, v9, s6 :: v_dual_lshlrev_b32 v9, 16, v9
	v_and_b32_e32 v19, 0xffff, v16
	v_lshlrev_b32_e32 v21, 16, v18
	v_and_b32_e32 v22, 0xffff, v15
	s_delay_alu instid0(VALU_DEP_4) | instskip(SKIP_3) | instid1(VALU_DEP_3)
	v_dual_lshlrev_b32 v23, 16, v8 :: v_dual_bitop2_b32 v9, v9, v17 bitop3:0x54
	v_or_b32_e32 v11, v11, v12
	s_wait_dscnt 0x0
	v_dual_cndmask_b32 v16, v16, v20, vcc_lo :: v_dual_bitop2_b32 v12, v21, v19 bitop3:0x54
	v_dual_lshrrev_b32 v17, 16, v20 :: v_dual_bitop2_b32 v19, v23, v22 bitop3:0x54
	v_cndmask_b32_e32 v15, v20, v15, vcc_lo
	v_cmp_le_u32_e64 s2, s10, v13
	s_delay_alu instid0(VALU_DEP_3)
	v_dual_cndmask_b32 v18, v18, v17, vcc_lo :: v_dual_cndmask_b32 v8, v17, v8, vcc_lo
	v_cndmask_b32_e32 v7, v7, v14, vcc_lo
	v_and_b32_e32 v14, 0xffff, v16
	v_and_b32_e32 v17, 0xffff, v15
	v_cmp_ge_u16_e64 s1, v15, v16
	v_dual_lshlrev_b32 v8, 16, v8 :: v_dual_lshlrev_b32 v18, 16, v18
	v_cmp_gt_u32_e64 s0, s12, v7
	s_delay_alu instid0(VALU_DEP_2) | instskip(NEXT) | instid1(VALU_DEP_3)
	v_dual_cndmask_b32 v7, v9, v11, s6 :: v_dual_bitop2_b32 v13, v18, v14 bitop3:0x54
	v_or_b32_e32 v14, v8, v17
	s_and_b32 s0, s0, s1
	v_cndmask_b32_e32 v8, v19, v12, vcc_lo
	s_or_b32 vcc_lo, s2, s0
	s_delay_alu instid0(VALU_DEP_2)
	v_cndmask_b32_e32 v9, v14, v13, vcc_lo
.LBB560_70:
	s_or_b32 exec_lo, exec_lo, s9
	s_sub_co_i32 s0, s16, s17
	s_delay_alu instid0(SALU_CYCLE_1)
	s_cmp_gt_u32 s0, 0x9ff
	s_mov_b32 s0, -1
	s_barrier_signal -1
	s_barrier_wait -1
	ds_store_2addr_b64 v10, v[0:1], v[2:3] offset1:1
	ds_store_2addr_b64 v10, v[4:5], v[6:7] offset0:2 offset1:3
	ds_store_b64 v10, v[8:9] offset:32
	s_wait_dscnt 0x0
	s_cbranch_scc1 .LBB560_73
; %bb.71:
	s_and_not1_b32 vcc_lo, exec_lo, s0
	s_cbranch_vccz .LBB560_74
.LBB560_72:
	s_endpgm
.LBB560_73:
	s_barrier_signal -1
	s_barrier_wait -1
	s_cbranch_execnz .LBB560_72
.LBB560_74:
	s_barrier_signal -1
	s_barrier_wait -1
	s_endpgm
	.section	.rodata,"a",@progbits
	.p2align	6, 0x0
	.amdhsa_kernel _ZN7rocprim17ROCPRIM_400000_NS6detail17trampoline_kernelINS0_14default_configENS1_21merge_config_selectorINS0_5tupleIJttEEENS0_10empty_typeEEEZNS1_10merge_implIS3_NS0_12zip_iteratorINS5_IJN6thrust23THRUST_200600_302600_NS6detail15normal_iteratorINSC_10device_ptrIKtEEEESI_EEEEESK_NSA_INS5_IJNSC_16discard_iteratorINSC_11use_defaultEEESN_EEEEEPS7_SQ_SQ_NSC_11hip_rocprim7__merge17predicate_wrapperIttNSC_4lessItEEEEEE10hipError_tPvRmT0_T1_T2_T3_T4_T5_mmT6_P12ihipStream_tbEUlT_E0_NS1_11comp_targetILNS1_3genE0ELNS1_11target_archE4294967295ELNS1_3gpuE0ELNS1_3repE0EEENS1_30default_config_static_selectorELNS0_4arch9wavefront6targetE0EEEvS11_
		.amdhsa_group_segment_fixed_size 10256
		.amdhsa_private_segment_fixed_size 0
		.amdhsa_kernarg_size 128
		.amdhsa_user_sgpr_count 2
		.amdhsa_user_sgpr_dispatch_ptr 0
		.amdhsa_user_sgpr_queue_ptr 0
		.amdhsa_user_sgpr_kernarg_segment_ptr 1
		.amdhsa_user_sgpr_dispatch_id 0
		.amdhsa_user_sgpr_kernarg_preload_length 0
		.amdhsa_user_sgpr_kernarg_preload_offset 0
		.amdhsa_user_sgpr_private_segment_size 0
		.amdhsa_wavefront_size32 1
		.amdhsa_uses_dynamic_stack 0
		.amdhsa_enable_private_segment 0
		.amdhsa_system_sgpr_workgroup_id_x 1
		.amdhsa_system_sgpr_workgroup_id_y 0
		.amdhsa_system_sgpr_workgroup_id_z 0
		.amdhsa_system_sgpr_workgroup_info 0
		.amdhsa_system_vgpr_workitem_id 0
		.amdhsa_next_free_vgpr 33
		.amdhsa_next_free_sgpr 22
		.amdhsa_named_barrier_count 0
		.amdhsa_reserve_vcc 1
		.amdhsa_float_round_mode_32 0
		.amdhsa_float_round_mode_16_64 0
		.amdhsa_float_denorm_mode_32 3
		.amdhsa_float_denorm_mode_16_64 3
		.amdhsa_fp16_overflow 0
		.amdhsa_memory_ordered 1
		.amdhsa_forward_progress 1
		.amdhsa_inst_pref_size 34
		.amdhsa_round_robin_scheduling 0
		.amdhsa_exception_fp_ieee_invalid_op 0
		.amdhsa_exception_fp_denorm_src 0
		.amdhsa_exception_fp_ieee_div_zero 0
		.amdhsa_exception_fp_ieee_overflow 0
		.amdhsa_exception_fp_ieee_underflow 0
		.amdhsa_exception_fp_ieee_inexact 0
		.amdhsa_exception_int_div_zero 0
	.end_amdhsa_kernel
	.section	.text._ZN7rocprim17ROCPRIM_400000_NS6detail17trampoline_kernelINS0_14default_configENS1_21merge_config_selectorINS0_5tupleIJttEEENS0_10empty_typeEEEZNS1_10merge_implIS3_NS0_12zip_iteratorINS5_IJN6thrust23THRUST_200600_302600_NS6detail15normal_iteratorINSC_10device_ptrIKtEEEESI_EEEEESK_NSA_INS5_IJNSC_16discard_iteratorINSC_11use_defaultEEESN_EEEEEPS7_SQ_SQ_NSC_11hip_rocprim7__merge17predicate_wrapperIttNSC_4lessItEEEEEE10hipError_tPvRmT0_T1_T2_T3_T4_T5_mmT6_P12ihipStream_tbEUlT_E0_NS1_11comp_targetILNS1_3genE0ELNS1_11target_archE4294967295ELNS1_3gpuE0ELNS1_3repE0EEENS1_30default_config_static_selectorELNS0_4arch9wavefront6targetE0EEEvS11_,"axG",@progbits,_ZN7rocprim17ROCPRIM_400000_NS6detail17trampoline_kernelINS0_14default_configENS1_21merge_config_selectorINS0_5tupleIJttEEENS0_10empty_typeEEEZNS1_10merge_implIS3_NS0_12zip_iteratorINS5_IJN6thrust23THRUST_200600_302600_NS6detail15normal_iteratorINSC_10device_ptrIKtEEEESI_EEEEESK_NSA_INS5_IJNSC_16discard_iteratorINSC_11use_defaultEEESN_EEEEEPS7_SQ_SQ_NSC_11hip_rocprim7__merge17predicate_wrapperIttNSC_4lessItEEEEEE10hipError_tPvRmT0_T1_T2_T3_T4_T5_mmT6_P12ihipStream_tbEUlT_E0_NS1_11comp_targetILNS1_3genE0ELNS1_11target_archE4294967295ELNS1_3gpuE0ELNS1_3repE0EEENS1_30default_config_static_selectorELNS0_4arch9wavefront6targetE0EEEvS11_,comdat
.Lfunc_end560:
	.size	_ZN7rocprim17ROCPRIM_400000_NS6detail17trampoline_kernelINS0_14default_configENS1_21merge_config_selectorINS0_5tupleIJttEEENS0_10empty_typeEEEZNS1_10merge_implIS3_NS0_12zip_iteratorINS5_IJN6thrust23THRUST_200600_302600_NS6detail15normal_iteratorINSC_10device_ptrIKtEEEESI_EEEEESK_NSA_INS5_IJNSC_16discard_iteratorINSC_11use_defaultEEESN_EEEEEPS7_SQ_SQ_NSC_11hip_rocprim7__merge17predicate_wrapperIttNSC_4lessItEEEEEE10hipError_tPvRmT0_T1_T2_T3_T4_T5_mmT6_P12ihipStream_tbEUlT_E0_NS1_11comp_targetILNS1_3genE0ELNS1_11target_archE4294967295ELNS1_3gpuE0ELNS1_3repE0EEENS1_30default_config_static_selectorELNS0_4arch9wavefront6targetE0EEEvS11_, .Lfunc_end560-_ZN7rocprim17ROCPRIM_400000_NS6detail17trampoline_kernelINS0_14default_configENS1_21merge_config_selectorINS0_5tupleIJttEEENS0_10empty_typeEEEZNS1_10merge_implIS3_NS0_12zip_iteratorINS5_IJN6thrust23THRUST_200600_302600_NS6detail15normal_iteratorINSC_10device_ptrIKtEEEESI_EEEEESK_NSA_INS5_IJNSC_16discard_iteratorINSC_11use_defaultEEESN_EEEEEPS7_SQ_SQ_NSC_11hip_rocprim7__merge17predicate_wrapperIttNSC_4lessItEEEEEE10hipError_tPvRmT0_T1_T2_T3_T4_T5_mmT6_P12ihipStream_tbEUlT_E0_NS1_11comp_targetILNS1_3genE0ELNS1_11target_archE4294967295ELNS1_3gpuE0ELNS1_3repE0EEENS1_30default_config_static_selectorELNS0_4arch9wavefront6targetE0EEEvS11_
                                        ; -- End function
	.set _ZN7rocprim17ROCPRIM_400000_NS6detail17trampoline_kernelINS0_14default_configENS1_21merge_config_selectorINS0_5tupleIJttEEENS0_10empty_typeEEEZNS1_10merge_implIS3_NS0_12zip_iteratorINS5_IJN6thrust23THRUST_200600_302600_NS6detail15normal_iteratorINSC_10device_ptrIKtEEEESI_EEEEESK_NSA_INS5_IJNSC_16discard_iteratorINSC_11use_defaultEEESN_EEEEEPS7_SQ_SQ_NSC_11hip_rocprim7__merge17predicate_wrapperIttNSC_4lessItEEEEEE10hipError_tPvRmT0_T1_T2_T3_T4_T5_mmT6_P12ihipStream_tbEUlT_E0_NS1_11comp_targetILNS1_3genE0ELNS1_11target_archE4294967295ELNS1_3gpuE0ELNS1_3repE0EEENS1_30default_config_static_selectorELNS0_4arch9wavefront6targetE0EEEvS11_.num_vgpr, 33
	.set _ZN7rocprim17ROCPRIM_400000_NS6detail17trampoline_kernelINS0_14default_configENS1_21merge_config_selectorINS0_5tupleIJttEEENS0_10empty_typeEEEZNS1_10merge_implIS3_NS0_12zip_iteratorINS5_IJN6thrust23THRUST_200600_302600_NS6detail15normal_iteratorINSC_10device_ptrIKtEEEESI_EEEEESK_NSA_INS5_IJNSC_16discard_iteratorINSC_11use_defaultEEESN_EEEEEPS7_SQ_SQ_NSC_11hip_rocprim7__merge17predicate_wrapperIttNSC_4lessItEEEEEE10hipError_tPvRmT0_T1_T2_T3_T4_T5_mmT6_P12ihipStream_tbEUlT_E0_NS1_11comp_targetILNS1_3genE0ELNS1_11target_archE4294967295ELNS1_3gpuE0ELNS1_3repE0EEENS1_30default_config_static_selectorELNS0_4arch9wavefront6targetE0EEEvS11_.num_agpr, 0
	.set _ZN7rocprim17ROCPRIM_400000_NS6detail17trampoline_kernelINS0_14default_configENS1_21merge_config_selectorINS0_5tupleIJttEEENS0_10empty_typeEEEZNS1_10merge_implIS3_NS0_12zip_iteratorINS5_IJN6thrust23THRUST_200600_302600_NS6detail15normal_iteratorINSC_10device_ptrIKtEEEESI_EEEEESK_NSA_INS5_IJNSC_16discard_iteratorINSC_11use_defaultEEESN_EEEEEPS7_SQ_SQ_NSC_11hip_rocprim7__merge17predicate_wrapperIttNSC_4lessItEEEEEE10hipError_tPvRmT0_T1_T2_T3_T4_T5_mmT6_P12ihipStream_tbEUlT_E0_NS1_11comp_targetILNS1_3genE0ELNS1_11target_archE4294967295ELNS1_3gpuE0ELNS1_3repE0EEENS1_30default_config_static_selectorELNS0_4arch9wavefront6targetE0EEEvS11_.numbered_sgpr, 22
	.set _ZN7rocprim17ROCPRIM_400000_NS6detail17trampoline_kernelINS0_14default_configENS1_21merge_config_selectorINS0_5tupleIJttEEENS0_10empty_typeEEEZNS1_10merge_implIS3_NS0_12zip_iteratorINS5_IJN6thrust23THRUST_200600_302600_NS6detail15normal_iteratorINSC_10device_ptrIKtEEEESI_EEEEESK_NSA_INS5_IJNSC_16discard_iteratorINSC_11use_defaultEEESN_EEEEEPS7_SQ_SQ_NSC_11hip_rocprim7__merge17predicate_wrapperIttNSC_4lessItEEEEEE10hipError_tPvRmT0_T1_T2_T3_T4_T5_mmT6_P12ihipStream_tbEUlT_E0_NS1_11comp_targetILNS1_3genE0ELNS1_11target_archE4294967295ELNS1_3gpuE0ELNS1_3repE0EEENS1_30default_config_static_selectorELNS0_4arch9wavefront6targetE0EEEvS11_.num_named_barrier, 0
	.set _ZN7rocprim17ROCPRIM_400000_NS6detail17trampoline_kernelINS0_14default_configENS1_21merge_config_selectorINS0_5tupleIJttEEENS0_10empty_typeEEEZNS1_10merge_implIS3_NS0_12zip_iteratorINS5_IJN6thrust23THRUST_200600_302600_NS6detail15normal_iteratorINSC_10device_ptrIKtEEEESI_EEEEESK_NSA_INS5_IJNSC_16discard_iteratorINSC_11use_defaultEEESN_EEEEEPS7_SQ_SQ_NSC_11hip_rocprim7__merge17predicate_wrapperIttNSC_4lessItEEEEEE10hipError_tPvRmT0_T1_T2_T3_T4_T5_mmT6_P12ihipStream_tbEUlT_E0_NS1_11comp_targetILNS1_3genE0ELNS1_11target_archE4294967295ELNS1_3gpuE0ELNS1_3repE0EEENS1_30default_config_static_selectorELNS0_4arch9wavefront6targetE0EEEvS11_.private_seg_size, 0
	.set _ZN7rocprim17ROCPRIM_400000_NS6detail17trampoline_kernelINS0_14default_configENS1_21merge_config_selectorINS0_5tupleIJttEEENS0_10empty_typeEEEZNS1_10merge_implIS3_NS0_12zip_iteratorINS5_IJN6thrust23THRUST_200600_302600_NS6detail15normal_iteratorINSC_10device_ptrIKtEEEESI_EEEEESK_NSA_INS5_IJNSC_16discard_iteratorINSC_11use_defaultEEESN_EEEEEPS7_SQ_SQ_NSC_11hip_rocprim7__merge17predicate_wrapperIttNSC_4lessItEEEEEE10hipError_tPvRmT0_T1_T2_T3_T4_T5_mmT6_P12ihipStream_tbEUlT_E0_NS1_11comp_targetILNS1_3genE0ELNS1_11target_archE4294967295ELNS1_3gpuE0ELNS1_3repE0EEENS1_30default_config_static_selectorELNS0_4arch9wavefront6targetE0EEEvS11_.uses_vcc, 1
	.set _ZN7rocprim17ROCPRIM_400000_NS6detail17trampoline_kernelINS0_14default_configENS1_21merge_config_selectorINS0_5tupleIJttEEENS0_10empty_typeEEEZNS1_10merge_implIS3_NS0_12zip_iteratorINS5_IJN6thrust23THRUST_200600_302600_NS6detail15normal_iteratorINSC_10device_ptrIKtEEEESI_EEEEESK_NSA_INS5_IJNSC_16discard_iteratorINSC_11use_defaultEEESN_EEEEEPS7_SQ_SQ_NSC_11hip_rocprim7__merge17predicate_wrapperIttNSC_4lessItEEEEEE10hipError_tPvRmT0_T1_T2_T3_T4_T5_mmT6_P12ihipStream_tbEUlT_E0_NS1_11comp_targetILNS1_3genE0ELNS1_11target_archE4294967295ELNS1_3gpuE0ELNS1_3repE0EEENS1_30default_config_static_selectorELNS0_4arch9wavefront6targetE0EEEvS11_.uses_flat_scratch, 0
	.set _ZN7rocprim17ROCPRIM_400000_NS6detail17trampoline_kernelINS0_14default_configENS1_21merge_config_selectorINS0_5tupleIJttEEENS0_10empty_typeEEEZNS1_10merge_implIS3_NS0_12zip_iteratorINS5_IJN6thrust23THRUST_200600_302600_NS6detail15normal_iteratorINSC_10device_ptrIKtEEEESI_EEEEESK_NSA_INS5_IJNSC_16discard_iteratorINSC_11use_defaultEEESN_EEEEEPS7_SQ_SQ_NSC_11hip_rocprim7__merge17predicate_wrapperIttNSC_4lessItEEEEEE10hipError_tPvRmT0_T1_T2_T3_T4_T5_mmT6_P12ihipStream_tbEUlT_E0_NS1_11comp_targetILNS1_3genE0ELNS1_11target_archE4294967295ELNS1_3gpuE0ELNS1_3repE0EEENS1_30default_config_static_selectorELNS0_4arch9wavefront6targetE0EEEvS11_.has_dyn_sized_stack, 0
	.set _ZN7rocprim17ROCPRIM_400000_NS6detail17trampoline_kernelINS0_14default_configENS1_21merge_config_selectorINS0_5tupleIJttEEENS0_10empty_typeEEEZNS1_10merge_implIS3_NS0_12zip_iteratorINS5_IJN6thrust23THRUST_200600_302600_NS6detail15normal_iteratorINSC_10device_ptrIKtEEEESI_EEEEESK_NSA_INS5_IJNSC_16discard_iteratorINSC_11use_defaultEEESN_EEEEEPS7_SQ_SQ_NSC_11hip_rocprim7__merge17predicate_wrapperIttNSC_4lessItEEEEEE10hipError_tPvRmT0_T1_T2_T3_T4_T5_mmT6_P12ihipStream_tbEUlT_E0_NS1_11comp_targetILNS1_3genE0ELNS1_11target_archE4294967295ELNS1_3gpuE0ELNS1_3repE0EEENS1_30default_config_static_selectorELNS0_4arch9wavefront6targetE0EEEvS11_.has_recursion, 0
	.set _ZN7rocprim17ROCPRIM_400000_NS6detail17trampoline_kernelINS0_14default_configENS1_21merge_config_selectorINS0_5tupleIJttEEENS0_10empty_typeEEEZNS1_10merge_implIS3_NS0_12zip_iteratorINS5_IJN6thrust23THRUST_200600_302600_NS6detail15normal_iteratorINSC_10device_ptrIKtEEEESI_EEEEESK_NSA_INS5_IJNSC_16discard_iteratorINSC_11use_defaultEEESN_EEEEEPS7_SQ_SQ_NSC_11hip_rocprim7__merge17predicate_wrapperIttNSC_4lessItEEEEEE10hipError_tPvRmT0_T1_T2_T3_T4_T5_mmT6_P12ihipStream_tbEUlT_E0_NS1_11comp_targetILNS1_3genE0ELNS1_11target_archE4294967295ELNS1_3gpuE0ELNS1_3repE0EEENS1_30default_config_static_selectorELNS0_4arch9wavefront6targetE0EEEvS11_.has_indirect_call, 0
	.section	.AMDGPU.csdata,"",@progbits
; Kernel info:
; codeLenInByte = 4336
; TotalNumSgprs: 24
; NumVgprs: 33
; ScratchSize: 0
; MemoryBound: 0
; FloatMode: 240
; IeeeMode: 1
; LDSByteSize: 10256 bytes/workgroup (compile time only)
; SGPRBlocks: 0
; VGPRBlocks: 2
; NumSGPRsForWavesPerEU: 24
; NumVGPRsForWavesPerEU: 33
; NamedBarCnt: 0
; Occupancy: 16
; WaveLimiterHint : 1
; COMPUTE_PGM_RSRC2:SCRATCH_EN: 0
; COMPUTE_PGM_RSRC2:USER_SGPR: 2
; COMPUTE_PGM_RSRC2:TRAP_HANDLER: 0
; COMPUTE_PGM_RSRC2:TGID_X_EN: 1
; COMPUTE_PGM_RSRC2:TGID_Y_EN: 0
; COMPUTE_PGM_RSRC2:TGID_Z_EN: 0
; COMPUTE_PGM_RSRC2:TIDIG_COMP_CNT: 0
	.section	.text._ZN7rocprim17ROCPRIM_400000_NS6detail17trampoline_kernelINS0_14default_configENS1_21merge_config_selectorINS0_5tupleIJttEEENS0_10empty_typeEEEZNS1_10merge_implIS3_NS0_12zip_iteratorINS5_IJN6thrust23THRUST_200600_302600_NS6detail15normal_iteratorINSC_10device_ptrIKtEEEESI_EEEEESK_NSA_INS5_IJNSC_16discard_iteratorINSC_11use_defaultEEESN_EEEEEPS7_SQ_SQ_NSC_11hip_rocprim7__merge17predicate_wrapperIttNSC_4lessItEEEEEE10hipError_tPvRmT0_T1_T2_T3_T4_T5_mmT6_P12ihipStream_tbEUlT_E0_NS1_11comp_targetILNS1_3genE5ELNS1_11target_archE942ELNS1_3gpuE9ELNS1_3repE0EEENS1_30default_config_static_selectorELNS0_4arch9wavefront6targetE0EEEvS11_,"axG",@progbits,_ZN7rocprim17ROCPRIM_400000_NS6detail17trampoline_kernelINS0_14default_configENS1_21merge_config_selectorINS0_5tupleIJttEEENS0_10empty_typeEEEZNS1_10merge_implIS3_NS0_12zip_iteratorINS5_IJN6thrust23THRUST_200600_302600_NS6detail15normal_iteratorINSC_10device_ptrIKtEEEESI_EEEEESK_NSA_INS5_IJNSC_16discard_iteratorINSC_11use_defaultEEESN_EEEEEPS7_SQ_SQ_NSC_11hip_rocprim7__merge17predicate_wrapperIttNSC_4lessItEEEEEE10hipError_tPvRmT0_T1_T2_T3_T4_T5_mmT6_P12ihipStream_tbEUlT_E0_NS1_11comp_targetILNS1_3genE5ELNS1_11target_archE942ELNS1_3gpuE9ELNS1_3repE0EEENS1_30default_config_static_selectorELNS0_4arch9wavefront6targetE0EEEvS11_,comdat
	.protected	_ZN7rocprim17ROCPRIM_400000_NS6detail17trampoline_kernelINS0_14default_configENS1_21merge_config_selectorINS0_5tupleIJttEEENS0_10empty_typeEEEZNS1_10merge_implIS3_NS0_12zip_iteratorINS5_IJN6thrust23THRUST_200600_302600_NS6detail15normal_iteratorINSC_10device_ptrIKtEEEESI_EEEEESK_NSA_INS5_IJNSC_16discard_iteratorINSC_11use_defaultEEESN_EEEEEPS7_SQ_SQ_NSC_11hip_rocprim7__merge17predicate_wrapperIttNSC_4lessItEEEEEE10hipError_tPvRmT0_T1_T2_T3_T4_T5_mmT6_P12ihipStream_tbEUlT_E0_NS1_11comp_targetILNS1_3genE5ELNS1_11target_archE942ELNS1_3gpuE9ELNS1_3repE0EEENS1_30default_config_static_selectorELNS0_4arch9wavefront6targetE0EEEvS11_ ; -- Begin function _ZN7rocprim17ROCPRIM_400000_NS6detail17trampoline_kernelINS0_14default_configENS1_21merge_config_selectorINS0_5tupleIJttEEENS0_10empty_typeEEEZNS1_10merge_implIS3_NS0_12zip_iteratorINS5_IJN6thrust23THRUST_200600_302600_NS6detail15normal_iteratorINSC_10device_ptrIKtEEEESI_EEEEESK_NSA_INS5_IJNSC_16discard_iteratorINSC_11use_defaultEEESN_EEEEEPS7_SQ_SQ_NSC_11hip_rocprim7__merge17predicate_wrapperIttNSC_4lessItEEEEEE10hipError_tPvRmT0_T1_T2_T3_T4_T5_mmT6_P12ihipStream_tbEUlT_E0_NS1_11comp_targetILNS1_3genE5ELNS1_11target_archE942ELNS1_3gpuE9ELNS1_3repE0EEENS1_30default_config_static_selectorELNS0_4arch9wavefront6targetE0EEEvS11_
	.globl	_ZN7rocprim17ROCPRIM_400000_NS6detail17trampoline_kernelINS0_14default_configENS1_21merge_config_selectorINS0_5tupleIJttEEENS0_10empty_typeEEEZNS1_10merge_implIS3_NS0_12zip_iteratorINS5_IJN6thrust23THRUST_200600_302600_NS6detail15normal_iteratorINSC_10device_ptrIKtEEEESI_EEEEESK_NSA_INS5_IJNSC_16discard_iteratorINSC_11use_defaultEEESN_EEEEEPS7_SQ_SQ_NSC_11hip_rocprim7__merge17predicate_wrapperIttNSC_4lessItEEEEEE10hipError_tPvRmT0_T1_T2_T3_T4_T5_mmT6_P12ihipStream_tbEUlT_E0_NS1_11comp_targetILNS1_3genE5ELNS1_11target_archE942ELNS1_3gpuE9ELNS1_3repE0EEENS1_30default_config_static_selectorELNS0_4arch9wavefront6targetE0EEEvS11_
	.p2align	8
	.type	_ZN7rocprim17ROCPRIM_400000_NS6detail17trampoline_kernelINS0_14default_configENS1_21merge_config_selectorINS0_5tupleIJttEEENS0_10empty_typeEEEZNS1_10merge_implIS3_NS0_12zip_iteratorINS5_IJN6thrust23THRUST_200600_302600_NS6detail15normal_iteratorINSC_10device_ptrIKtEEEESI_EEEEESK_NSA_INS5_IJNSC_16discard_iteratorINSC_11use_defaultEEESN_EEEEEPS7_SQ_SQ_NSC_11hip_rocprim7__merge17predicate_wrapperIttNSC_4lessItEEEEEE10hipError_tPvRmT0_T1_T2_T3_T4_T5_mmT6_P12ihipStream_tbEUlT_E0_NS1_11comp_targetILNS1_3genE5ELNS1_11target_archE942ELNS1_3gpuE9ELNS1_3repE0EEENS1_30default_config_static_selectorELNS0_4arch9wavefront6targetE0EEEvS11_,@function
_ZN7rocprim17ROCPRIM_400000_NS6detail17trampoline_kernelINS0_14default_configENS1_21merge_config_selectorINS0_5tupleIJttEEENS0_10empty_typeEEEZNS1_10merge_implIS3_NS0_12zip_iteratorINS5_IJN6thrust23THRUST_200600_302600_NS6detail15normal_iteratorINSC_10device_ptrIKtEEEESI_EEEEESK_NSA_INS5_IJNSC_16discard_iteratorINSC_11use_defaultEEESN_EEEEEPS7_SQ_SQ_NSC_11hip_rocprim7__merge17predicate_wrapperIttNSC_4lessItEEEEEE10hipError_tPvRmT0_T1_T2_T3_T4_T5_mmT6_P12ihipStream_tbEUlT_E0_NS1_11comp_targetILNS1_3genE5ELNS1_11target_archE942ELNS1_3gpuE9ELNS1_3repE0EEENS1_30default_config_static_selectorELNS0_4arch9wavefront6targetE0EEEvS11_: ; @_ZN7rocprim17ROCPRIM_400000_NS6detail17trampoline_kernelINS0_14default_configENS1_21merge_config_selectorINS0_5tupleIJttEEENS0_10empty_typeEEEZNS1_10merge_implIS3_NS0_12zip_iteratorINS5_IJN6thrust23THRUST_200600_302600_NS6detail15normal_iteratorINSC_10device_ptrIKtEEEESI_EEEEESK_NSA_INS5_IJNSC_16discard_iteratorINSC_11use_defaultEEESN_EEEEEPS7_SQ_SQ_NSC_11hip_rocprim7__merge17predicate_wrapperIttNSC_4lessItEEEEEE10hipError_tPvRmT0_T1_T2_T3_T4_T5_mmT6_P12ihipStream_tbEUlT_E0_NS1_11comp_targetILNS1_3genE5ELNS1_11target_archE942ELNS1_3gpuE9ELNS1_3repE0EEENS1_30default_config_static_selectorELNS0_4arch9wavefront6targetE0EEEvS11_
; %bb.0:
	.section	.rodata,"a",@progbits
	.p2align	6, 0x0
	.amdhsa_kernel _ZN7rocprim17ROCPRIM_400000_NS6detail17trampoline_kernelINS0_14default_configENS1_21merge_config_selectorINS0_5tupleIJttEEENS0_10empty_typeEEEZNS1_10merge_implIS3_NS0_12zip_iteratorINS5_IJN6thrust23THRUST_200600_302600_NS6detail15normal_iteratorINSC_10device_ptrIKtEEEESI_EEEEESK_NSA_INS5_IJNSC_16discard_iteratorINSC_11use_defaultEEESN_EEEEEPS7_SQ_SQ_NSC_11hip_rocprim7__merge17predicate_wrapperIttNSC_4lessItEEEEEE10hipError_tPvRmT0_T1_T2_T3_T4_T5_mmT6_P12ihipStream_tbEUlT_E0_NS1_11comp_targetILNS1_3genE5ELNS1_11target_archE942ELNS1_3gpuE9ELNS1_3repE0EEENS1_30default_config_static_selectorELNS0_4arch9wavefront6targetE0EEEvS11_
		.amdhsa_group_segment_fixed_size 0
		.amdhsa_private_segment_fixed_size 0
		.amdhsa_kernarg_size 128
		.amdhsa_user_sgpr_count 2
		.amdhsa_user_sgpr_dispatch_ptr 0
		.amdhsa_user_sgpr_queue_ptr 0
		.amdhsa_user_sgpr_kernarg_segment_ptr 1
		.amdhsa_user_sgpr_dispatch_id 0
		.amdhsa_user_sgpr_kernarg_preload_length 0
		.amdhsa_user_sgpr_kernarg_preload_offset 0
		.amdhsa_user_sgpr_private_segment_size 0
		.amdhsa_wavefront_size32 1
		.amdhsa_uses_dynamic_stack 0
		.amdhsa_enable_private_segment 0
		.amdhsa_system_sgpr_workgroup_id_x 1
		.amdhsa_system_sgpr_workgroup_id_y 0
		.amdhsa_system_sgpr_workgroup_id_z 0
		.amdhsa_system_sgpr_workgroup_info 0
		.amdhsa_system_vgpr_workitem_id 0
		.amdhsa_next_free_vgpr 1
		.amdhsa_next_free_sgpr 1
		.amdhsa_named_barrier_count 0
		.amdhsa_reserve_vcc 0
		.amdhsa_float_round_mode_32 0
		.amdhsa_float_round_mode_16_64 0
		.amdhsa_float_denorm_mode_32 3
		.amdhsa_float_denorm_mode_16_64 3
		.amdhsa_fp16_overflow 0
		.amdhsa_memory_ordered 1
		.amdhsa_forward_progress 1
		.amdhsa_inst_pref_size 0
		.amdhsa_round_robin_scheduling 0
		.amdhsa_exception_fp_ieee_invalid_op 0
		.amdhsa_exception_fp_denorm_src 0
		.amdhsa_exception_fp_ieee_div_zero 0
		.amdhsa_exception_fp_ieee_overflow 0
		.amdhsa_exception_fp_ieee_underflow 0
		.amdhsa_exception_fp_ieee_inexact 0
		.amdhsa_exception_int_div_zero 0
	.end_amdhsa_kernel
	.section	.text._ZN7rocprim17ROCPRIM_400000_NS6detail17trampoline_kernelINS0_14default_configENS1_21merge_config_selectorINS0_5tupleIJttEEENS0_10empty_typeEEEZNS1_10merge_implIS3_NS0_12zip_iteratorINS5_IJN6thrust23THRUST_200600_302600_NS6detail15normal_iteratorINSC_10device_ptrIKtEEEESI_EEEEESK_NSA_INS5_IJNSC_16discard_iteratorINSC_11use_defaultEEESN_EEEEEPS7_SQ_SQ_NSC_11hip_rocprim7__merge17predicate_wrapperIttNSC_4lessItEEEEEE10hipError_tPvRmT0_T1_T2_T3_T4_T5_mmT6_P12ihipStream_tbEUlT_E0_NS1_11comp_targetILNS1_3genE5ELNS1_11target_archE942ELNS1_3gpuE9ELNS1_3repE0EEENS1_30default_config_static_selectorELNS0_4arch9wavefront6targetE0EEEvS11_,"axG",@progbits,_ZN7rocprim17ROCPRIM_400000_NS6detail17trampoline_kernelINS0_14default_configENS1_21merge_config_selectorINS0_5tupleIJttEEENS0_10empty_typeEEEZNS1_10merge_implIS3_NS0_12zip_iteratorINS5_IJN6thrust23THRUST_200600_302600_NS6detail15normal_iteratorINSC_10device_ptrIKtEEEESI_EEEEESK_NSA_INS5_IJNSC_16discard_iteratorINSC_11use_defaultEEESN_EEEEEPS7_SQ_SQ_NSC_11hip_rocprim7__merge17predicate_wrapperIttNSC_4lessItEEEEEE10hipError_tPvRmT0_T1_T2_T3_T4_T5_mmT6_P12ihipStream_tbEUlT_E0_NS1_11comp_targetILNS1_3genE5ELNS1_11target_archE942ELNS1_3gpuE9ELNS1_3repE0EEENS1_30default_config_static_selectorELNS0_4arch9wavefront6targetE0EEEvS11_,comdat
.Lfunc_end561:
	.size	_ZN7rocprim17ROCPRIM_400000_NS6detail17trampoline_kernelINS0_14default_configENS1_21merge_config_selectorINS0_5tupleIJttEEENS0_10empty_typeEEEZNS1_10merge_implIS3_NS0_12zip_iteratorINS5_IJN6thrust23THRUST_200600_302600_NS6detail15normal_iteratorINSC_10device_ptrIKtEEEESI_EEEEESK_NSA_INS5_IJNSC_16discard_iteratorINSC_11use_defaultEEESN_EEEEEPS7_SQ_SQ_NSC_11hip_rocprim7__merge17predicate_wrapperIttNSC_4lessItEEEEEE10hipError_tPvRmT0_T1_T2_T3_T4_T5_mmT6_P12ihipStream_tbEUlT_E0_NS1_11comp_targetILNS1_3genE5ELNS1_11target_archE942ELNS1_3gpuE9ELNS1_3repE0EEENS1_30default_config_static_selectorELNS0_4arch9wavefront6targetE0EEEvS11_, .Lfunc_end561-_ZN7rocprim17ROCPRIM_400000_NS6detail17trampoline_kernelINS0_14default_configENS1_21merge_config_selectorINS0_5tupleIJttEEENS0_10empty_typeEEEZNS1_10merge_implIS3_NS0_12zip_iteratorINS5_IJN6thrust23THRUST_200600_302600_NS6detail15normal_iteratorINSC_10device_ptrIKtEEEESI_EEEEESK_NSA_INS5_IJNSC_16discard_iteratorINSC_11use_defaultEEESN_EEEEEPS7_SQ_SQ_NSC_11hip_rocprim7__merge17predicate_wrapperIttNSC_4lessItEEEEEE10hipError_tPvRmT0_T1_T2_T3_T4_T5_mmT6_P12ihipStream_tbEUlT_E0_NS1_11comp_targetILNS1_3genE5ELNS1_11target_archE942ELNS1_3gpuE9ELNS1_3repE0EEENS1_30default_config_static_selectorELNS0_4arch9wavefront6targetE0EEEvS11_
                                        ; -- End function
	.set _ZN7rocprim17ROCPRIM_400000_NS6detail17trampoline_kernelINS0_14default_configENS1_21merge_config_selectorINS0_5tupleIJttEEENS0_10empty_typeEEEZNS1_10merge_implIS3_NS0_12zip_iteratorINS5_IJN6thrust23THRUST_200600_302600_NS6detail15normal_iteratorINSC_10device_ptrIKtEEEESI_EEEEESK_NSA_INS5_IJNSC_16discard_iteratorINSC_11use_defaultEEESN_EEEEEPS7_SQ_SQ_NSC_11hip_rocprim7__merge17predicate_wrapperIttNSC_4lessItEEEEEE10hipError_tPvRmT0_T1_T2_T3_T4_T5_mmT6_P12ihipStream_tbEUlT_E0_NS1_11comp_targetILNS1_3genE5ELNS1_11target_archE942ELNS1_3gpuE9ELNS1_3repE0EEENS1_30default_config_static_selectorELNS0_4arch9wavefront6targetE0EEEvS11_.num_vgpr, 0
	.set _ZN7rocprim17ROCPRIM_400000_NS6detail17trampoline_kernelINS0_14default_configENS1_21merge_config_selectorINS0_5tupleIJttEEENS0_10empty_typeEEEZNS1_10merge_implIS3_NS0_12zip_iteratorINS5_IJN6thrust23THRUST_200600_302600_NS6detail15normal_iteratorINSC_10device_ptrIKtEEEESI_EEEEESK_NSA_INS5_IJNSC_16discard_iteratorINSC_11use_defaultEEESN_EEEEEPS7_SQ_SQ_NSC_11hip_rocprim7__merge17predicate_wrapperIttNSC_4lessItEEEEEE10hipError_tPvRmT0_T1_T2_T3_T4_T5_mmT6_P12ihipStream_tbEUlT_E0_NS1_11comp_targetILNS1_3genE5ELNS1_11target_archE942ELNS1_3gpuE9ELNS1_3repE0EEENS1_30default_config_static_selectorELNS0_4arch9wavefront6targetE0EEEvS11_.num_agpr, 0
	.set _ZN7rocprim17ROCPRIM_400000_NS6detail17trampoline_kernelINS0_14default_configENS1_21merge_config_selectorINS0_5tupleIJttEEENS0_10empty_typeEEEZNS1_10merge_implIS3_NS0_12zip_iteratorINS5_IJN6thrust23THRUST_200600_302600_NS6detail15normal_iteratorINSC_10device_ptrIKtEEEESI_EEEEESK_NSA_INS5_IJNSC_16discard_iteratorINSC_11use_defaultEEESN_EEEEEPS7_SQ_SQ_NSC_11hip_rocprim7__merge17predicate_wrapperIttNSC_4lessItEEEEEE10hipError_tPvRmT0_T1_T2_T3_T4_T5_mmT6_P12ihipStream_tbEUlT_E0_NS1_11comp_targetILNS1_3genE5ELNS1_11target_archE942ELNS1_3gpuE9ELNS1_3repE0EEENS1_30default_config_static_selectorELNS0_4arch9wavefront6targetE0EEEvS11_.numbered_sgpr, 0
	.set _ZN7rocprim17ROCPRIM_400000_NS6detail17trampoline_kernelINS0_14default_configENS1_21merge_config_selectorINS0_5tupleIJttEEENS0_10empty_typeEEEZNS1_10merge_implIS3_NS0_12zip_iteratorINS5_IJN6thrust23THRUST_200600_302600_NS6detail15normal_iteratorINSC_10device_ptrIKtEEEESI_EEEEESK_NSA_INS5_IJNSC_16discard_iteratorINSC_11use_defaultEEESN_EEEEEPS7_SQ_SQ_NSC_11hip_rocprim7__merge17predicate_wrapperIttNSC_4lessItEEEEEE10hipError_tPvRmT0_T1_T2_T3_T4_T5_mmT6_P12ihipStream_tbEUlT_E0_NS1_11comp_targetILNS1_3genE5ELNS1_11target_archE942ELNS1_3gpuE9ELNS1_3repE0EEENS1_30default_config_static_selectorELNS0_4arch9wavefront6targetE0EEEvS11_.num_named_barrier, 0
	.set _ZN7rocprim17ROCPRIM_400000_NS6detail17trampoline_kernelINS0_14default_configENS1_21merge_config_selectorINS0_5tupleIJttEEENS0_10empty_typeEEEZNS1_10merge_implIS3_NS0_12zip_iteratorINS5_IJN6thrust23THRUST_200600_302600_NS6detail15normal_iteratorINSC_10device_ptrIKtEEEESI_EEEEESK_NSA_INS5_IJNSC_16discard_iteratorINSC_11use_defaultEEESN_EEEEEPS7_SQ_SQ_NSC_11hip_rocprim7__merge17predicate_wrapperIttNSC_4lessItEEEEEE10hipError_tPvRmT0_T1_T2_T3_T4_T5_mmT6_P12ihipStream_tbEUlT_E0_NS1_11comp_targetILNS1_3genE5ELNS1_11target_archE942ELNS1_3gpuE9ELNS1_3repE0EEENS1_30default_config_static_selectorELNS0_4arch9wavefront6targetE0EEEvS11_.private_seg_size, 0
	.set _ZN7rocprim17ROCPRIM_400000_NS6detail17trampoline_kernelINS0_14default_configENS1_21merge_config_selectorINS0_5tupleIJttEEENS0_10empty_typeEEEZNS1_10merge_implIS3_NS0_12zip_iteratorINS5_IJN6thrust23THRUST_200600_302600_NS6detail15normal_iteratorINSC_10device_ptrIKtEEEESI_EEEEESK_NSA_INS5_IJNSC_16discard_iteratorINSC_11use_defaultEEESN_EEEEEPS7_SQ_SQ_NSC_11hip_rocprim7__merge17predicate_wrapperIttNSC_4lessItEEEEEE10hipError_tPvRmT0_T1_T2_T3_T4_T5_mmT6_P12ihipStream_tbEUlT_E0_NS1_11comp_targetILNS1_3genE5ELNS1_11target_archE942ELNS1_3gpuE9ELNS1_3repE0EEENS1_30default_config_static_selectorELNS0_4arch9wavefront6targetE0EEEvS11_.uses_vcc, 0
	.set _ZN7rocprim17ROCPRIM_400000_NS6detail17trampoline_kernelINS0_14default_configENS1_21merge_config_selectorINS0_5tupleIJttEEENS0_10empty_typeEEEZNS1_10merge_implIS3_NS0_12zip_iteratorINS5_IJN6thrust23THRUST_200600_302600_NS6detail15normal_iteratorINSC_10device_ptrIKtEEEESI_EEEEESK_NSA_INS5_IJNSC_16discard_iteratorINSC_11use_defaultEEESN_EEEEEPS7_SQ_SQ_NSC_11hip_rocprim7__merge17predicate_wrapperIttNSC_4lessItEEEEEE10hipError_tPvRmT0_T1_T2_T3_T4_T5_mmT6_P12ihipStream_tbEUlT_E0_NS1_11comp_targetILNS1_3genE5ELNS1_11target_archE942ELNS1_3gpuE9ELNS1_3repE0EEENS1_30default_config_static_selectorELNS0_4arch9wavefront6targetE0EEEvS11_.uses_flat_scratch, 0
	.set _ZN7rocprim17ROCPRIM_400000_NS6detail17trampoline_kernelINS0_14default_configENS1_21merge_config_selectorINS0_5tupleIJttEEENS0_10empty_typeEEEZNS1_10merge_implIS3_NS0_12zip_iteratorINS5_IJN6thrust23THRUST_200600_302600_NS6detail15normal_iteratorINSC_10device_ptrIKtEEEESI_EEEEESK_NSA_INS5_IJNSC_16discard_iteratorINSC_11use_defaultEEESN_EEEEEPS7_SQ_SQ_NSC_11hip_rocprim7__merge17predicate_wrapperIttNSC_4lessItEEEEEE10hipError_tPvRmT0_T1_T2_T3_T4_T5_mmT6_P12ihipStream_tbEUlT_E0_NS1_11comp_targetILNS1_3genE5ELNS1_11target_archE942ELNS1_3gpuE9ELNS1_3repE0EEENS1_30default_config_static_selectorELNS0_4arch9wavefront6targetE0EEEvS11_.has_dyn_sized_stack, 0
	.set _ZN7rocprim17ROCPRIM_400000_NS6detail17trampoline_kernelINS0_14default_configENS1_21merge_config_selectorINS0_5tupleIJttEEENS0_10empty_typeEEEZNS1_10merge_implIS3_NS0_12zip_iteratorINS5_IJN6thrust23THRUST_200600_302600_NS6detail15normal_iteratorINSC_10device_ptrIKtEEEESI_EEEEESK_NSA_INS5_IJNSC_16discard_iteratorINSC_11use_defaultEEESN_EEEEEPS7_SQ_SQ_NSC_11hip_rocprim7__merge17predicate_wrapperIttNSC_4lessItEEEEEE10hipError_tPvRmT0_T1_T2_T3_T4_T5_mmT6_P12ihipStream_tbEUlT_E0_NS1_11comp_targetILNS1_3genE5ELNS1_11target_archE942ELNS1_3gpuE9ELNS1_3repE0EEENS1_30default_config_static_selectorELNS0_4arch9wavefront6targetE0EEEvS11_.has_recursion, 0
	.set _ZN7rocprim17ROCPRIM_400000_NS6detail17trampoline_kernelINS0_14default_configENS1_21merge_config_selectorINS0_5tupleIJttEEENS0_10empty_typeEEEZNS1_10merge_implIS3_NS0_12zip_iteratorINS5_IJN6thrust23THRUST_200600_302600_NS6detail15normal_iteratorINSC_10device_ptrIKtEEEESI_EEEEESK_NSA_INS5_IJNSC_16discard_iteratorINSC_11use_defaultEEESN_EEEEEPS7_SQ_SQ_NSC_11hip_rocprim7__merge17predicate_wrapperIttNSC_4lessItEEEEEE10hipError_tPvRmT0_T1_T2_T3_T4_T5_mmT6_P12ihipStream_tbEUlT_E0_NS1_11comp_targetILNS1_3genE5ELNS1_11target_archE942ELNS1_3gpuE9ELNS1_3repE0EEENS1_30default_config_static_selectorELNS0_4arch9wavefront6targetE0EEEvS11_.has_indirect_call, 0
	.section	.AMDGPU.csdata,"",@progbits
; Kernel info:
; codeLenInByte = 0
; TotalNumSgprs: 0
; NumVgprs: 0
; ScratchSize: 0
; MemoryBound: 0
; FloatMode: 240
; IeeeMode: 1
; LDSByteSize: 0 bytes/workgroup (compile time only)
; SGPRBlocks: 0
; VGPRBlocks: 0
; NumSGPRsForWavesPerEU: 1
; NumVGPRsForWavesPerEU: 1
; NamedBarCnt: 0
; Occupancy: 16
; WaveLimiterHint : 0
; COMPUTE_PGM_RSRC2:SCRATCH_EN: 0
; COMPUTE_PGM_RSRC2:USER_SGPR: 2
; COMPUTE_PGM_RSRC2:TRAP_HANDLER: 0
; COMPUTE_PGM_RSRC2:TGID_X_EN: 1
; COMPUTE_PGM_RSRC2:TGID_Y_EN: 0
; COMPUTE_PGM_RSRC2:TGID_Z_EN: 0
; COMPUTE_PGM_RSRC2:TIDIG_COMP_CNT: 0
	.section	.text._ZN7rocprim17ROCPRIM_400000_NS6detail17trampoline_kernelINS0_14default_configENS1_21merge_config_selectorINS0_5tupleIJttEEENS0_10empty_typeEEEZNS1_10merge_implIS3_NS0_12zip_iteratorINS5_IJN6thrust23THRUST_200600_302600_NS6detail15normal_iteratorINSC_10device_ptrIKtEEEESI_EEEEESK_NSA_INS5_IJNSC_16discard_iteratorINSC_11use_defaultEEESN_EEEEEPS7_SQ_SQ_NSC_11hip_rocprim7__merge17predicate_wrapperIttNSC_4lessItEEEEEE10hipError_tPvRmT0_T1_T2_T3_T4_T5_mmT6_P12ihipStream_tbEUlT_E0_NS1_11comp_targetILNS1_3genE4ELNS1_11target_archE910ELNS1_3gpuE8ELNS1_3repE0EEENS1_30default_config_static_selectorELNS0_4arch9wavefront6targetE0EEEvS11_,"axG",@progbits,_ZN7rocprim17ROCPRIM_400000_NS6detail17trampoline_kernelINS0_14default_configENS1_21merge_config_selectorINS0_5tupleIJttEEENS0_10empty_typeEEEZNS1_10merge_implIS3_NS0_12zip_iteratorINS5_IJN6thrust23THRUST_200600_302600_NS6detail15normal_iteratorINSC_10device_ptrIKtEEEESI_EEEEESK_NSA_INS5_IJNSC_16discard_iteratorINSC_11use_defaultEEESN_EEEEEPS7_SQ_SQ_NSC_11hip_rocprim7__merge17predicate_wrapperIttNSC_4lessItEEEEEE10hipError_tPvRmT0_T1_T2_T3_T4_T5_mmT6_P12ihipStream_tbEUlT_E0_NS1_11comp_targetILNS1_3genE4ELNS1_11target_archE910ELNS1_3gpuE8ELNS1_3repE0EEENS1_30default_config_static_selectorELNS0_4arch9wavefront6targetE0EEEvS11_,comdat
	.protected	_ZN7rocprim17ROCPRIM_400000_NS6detail17trampoline_kernelINS0_14default_configENS1_21merge_config_selectorINS0_5tupleIJttEEENS0_10empty_typeEEEZNS1_10merge_implIS3_NS0_12zip_iteratorINS5_IJN6thrust23THRUST_200600_302600_NS6detail15normal_iteratorINSC_10device_ptrIKtEEEESI_EEEEESK_NSA_INS5_IJNSC_16discard_iteratorINSC_11use_defaultEEESN_EEEEEPS7_SQ_SQ_NSC_11hip_rocprim7__merge17predicate_wrapperIttNSC_4lessItEEEEEE10hipError_tPvRmT0_T1_T2_T3_T4_T5_mmT6_P12ihipStream_tbEUlT_E0_NS1_11comp_targetILNS1_3genE4ELNS1_11target_archE910ELNS1_3gpuE8ELNS1_3repE0EEENS1_30default_config_static_selectorELNS0_4arch9wavefront6targetE0EEEvS11_ ; -- Begin function _ZN7rocprim17ROCPRIM_400000_NS6detail17trampoline_kernelINS0_14default_configENS1_21merge_config_selectorINS0_5tupleIJttEEENS0_10empty_typeEEEZNS1_10merge_implIS3_NS0_12zip_iteratorINS5_IJN6thrust23THRUST_200600_302600_NS6detail15normal_iteratorINSC_10device_ptrIKtEEEESI_EEEEESK_NSA_INS5_IJNSC_16discard_iteratorINSC_11use_defaultEEESN_EEEEEPS7_SQ_SQ_NSC_11hip_rocprim7__merge17predicate_wrapperIttNSC_4lessItEEEEEE10hipError_tPvRmT0_T1_T2_T3_T4_T5_mmT6_P12ihipStream_tbEUlT_E0_NS1_11comp_targetILNS1_3genE4ELNS1_11target_archE910ELNS1_3gpuE8ELNS1_3repE0EEENS1_30default_config_static_selectorELNS0_4arch9wavefront6targetE0EEEvS11_
	.globl	_ZN7rocprim17ROCPRIM_400000_NS6detail17trampoline_kernelINS0_14default_configENS1_21merge_config_selectorINS0_5tupleIJttEEENS0_10empty_typeEEEZNS1_10merge_implIS3_NS0_12zip_iteratorINS5_IJN6thrust23THRUST_200600_302600_NS6detail15normal_iteratorINSC_10device_ptrIKtEEEESI_EEEEESK_NSA_INS5_IJNSC_16discard_iteratorINSC_11use_defaultEEESN_EEEEEPS7_SQ_SQ_NSC_11hip_rocprim7__merge17predicate_wrapperIttNSC_4lessItEEEEEE10hipError_tPvRmT0_T1_T2_T3_T4_T5_mmT6_P12ihipStream_tbEUlT_E0_NS1_11comp_targetILNS1_3genE4ELNS1_11target_archE910ELNS1_3gpuE8ELNS1_3repE0EEENS1_30default_config_static_selectorELNS0_4arch9wavefront6targetE0EEEvS11_
	.p2align	8
	.type	_ZN7rocprim17ROCPRIM_400000_NS6detail17trampoline_kernelINS0_14default_configENS1_21merge_config_selectorINS0_5tupleIJttEEENS0_10empty_typeEEEZNS1_10merge_implIS3_NS0_12zip_iteratorINS5_IJN6thrust23THRUST_200600_302600_NS6detail15normal_iteratorINSC_10device_ptrIKtEEEESI_EEEEESK_NSA_INS5_IJNSC_16discard_iteratorINSC_11use_defaultEEESN_EEEEEPS7_SQ_SQ_NSC_11hip_rocprim7__merge17predicate_wrapperIttNSC_4lessItEEEEEE10hipError_tPvRmT0_T1_T2_T3_T4_T5_mmT6_P12ihipStream_tbEUlT_E0_NS1_11comp_targetILNS1_3genE4ELNS1_11target_archE910ELNS1_3gpuE8ELNS1_3repE0EEENS1_30default_config_static_selectorELNS0_4arch9wavefront6targetE0EEEvS11_,@function
_ZN7rocprim17ROCPRIM_400000_NS6detail17trampoline_kernelINS0_14default_configENS1_21merge_config_selectorINS0_5tupleIJttEEENS0_10empty_typeEEEZNS1_10merge_implIS3_NS0_12zip_iteratorINS5_IJN6thrust23THRUST_200600_302600_NS6detail15normal_iteratorINSC_10device_ptrIKtEEEESI_EEEEESK_NSA_INS5_IJNSC_16discard_iteratorINSC_11use_defaultEEESN_EEEEEPS7_SQ_SQ_NSC_11hip_rocprim7__merge17predicate_wrapperIttNSC_4lessItEEEEEE10hipError_tPvRmT0_T1_T2_T3_T4_T5_mmT6_P12ihipStream_tbEUlT_E0_NS1_11comp_targetILNS1_3genE4ELNS1_11target_archE910ELNS1_3gpuE8ELNS1_3repE0EEENS1_30default_config_static_selectorELNS0_4arch9wavefront6targetE0EEEvS11_: ; @_ZN7rocprim17ROCPRIM_400000_NS6detail17trampoline_kernelINS0_14default_configENS1_21merge_config_selectorINS0_5tupleIJttEEENS0_10empty_typeEEEZNS1_10merge_implIS3_NS0_12zip_iteratorINS5_IJN6thrust23THRUST_200600_302600_NS6detail15normal_iteratorINSC_10device_ptrIKtEEEESI_EEEEESK_NSA_INS5_IJNSC_16discard_iteratorINSC_11use_defaultEEESN_EEEEEPS7_SQ_SQ_NSC_11hip_rocprim7__merge17predicate_wrapperIttNSC_4lessItEEEEEE10hipError_tPvRmT0_T1_T2_T3_T4_T5_mmT6_P12ihipStream_tbEUlT_E0_NS1_11comp_targetILNS1_3genE4ELNS1_11target_archE910ELNS1_3gpuE8ELNS1_3repE0EEENS1_30default_config_static_selectorELNS0_4arch9wavefront6targetE0EEEvS11_
; %bb.0:
	.section	.rodata,"a",@progbits
	.p2align	6, 0x0
	.amdhsa_kernel _ZN7rocprim17ROCPRIM_400000_NS6detail17trampoline_kernelINS0_14default_configENS1_21merge_config_selectorINS0_5tupleIJttEEENS0_10empty_typeEEEZNS1_10merge_implIS3_NS0_12zip_iteratorINS5_IJN6thrust23THRUST_200600_302600_NS6detail15normal_iteratorINSC_10device_ptrIKtEEEESI_EEEEESK_NSA_INS5_IJNSC_16discard_iteratorINSC_11use_defaultEEESN_EEEEEPS7_SQ_SQ_NSC_11hip_rocprim7__merge17predicate_wrapperIttNSC_4lessItEEEEEE10hipError_tPvRmT0_T1_T2_T3_T4_T5_mmT6_P12ihipStream_tbEUlT_E0_NS1_11comp_targetILNS1_3genE4ELNS1_11target_archE910ELNS1_3gpuE8ELNS1_3repE0EEENS1_30default_config_static_selectorELNS0_4arch9wavefront6targetE0EEEvS11_
		.amdhsa_group_segment_fixed_size 0
		.amdhsa_private_segment_fixed_size 0
		.amdhsa_kernarg_size 128
		.amdhsa_user_sgpr_count 2
		.amdhsa_user_sgpr_dispatch_ptr 0
		.amdhsa_user_sgpr_queue_ptr 0
		.amdhsa_user_sgpr_kernarg_segment_ptr 1
		.amdhsa_user_sgpr_dispatch_id 0
		.amdhsa_user_sgpr_kernarg_preload_length 0
		.amdhsa_user_sgpr_kernarg_preload_offset 0
		.amdhsa_user_sgpr_private_segment_size 0
		.amdhsa_wavefront_size32 1
		.amdhsa_uses_dynamic_stack 0
		.amdhsa_enable_private_segment 0
		.amdhsa_system_sgpr_workgroup_id_x 1
		.amdhsa_system_sgpr_workgroup_id_y 0
		.amdhsa_system_sgpr_workgroup_id_z 0
		.amdhsa_system_sgpr_workgroup_info 0
		.amdhsa_system_vgpr_workitem_id 0
		.amdhsa_next_free_vgpr 1
		.amdhsa_next_free_sgpr 1
		.amdhsa_named_barrier_count 0
		.amdhsa_reserve_vcc 0
		.amdhsa_float_round_mode_32 0
		.amdhsa_float_round_mode_16_64 0
		.amdhsa_float_denorm_mode_32 3
		.amdhsa_float_denorm_mode_16_64 3
		.amdhsa_fp16_overflow 0
		.amdhsa_memory_ordered 1
		.amdhsa_forward_progress 1
		.amdhsa_inst_pref_size 0
		.amdhsa_round_robin_scheduling 0
		.amdhsa_exception_fp_ieee_invalid_op 0
		.amdhsa_exception_fp_denorm_src 0
		.amdhsa_exception_fp_ieee_div_zero 0
		.amdhsa_exception_fp_ieee_overflow 0
		.amdhsa_exception_fp_ieee_underflow 0
		.amdhsa_exception_fp_ieee_inexact 0
		.amdhsa_exception_int_div_zero 0
	.end_amdhsa_kernel
	.section	.text._ZN7rocprim17ROCPRIM_400000_NS6detail17trampoline_kernelINS0_14default_configENS1_21merge_config_selectorINS0_5tupleIJttEEENS0_10empty_typeEEEZNS1_10merge_implIS3_NS0_12zip_iteratorINS5_IJN6thrust23THRUST_200600_302600_NS6detail15normal_iteratorINSC_10device_ptrIKtEEEESI_EEEEESK_NSA_INS5_IJNSC_16discard_iteratorINSC_11use_defaultEEESN_EEEEEPS7_SQ_SQ_NSC_11hip_rocprim7__merge17predicate_wrapperIttNSC_4lessItEEEEEE10hipError_tPvRmT0_T1_T2_T3_T4_T5_mmT6_P12ihipStream_tbEUlT_E0_NS1_11comp_targetILNS1_3genE4ELNS1_11target_archE910ELNS1_3gpuE8ELNS1_3repE0EEENS1_30default_config_static_selectorELNS0_4arch9wavefront6targetE0EEEvS11_,"axG",@progbits,_ZN7rocprim17ROCPRIM_400000_NS6detail17trampoline_kernelINS0_14default_configENS1_21merge_config_selectorINS0_5tupleIJttEEENS0_10empty_typeEEEZNS1_10merge_implIS3_NS0_12zip_iteratorINS5_IJN6thrust23THRUST_200600_302600_NS6detail15normal_iteratorINSC_10device_ptrIKtEEEESI_EEEEESK_NSA_INS5_IJNSC_16discard_iteratorINSC_11use_defaultEEESN_EEEEEPS7_SQ_SQ_NSC_11hip_rocprim7__merge17predicate_wrapperIttNSC_4lessItEEEEEE10hipError_tPvRmT0_T1_T2_T3_T4_T5_mmT6_P12ihipStream_tbEUlT_E0_NS1_11comp_targetILNS1_3genE4ELNS1_11target_archE910ELNS1_3gpuE8ELNS1_3repE0EEENS1_30default_config_static_selectorELNS0_4arch9wavefront6targetE0EEEvS11_,comdat
.Lfunc_end562:
	.size	_ZN7rocprim17ROCPRIM_400000_NS6detail17trampoline_kernelINS0_14default_configENS1_21merge_config_selectorINS0_5tupleIJttEEENS0_10empty_typeEEEZNS1_10merge_implIS3_NS0_12zip_iteratorINS5_IJN6thrust23THRUST_200600_302600_NS6detail15normal_iteratorINSC_10device_ptrIKtEEEESI_EEEEESK_NSA_INS5_IJNSC_16discard_iteratorINSC_11use_defaultEEESN_EEEEEPS7_SQ_SQ_NSC_11hip_rocprim7__merge17predicate_wrapperIttNSC_4lessItEEEEEE10hipError_tPvRmT0_T1_T2_T3_T4_T5_mmT6_P12ihipStream_tbEUlT_E0_NS1_11comp_targetILNS1_3genE4ELNS1_11target_archE910ELNS1_3gpuE8ELNS1_3repE0EEENS1_30default_config_static_selectorELNS0_4arch9wavefront6targetE0EEEvS11_, .Lfunc_end562-_ZN7rocprim17ROCPRIM_400000_NS6detail17trampoline_kernelINS0_14default_configENS1_21merge_config_selectorINS0_5tupleIJttEEENS0_10empty_typeEEEZNS1_10merge_implIS3_NS0_12zip_iteratorINS5_IJN6thrust23THRUST_200600_302600_NS6detail15normal_iteratorINSC_10device_ptrIKtEEEESI_EEEEESK_NSA_INS5_IJNSC_16discard_iteratorINSC_11use_defaultEEESN_EEEEEPS7_SQ_SQ_NSC_11hip_rocprim7__merge17predicate_wrapperIttNSC_4lessItEEEEEE10hipError_tPvRmT0_T1_T2_T3_T4_T5_mmT6_P12ihipStream_tbEUlT_E0_NS1_11comp_targetILNS1_3genE4ELNS1_11target_archE910ELNS1_3gpuE8ELNS1_3repE0EEENS1_30default_config_static_selectorELNS0_4arch9wavefront6targetE0EEEvS11_
                                        ; -- End function
	.set _ZN7rocprim17ROCPRIM_400000_NS6detail17trampoline_kernelINS0_14default_configENS1_21merge_config_selectorINS0_5tupleIJttEEENS0_10empty_typeEEEZNS1_10merge_implIS3_NS0_12zip_iteratorINS5_IJN6thrust23THRUST_200600_302600_NS6detail15normal_iteratorINSC_10device_ptrIKtEEEESI_EEEEESK_NSA_INS5_IJNSC_16discard_iteratorINSC_11use_defaultEEESN_EEEEEPS7_SQ_SQ_NSC_11hip_rocprim7__merge17predicate_wrapperIttNSC_4lessItEEEEEE10hipError_tPvRmT0_T1_T2_T3_T4_T5_mmT6_P12ihipStream_tbEUlT_E0_NS1_11comp_targetILNS1_3genE4ELNS1_11target_archE910ELNS1_3gpuE8ELNS1_3repE0EEENS1_30default_config_static_selectorELNS0_4arch9wavefront6targetE0EEEvS11_.num_vgpr, 0
	.set _ZN7rocprim17ROCPRIM_400000_NS6detail17trampoline_kernelINS0_14default_configENS1_21merge_config_selectorINS0_5tupleIJttEEENS0_10empty_typeEEEZNS1_10merge_implIS3_NS0_12zip_iteratorINS5_IJN6thrust23THRUST_200600_302600_NS6detail15normal_iteratorINSC_10device_ptrIKtEEEESI_EEEEESK_NSA_INS5_IJNSC_16discard_iteratorINSC_11use_defaultEEESN_EEEEEPS7_SQ_SQ_NSC_11hip_rocprim7__merge17predicate_wrapperIttNSC_4lessItEEEEEE10hipError_tPvRmT0_T1_T2_T3_T4_T5_mmT6_P12ihipStream_tbEUlT_E0_NS1_11comp_targetILNS1_3genE4ELNS1_11target_archE910ELNS1_3gpuE8ELNS1_3repE0EEENS1_30default_config_static_selectorELNS0_4arch9wavefront6targetE0EEEvS11_.num_agpr, 0
	.set _ZN7rocprim17ROCPRIM_400000_NS6detail17trampoline_kernelINS0_14default_configENS1_21merge_config_selectorINS0_5tupleIJttEEENS0_10empty_typeEEEZNS1_10merge_implIS3_NS0_12zip_iteratorINS5_IJN6thrust23THRUST_200600_302600_NS6detail15normal_iteratorINSC_10device_ptrIKtEEEESI_EEEEESK_NSA_INS5_IJNSC_16discard_iteratorINSC_11use_defaultEEESN_EEEEEPS7_SQ_SQ_NSC_11hip_rocprim7__merge17predicate_wrapperIttNSC_4lessItEEEEEE10hipError_tPvRmT0_T1_T2_T3_T4_T5_mmT6_P12ihipStream_tbEUlT_E0_NS1_11comp_targetILNS1_3genE4ELNS1_11target_archE910ELNS1_3gpuE8ELNS1_3repE0EEENS1_30default_config_static_selectorELNS0_4arch9wavefront6targetE0EEEvS11_.numbered_sgpr, 0
	.set _ZN7rocprim17ROCPRIM_400000_NS6detail17trampoline_kernelINS0_14default_configENS1_21merge_config_selectorINS0_5tupleIJttEEENS0_10empty_typeEEEZNS1_10merge_implIS3_NS0_12zip_iteratorINS5_IJN6thrust23THRUST_200600_302600_NS6detail15normal_iteratorINSC_10device_ptrIKtEEEESI_EEEEESK_NSA_INS5_IJNSC_16discard_iteratorINSC_11use_defaultEEESN_EEEEEPS7_SQ_SQ_NSC_11hip_rocprim7__merge17predicate_wrapperIttNSC_4lessItEEEEEE10hipError_tPvRmT0_T1_T2_T3_T4_T5_mmT6_P12ihipStream_tbEUlT_E0_NS1_11comp_targetILNS1_3genE4ELNS1_11target_archE910ELNS1_3gpuE8ELNS1_3repE0EEENS1_30default_config_static_selectorELNS0_4arch9wavefront6targetE0EEEvS11_.num_named_barrier, 0
	.set _ZN7rocprim17ROCPRIM_400000_NS6detail17trampoline_kernelINS0_14default_configENS1_21merge_config_selectorINS0_5tupleIJttEEENS0_10empty_typeEEEZNS1_10merge_implIS3_NS0_12zip_iteratorINS5_IJN6thrust23THRUST_200600_302600_NS6detail15normal_iteratorINSC_10device_ptrIKtEEEESI_EEEEESK_NSA_INS5_IJNSC_16discard_iteratorINSC_11use_defaultEEESN_EEEEEPS7_SQ_SQ_NSC_11hip_rocprim7__merge17predicate_wrapperIttNSC_4lessItEEEEEE10hipError_tPvRmT0_T1_T2_T3_T4_T5_mmT6_P12ihipStream_tbEUlT_E0_NS1_11comp_targetILNS1_3genE4ELNS1_11target_archE910ELNS1_3gpuE8ELNS1_3repE0EEENS1_30default_config_static_selectorELNS0_4arch9wavefront6targetE0EEEvS11_.private_seg_size, 0
	.set _ZN7rocprim17ROCPRIM_400000_NS6detail17trampoline_kernelINS0_14default_configENS1_21merge_config_selectorINS0_5tupleIJttEEENS0_10empty_typeEEEZNS1_10merge_implIS3_NS0_12zip_iteratorINS5_IJN6thrust23THRUST_200600_302600_NS6detail15normal_iteratorINSC_10device_ptrIKtEEEESI_EEEEESK_NSA_INS5_IJNSC_16discard_iteratorINSC_11use_defaultEEESN_EEEEEPS7_SQ_SQ_NSC_11hip_rocprim7__merge17predicate_wrapperIttNSC_4lessItEEEEEE10hipError_tPvRmT0_T1_T2_T3_T4_T5_mmT6_P12ihipStream_tbEUlT_E0_NS1_11comp_targetILNS1_3genE4ELNS1_11target_archE910ELNS1_3gpuE8ELNS1_3repE0EEENS1_30default_config_static_selectorELNS0_4arch9wavefront6targetE0EEEvS11_.uses_vcc, 0
	.set _ZN7rocprim17ROCPRIM_400000_NS6detail17trampoline_kernelINS0_14default_configENS1_21merge_config_selectorINS0_5tupleIJttEEENS0_10empty_typeEEEZNS1_10merge_implIS3_NS0_12zip_iteratorINS5_IJN6thrust23THRUST_200600_302600_NS6detail15normal_iteratorINSC_10device_ptrIKtEEEESI_EEEEESK_NSA_INS5_IJNSC_16discard_iteratorINSC_11use_defaultEEESN_EEEEEPS7_SQ_SQ_NSC_11hip_rocprim7__merge17predicate_wrapperIttNSC_4lessItEEEEEE10hipError_tPvRmT0_T1_T2_T3_T4_T5_mmT6_P12ihipStream_tbEUlT_E0_NS1_11comp_targetILNS1_3genE4ELNS1_11target_archE910ELNS1_3gpuE8ELNS1_3repE0EEENS1_30default_config_static_selectorELNS0_4arch9wavefront6targetE0EEEvS11_.uses_flat_scratch, 0
	.set _ZN7rocprim17ROCPRIM_400000_NS6detail17trampoline_kernelINS0_14default_configENS1_21merge_config_selectorINS0_5tupleIJttEEENS0_10empty_typeEEEZNS1_10merge_implIS3_NS0_12zip_iteratorINS5_IJN6thrust23THRUST_200600_302600_NS6detail15normal_iteratorINSC_10device_ptrIKtEEEESI_EEEEESK_NSA_INS5_IJNSC_16discard_iteratorINSC_11use_defaultEEESN_EEEEEPS7_SQ_SQ_NSC_11hip_rocprim7__merge17predicate_wrapperIttNSC_4lessItEEEEEE10hipError_tPvRmT0_T1_T2_T3_T4_T5_mmT6_P12ihipStream_tbEUlT_E0_NS1_11comp_targetILNS1_3genE4ELNS1_11target_archE910ELNS1_3gpuE8ELNS1_3repE0EEENS1_30default_config_static_selectorELNS0_4arch9wavefront6targetE0EEEvS11_.has_dyn_sized_stack, 0
	.set _ZN7rocprim17ROCPRIM_400000_NS6detail17trampoline_kernelINS0_14default_configENS1_21merge_config_selectorINS0_5tupleIJttEEENS0_10empty_typeEEEZNS1_10merge_implIS3_NS0_12zip_iteratorINS5_IJN6thrust23THRUST_200600_302600_NS6detail15normal_iteratorINSC_10device_ptrIKtEEEESI_EEEEESK_NSA_INS5_IJNSC_16discard_iteratorINSC_11use_defaultEEESN_EEEEEPS7_SQ_SQ_NSC_11hip_rocprim7__merge17predicate_wrapperIttNSC_4lessItEEEEEE10hipError_tPvRmT0_T1_T2_T3_T4_T5_mmT6_P12ihipStream_tbEUlT_E0_NS1_11comp_targetILNS1_3genE4ELNS1_11target_archE910ELNS1_3gpuE8ELNS1_3repE0EEENS1_30default_config_static_selectorELNS0_4arch9wavefront6targetE0EEEvS11_.has_recursion, 0
	.set _ZN7rocprim17ROCPRIM_400000_NS6detail17trampoline_kernelINS0_14default_configENS1_21merge_config_selectorINS0_5tupleIJttEEENS0_10empty_typeEEEZNS1_10merge_implIS3_NS0_12zip_iteratorINS5_IJN6thrust23THRUST_200600_302600_NS6detail15normal_iteratorINSC_10device_ptrIKtEEEESI_EEEEESK_NSA_INS5_IJNSC_16discard_iteratorINSC_11use_defaultEEESN_EEEEEPS7_SQ_SQ_NSC_11hip_rocprim7__merge17predicate_wrapperIttNSC_4lessItEEEEEE10hipError_tPvRmT0_T1_T2_T3_T4_T5_mmT6_P12ihipStream_tbEUlT_E0_NS1_11comp_targetILNS1_3genE4ELNS1_11target_archE910ELNS1_3gpuE8ELNS1_3repE0EEENS1_30default_config_static_selectorELNS0_4arch9wavefront6targetE0EEEvS11_.has_indirect_call, 0
	.section	.AMDGPU.csdata,"",@progbits
; Kernel info:
; codeLenInByte = 0
; TotalNumSgprs: 0
; NumVgprs: 0
; ScratchSize: 0
; MemoryBound: 0
; FloatMode: 240
; IeeeMode: 1
; LDSByteSize: 0 bytes/workgroup (compile time only)
; SGPRBlocks: 0
; VGPRBlocks: 0
; NumSGPRsForWavesPerEU: 1
; NumVGPRsForWavesPerEU: 1
; NamedBarCnt: 0
; Occupancy: 16
; WaveLimiterHint : 0
; COMPUTE_PGM_RSRC2:SCRATCH_EN: 0
; COMPUTE_PGM_RSRC2:USER_SGPR: 2
; COMPUTE_PGM_RSRC2:TRAP_HANDLER: 0
; COMPUTE_PGM_RSRC2:TGID_X_EN: 1
; COMPUTE_PGM_RSRC2:TGID_Y_EN: 0
; COMPUTE_PGM_RSRC2:TGID_Z_EN: 0
; COMPUTE_PGM_RSRC2:TIDIG_COMP_CNT: 0
	.section	.text._ZN7rocprim17ROCPRIM_400000_NS6detail17trampoline_kernelINS0_14default_configENS1_21merge_config_selectorINS0_5tupleIJttEEENS0_10empty_typeEEEZNS1_10merge_implIS3_NS0_12zip_iteratorINS5_IJN6thrust23THRUST_200600_302600_NS6detail15normal_iteratorINSC_10device_ptrIKtEEEESI_EEEEESK_NSA_INS5_IJNSC_16discard_iteratorINSC_11use_defaultEEESN_EEEEEPS7_SQ_SQ_NSC_11hip_rocprim7__merge17predicate_wrapperIttNSC_4lessItEEEEEE10hipError_tPvRmT0_T1_T2_T3_T4_T5_mmT6_P12ihipStream_tbEUlT_E0_NS1_11comp_targetILNS1_3genE3ELNS1_11target_archE908ELNS1_3gpuE7ELNS1_3repE0EEENS1_30default_config_static_selectorELNS0_4arch9wavefront6targetE0EEEvS11_,"axG",@progbits,_ZN7rocprim17ROCPRIM_400000_NS6detail17trampoline_kernelINS0_14default_configENS1_21merge_config_selectorINS0_5tupleIJttEEENS0_10empty_typeEEEZNS1_10merge_implIS3_NS0_12zip_iteratorINS5_IJN6thrust23THRUST_200600_302600_NS6detail15normal_iteratorINSC_10device_ptrIKtEEEESI_EEEEESK_NSA_INS5_IJNSC_16discard_iteratorINSC_11use_defaultEEESN_EEEEEPS7_SQ_SQ_NSC_11hip_rocprim7__merge17predicate_wrapperIttNSC_4lessItEEEEEE10hipError_tPvRmT0_T1_T2_T3_T4_T5_mmT6_P12ihipStream_tbEUlT_E0_NS1_11comp_targetILNS1_3genE3ELNS1_11target_archE908ELNS1_3gpuE7ELNS1_3repE0EEENS1_30default_config_static_selectorELNS0_4arch9wavefront6targetE0EEEvS11_,comdat
	.protected	_ZN7rocprim17ROCPRIM_400000_NS6detail17trampoline_kernelINS0_14default_configENS1_21merge_config_selectorINS0_5tupleIJttEEENS0_10empty_typeEEEZNS1_10merge_implIS3_NS0_12zip_iteratorINS5_IJN6thrust23THRUST_200600_302600_NS6detail15normal_iteratorINSC_10device_ptrIKtEEEESI_EEEEESK_NSA_INS5_IJNSC_16discard_iteratorINSC_11use_defaultEEESN_EEEEEPS7_SQ_SQ_NSC_11hip_rocprim7__merge17predicate_wrapperIttNSC_4lessItEEEEEE10hipError_tPvRmT0_T1_T2_T3_T4_T5_mmT6_P12ihipStream_tbEUlT_E0_NS1_11comp_targetILNS1_3genE3ELNS1_11target_archE908ELNS1_3gpuE7ELNS1_3repE0EEENS1_30default_config_static_selectorELNS0_4arch9wavefront6targetE0EEEvS11_ ; -- Begin function _ZN7rocprim17ROCPRIM_400000_NS6detail17trampoline_kernelINS0_14default_configENS1_21merge_config_selectorINS0_5tupleIJttEEENS0_10empty_typeEEEZNS1_10merge_implIS3_NS0_12zip_iteratorINS5_IJN6thrust23THRUST_200600_302600_NS6detail15normal_iteratorINSC_10device_ptrIKtEEEESI_EEEEESK_NSA_INS5_IJNSC_16discard_iteratorINSC_11use_defaultEEESN_EEEEEPS7_SQ_SQ_NSC_11hip_rocprim7__merge17predicate_wrapperIttNSC_4lessItEEEEEE10hipError_tPvRmT0_T1_T2_T3_T4_T5_mmT6_P12ihipStream_tbEUlT_E0_NS1_11comp_targetILNS1_3genE3ELNS1_11target_archE908ELNS1_3gpuE7ELNS1_3repE0EEENS1_30default_config_static_selectorELNS0_4arch9wavefront6targetE0EEEvS11_
	.globl	_ZN7rocprim17ROCPRIM_400000_NS6detail17trampoline_kernelINS0_14default_configENS1_21merge_config_selectorINS0_5tupleIJttEEENS0_10empty_typeEEEZNS1_10merge_implIS3_NS0_12zip_iteratorINS5_IJN6thrust23THRUST_200600_302600_NS6detail15normal_iteratorINSC_10device_ptrIKtEEEESI_EEEEESK_NSA_INS5_IJNSC_16discard_iteratorINSC_11use_defaultEEESN_EEEEEPS7_SQ_SQ_NSC_11hip_rocprim7__merge17predicate_wrapperIttNSC_4lessItEEEEEE10hipError_tPvRmT0_T1_T2_T3_T4_T5_mmT6_P12ihipStream_tbEUlT_E0_NS1_11comp_targetILNS1_3genE3ELNS1_11target_archE908ELNS1_3gpuE7ELNS1_3repE0EEENS1_30default_config_static_selectorELNS0_4arch9wavefront6targetE0EEEvS11_
	.p2align	8
	.type	_ZN7rocprim17ROCPRIM_400000_NS6detail17trampoline_kernelINS0_14default_configENS1_21merge_config_selectorINS0_5tupleIJttEEENS0_10empty_typeEEEZNS1_10merge_implIS3_NS0_12zip_iteratorINS5_IJN6thrust23THRUST_200600_302600_NS6detail15normal_iteratorINSC_10device_ptrIKtEEEESI_EEEEESK_NSA_INS5_IJNSC_16discard_iteratorINSC_11use_defaultEEESN_EEEEEPS7_SQ_SQ_NSC_11hip_rocprim7__merge17predicate_wrapperIttNSC_4lessItEEEEEE10hipError_tPvRmT0_T1_T2_T3_T4_T5_mmT6_P12ihipStream_tbEUlT_E0_NS1_11comp_targetILNS1_3genE3ELNS1_11target_archE908ELNS1_3gpuE7ELNS1_3repE0EEENS1_30default_config_static_selectorELNS0_4arch9wavefront6targetE0EEEvS11_,@function
_ZN7rocprim17ROCPRIM_400000_NS6detail17trampoline_kernelINS0_14default_configENS1_21merge_config_selectorINS0_5tupleIJttEEENS0_10empty_typeEEEZNS1_10merge_implIS3_NS0_12zip_iteratorINS5_IJN6thrust23THRUST_200600_302600_NS6detail15normal_iteratorINSC_10device_ptrIKtEEEESI_EEEEESK_NSA_INS5_IJNSC_16discard_iteratorINSC_11use_defaultEEESN_EEEEEPS7_SQ_SQ_NSC_11hip_rocprim7__merge17predicate_wrapperIttNSC_4lessItEEEEEE10hipError_tPvRmT0_T1_T2_T3_T4_T5_mmT6_P12ihipStream_tbEUlT_E0_NS1_11comp_targetILNS1_3genE3ELNS1_11target_archE908ELNS1_3gpuE7ELNS1_3repE0EEENS1_30default_config_static_selectorELNS0_4arch9wavefront6targetE0EEEvS11_: ; @_ZN7rocprim17ROCPRIM_400000_NS6detail17trampoline_kernelINS0_14default_configENS1_21merge_config_selectorINS0_5tupleIJttEEENS0_10empty_typeEEEZNS1_10merge_implIS3_NS0_12zip_iteratorINS5_IJN6thrust23THRUST_200600_302600_NS6detail15normal_iteratorINSC_10device_ptrIKtEEEESI_EEEEESK_NSA_INS5_IJNSC_16discard_iteratorINSC_11use_defaultEEESN_EEEEEPS7_SQ_SQ_NSC_11hip_rocprim7__merge17predicate_wrapperIttNSC_4lessItEEEEEE10hipError_tPvRmT0_T1_T2_T3_T4_T5_mmT6_P12ihipStream_tbEUlT_E0_NS1_11comp_targetILNS1_3genE3ELNS1_11target_archE908ELNS1_3gpuE7ELNS1_3repE0EEENS1_30default_config_static_selectorELNS0_4arch9wavefront6targetE0EEEvS11_
; %bb.0:
	.section	.rodata,"a",@progbits
	.p2align	6, 0x0
	.amdhsa_kernel _ZN7rocprim17ROCPRIM_400000_NS6detail17trampoline_kernelINS0_14default_configENS1_21merge_config_selectorINS0_5tupleIJttEEENS0_10empty_typeEEEZNS1_10merge_implIS3_NS0_12zip_iteratorINS5_IJN6thrust23THRUST_200600_302600_NS6detail15normal_iteratorINSC_10device_ptrIKtEEEESI_EEEEESK_NSA_INS5_IJNSC_16discard_iteratorINSC_11use_defaultEEESN_EEEEEPS7_SQ_SQ_NSC_11hip_rocprim7__merge17predicate_wrapperIttNSC_4lessItEEEEEE10hipError_tPvRmT0_T1_T2_T3_T4_T5_mmT6_P12ihipStream_tbEUlT_E0_NS1_11comp_targetILNS1_3genE3ELNS1_11target_archE908ELNS1_3gpuE7ELNS1_3repE0EEENS1_30default_config_static_selectorELNS0_4arch9wavefront6targetE0EEEvS11_
		.amdhsa_group_segment_fixed_size 0
		.amdhsa_private_segment_fixed_size 0
		.amdhsa_kernarg_size 128
		.amdhsa_user_sgpr_count 2
		.amdhsa_user_sgpr_dispatch_ptr 0
		.amdhsa_user_sgpr_queue_ptr 0
		.amdhsa_user_sgpr_kernarg_segment_ptr 1
		.amdhsa_user_sgpr_dispatch_id 0
		.amdhsa_user_sgpr_kernarg_preload_length 0
		.amdhsa_user_sgpr_kernarg_preload_offset 0
		.amdhsa_user_sgpr_private_segment_size 0
		.amdhsa_wavefront_size32 1
		.amdhsa_uses_dynamic_stack 0
		.amdhsa_enable_private_segment 0
		.amdhsa_system_sgpr_workgroup_id_x 1
		.amdhsa_system_sgpr_workgroup_id_y 0
		.amdhsa_system_sgpr_workgroup_id_z 0
		.amdhsa_system_sgpr_workgroup_info 0
		.amdhsa_system_vgpr_workitem_id 0
		.amdhsa_next_free_vgpr 1
		.amdhsa_next_free_sgpr 1
		.amdhsa_named_barrier_count 0
		.amdhsa_reserve_vcc 0
		.amdhsa_float_round_mode_32 0
		.amdhsa_float_round_mode_16_64 0
		.amdhsa_float_denorm_mode_32 3
		.amdhsa_float_denorm_mode_16_64 3
		.amdhsa_fp16_overflow 0
		.amdhsa_memory_ordered 1
		.amdhsa_forward_progress 1
		.amdhsa_inst_pref_size 0
		.amdhsa_round_robin_scheduling 0
		.amdhsa_exception_fp_ieee_invalid_op 0
		.amdhsa_exception_fp_denorm_src 0
		.amdhsa_exception_fp_ieee_div_zero 0
		.amdhsa_exception_fp_ieee_overflow 0
		.amdhsa_exception_fp_ieee_underflow 0
		.amdhsa_exception_fp_ieee_inexact 0
		.amdhsa_exception_int_div_zero 0
	.end_amdhsa_kernel
	.section	.text._ZN7rocprim17ROCPRIM_400000_NS6detail17trampoline_kernelINS0_14default_configENS1_21merge_config_selectorINS0_5tupleIJttEEENS0_10empty_typeEEEZNS1_10merge_implIS3_NS0_12zip_iteratorINS5_IJN6thrust23THRUST_200600_302600_NS6detail15normal_iteratorINSC_10device_ptrIKtEEEESI_EEEEESK_NSA_INS5_IJNSC_16discard_iteratorINSC_11use_defaultEEESN_EEEEEPS7_SQ_SQ_NSC_11hip_rocprim7__merge17predicate_wrapperIttNSC_4lessItEEEEEE10hipError_tPvRmT0_T1_T2_T3_T4_T5_mmT6_P12ihipStream_tbEUlT_E0_NS1_11comp_targetILNS1_3genE3ELNS1_11target_archE908ELNS1_3gpuE7ELNS1_3repE0EEENS1_30default_config_static_selectorELNS0_4arch9wavefront6targetE0EEEvS11_,"axG",@progbits,_ZN7rocprim17ROCPRIM_400000_NS6detail17trampoline_kernelINS0_14default_configENS1_21merge_config_selectorINS0_5tupleIJttEEENS0_10empty_typeEEEZNS1_10merge_implIS3_NS0_12zip_iteratorINS5_IJN6thrust23THRUST_200600_302600_NS6detail15normal_iteratorINSC_10device_ptrIKtEEEESI_EEEEESK_NSA_INS5_IJNSC_16discard_iteratorINSC_11use_defaultEEESN_EEEEEPS7_SQ_SQ_NSC_11hip_rocprim7__merge17predicate_wrapperIttNSC_4lessItEEEEEE10hipError_tPvRmT0_T1_T2_T3_T4_T5_mmT6_P12ihipStream_tbEUlT_E0_NS1_11comp_targetILNS1_3genE3ELNS1_11target_archE908ELNS1_3gpuE7ELNS1_3repE0EEENS1_30default_config_static_selectorELNS0_4arch9wavefront6targetE0EEEvS11_,comdat
.Lfunc_end563:
	.size	_ZN7rocprim17ROCPRIM_400000_NS6detail17trampoline_kernelINS0_14default_configENS1_21merge_config_selectorINS0_5tupleIJttEEENS0_10empty_typeEEEZNS1_10merge_implIS3_NS0_12zip_iteratorINS5_IJN6thrust23THRUST_200600_302600_NS6detail15normal_iteratorINSC_10device_ptrIKtEEEESI_EEEEESK_NSA_INS5_IJNSC_16discard_iteratorINSC_11use_defaultEEESN_EEEEEPS7_SQ_SQ_NSC_11hip_rocprim7__merge17predicate_wrapperIttNSC_4lessItEEEEEE10hipError_tPvRmT0_T1_T2_T3_T4_T5_mmT6_P12ihipStream_tbEUlT_E0_NS1_11comp_targetILNS1_3genE3ELNS1_11target_archE908ELNS1_3gpuE7ELNS1_3repE0EEENS1_30default_config_static_selectorELNS0_4arch9wavefront6targetE0EEEvS11_, .Lfunc_end563-_ZN7rocprim17ROCPRIM_400000_NS6detail17trampoline_kernelINS0_14default_configENS1_21merge_config_selectorINS0_5tupleIJttEEENS0_10empty_typeEEEZNS1_10merge_implIS3_NS0_12zip_iteratorINS5_IJN6thrust23THRUST_200600_302600_NS6detail15normal_iteratorINSC_10device_ptrIKtEEEESI_EEEEESK_NSA_INS5_IJNSC_16discard_iteratorINSC_11use_defaultEEESN_EEEEEPS7_SQ_SQ_NSC_11hip_rocprim7__merge17predicate_wrapperIttNSC_4lessItEEEEEE10hipError_tPvRmT0_T1_T2_T3_T4_T5_mmT6_P12ihipStream_tbEUlT_E0_NS1_11comp_targetILNS1_3genE3ELNS1_11target_archE908ELNS1_3gpuE7ELNS1_3repE0EEENS1_30default_config_static_selectorELNS0_4arch9wavefront6targetE0EEEvS11_
                                        ; -- End function
	.set _ZN7rocprim17ROCPRIM_400000_NS6detail17trampoline_kernelINS0_14default_configENS1_21merge_config_selectorINS0_5tupleIJttEEENS0_10empty_typeEEEZNS1_10merge_implIS3_NS0_12zip_iteratorINS5_IJN6thrust23THRUST_200600_302600_NS6detail15normal_iteratorINSC_10device_ptrIKtEEEESI_EEEEESK_NSA_INS5_IJNSC_16discard_iteratorINSC_11use_defaultEEESN_EEEEEPS7_SQ_SQ_NSC_11hip_rocprim7__merge17predicate_wrapperIttNSC_4lessItEEEEEE10hipError_tPvRmT0_T1_T2_T3_T4_T5_mmT6_P12ihipStream_tbEUlT_E0_NS1_11comp_targetILNS1_3genE3ELNS1_11target_archE908ELNS1_3gpuE7ELNS1_3repE0EEENS1_30default_config_static_selectorELNS0_4arch9wavefront6targetE0EEEvS11_.num_vgpr, 0
	.set _ZN7rocprim17ROCPRIM_400000_NS6detail17trampoline_kernelINS0_14default_configENS1_21merge_config_selectorINS0_5tupleIJttEEENS0_10empty_typeEEEZNS1_10merge_implIS3_NS0_12zip_iteratorINS5_IJN6thrust23THRUST_200600_302600_NS6detail15normal_iteratorINSC_10device_ptrIKtEEEESI_EEEEESK_NSA_INS5_IJNSC_16discard_iteratorINSC_11use_defaultEEESN_EEEEEPS7_SQ_SQ_NSC_11hip_rocprim7__merge17predicate_wrapperIttNSC_4lessItEEEEEE10hipError_tPvRmT0_T1_T2_T3_T4_T5_mmT6_P12ihipStream_tbEUlT_E0_NS1_11comp_targetILNS1_3genE3ELNS1_11target_archE908ELNS1_3gpuE7ELNS1_3repE0EEENS1_30default_config_static_selectorELNS0_4arch9wavefront6targetE0EEEvS11_.num_agpr, 0
	.set _ZN7rocprim17ROCPRIM_400000_NS6detail17trampoline_kernelINS0_14default_configENS1_21merge_config_selectorINS0_5tupleIJttEEENS0_10empty_typeEEEZNS1_10merge_implIS3_NS0_12zip_iteratorINS5_IJN6thrust23THRUST_200600_302600_NS6detail15normal_iteratorINSC_10device_ptrIKtEEEESI_EEEEESK_NSA_INS5_IJNSC_16discard_iteratorINSC_11use_defaultEEESN_EEEEEPS7_SQ_SQ_NSC_11hip_rocprim7__merge17predicate_wrapperIttNSC_4lessItEEEEEE10hipError_tPvRmT0_T1_T2_T3_T4_T5_mmT6_P12ihipStream_tbEUlT_E0_NS1_11comp_targetILNS1_3genE3ELNS1_11target_archE908ELNS1_3gpuE7ELNS1_3repE0EEENS1_30default_config_static_selectorELNS0_4arch9wavefront6targetE0EEEvS11_.numbered_sgpr, 0
	.set _ZN7rocprim17ROCPRIM_400000_NS6detail17trampoline_kernelINS0_14default_configENS1_21merge_config_selectorINS0_5tupleIJttEEENS0_10empty_typeEEEZNS1_10merge_implIS3_NS0_12zip_iteratorINS5_IJN6thrust23THRUST_200600_302600_NS6detail15normal_iteratorINSC_10device_ptrIKtEEEESI_EEEEESK_NSA_INS5_IJNSC_16discard_iteratorINSC_11use_defaultEEESN_EEEEEPS7_SQ_SQ_NSC_11hip_rocprim7__merge17predicate_wrapperIttNSC_4lessItEEEEEE10hipError_tPvRmT0_T1_T2_T3_T4_T5_mmT6_P12ihipStream_tbEUlT_E0_NS1_11comp_targetILNS1_3genE3ELNS1_11target_archE908ELNS1_3gpuE7ELNS1_3repE0EEENS1_30default_config_static_selectorELNS0_4arch9wavefront6targetE0EEEvS11_.num_named_barrier, 0
	.set _ZN7rocprim17ROCPRIM_400000_NS6detail17trampoline_kernelINS0_14default_configENS1_21merge_config_selectorINS0_5tupleIJttEEENS0_10empty_typeEEEZNS1_10merge_implIS3_NS0_12zip_iteratorINS5_IJN6thrust23THRUST_200600_302600_NS6detail15normal_iteratorINSC_10device_ptrIKtEEEESI_EEEEESK_NSA_INS5_IJNSC_16discard_iteratorINSC_11use_defaultEEESN_EEEEEPS7_SQ_SQ_NSC_11hip_rocprim7__merge17predicate_wrapperIttNSC_4lessItEEEEEE10hipError_tPvRmT0_T1_T2_T3_T4_T5_mmT6_P12ihipStream_tbEUlT_E0_NS1_11comp_targetILNS1_3genE3ELNS1_11target_archE908ELNS1_3gpuE7ELNS1_3repE0EEENS1_30default_config_static_selectorELNS0_4arch9wavefront6targetE0EEEvS11_.private_seg_size, 0
	.set _ZN7rocprim17ROCPRIM_400000_NS6detail17trampoline_kernelINS0_14default_configENS1_21merge_config_selectorINS0_5tupleIJttEEENS0_10empty_typeEEEZNS1_10merge_implIS3_NS0_12zip_iteratorINS5_IJN6thrust23THRUST_200600_302600_NS6detail15normal_iteratorINSC_10device_ptrIKtEEEESI_EEEEESK_NSA_INS5_IJNSC_16discard_iteratorINSC_11use_defaultEEESN_EEEEEPS7_SQ_SQ_NSC_11hip_rocprim7__merge17predicate_wrapperIttNSC_4lessItEEEEEE10hipError_tPvRmT0_T1_T2_T3_T4_T5_mmT6_P12ihipStream_tbEUlT_E0_NS1_11comp_targetILNS1_3genE3ELNS1_11target_archE908ELNS1_3gpuE7ELNS1_3repE0EEENS1_30default_config_static_selectorELNS0_4arch9wavefront6targetE0EEEvS11_.uses_vcc, 0
	.set _ZN7rocprim17ROCPRIM_400000_NS6detail17trampoline_kernelINS0_14default_configENS1_21merge_config_selectorINS0_5tupleIJttEEENS0_10empty_typeEEEZNS1_10merge_implIS3_NS0_12zip_iteratorINS5_IJN6thrust23THRUST_200600_302600_NS6detail15normal_iteratorINSC_10device_ptrIKtEEEESI_EEEEESK_NSA_INS5_IJNSC_16discard_iteratorINSC_11use_defaultEEESN_EEEEEPS7_SQ_SQ_NSC_11hip_rocprim7__merge17predicate_wrapperIttNSC_4lessItEEEEEE10hipError_tPvRmT0_T1_T2_T3_T4_T5_mmT6_P12ihipStream_tbEUlT_E0_NS1_11comp_targetILNS1_3genE3ELNS1_11target_archE908ELNS1_3gpuE7ELNS1_3repE0EEENS1_30default_config_static_selectorELNS0_4arch9wavefront6targetE0EEEvS11_.uses_flat_scratch, 0
	.set _ZN7rocprim17ROCPRIM_400000_NS6detail17trampoline_kernelINS0_14default_configENS1_21merge_config_selectorINS0_5tupleIJttEEENS0_10empty_typeEEEZNS1_10merge_implIS3_NS0_12zip_iteratorINS5_IJN6thrust23THRUST_200600_302600_NS6detail15normal_iteratorINSC_10device_ptrIKtEEEESI_EEEEESK_NSA_INS5_IJNSC_16discard_iteratorINSC_11use_defaultEEESN_EEEEEPS7_SQ_SQ_NSC_11hip_rocprim7__merge17predicate_wrapperIttNSC_4lessItEEEEEE10hipError_tPvRmT0_T1_T2_T3_T4_T5_mmT6_P12ihipStream_tbEUlT_E0_NS1_11comp_targetILNS1_3genE3ELNS1_11target_archE908ELNS1_3gpuE7ELNS1_3repE0EEENS1_30default_config_static_selectorELNS0_4arch9wavefront6targetE0EEEvS11_.has_dyn_sized_stack, 0
	.set _ZN7rocprim17ROCPRIM_400000_NS6detail17trampoline_kernelINS0_14default_configENS1_21merge_config_selectorINS0_5tupleIJttEEENS0_10empty_typeEEEZNS1_10merge_implIS3_NS0_12zip_iteratorINS5_IJN6thrust23THRUST_200600_302600_NS6detail15normal_iteratorINSC_10device_ptrIKtEEEESI_EEEEESK_NSA_INS5_IJNSC_16discard_iteratorINSC_11use_defaultEEESN_EEEEEPS7_SQ_SQ_NSC_11hip_rocprim7__merge17predicate_wrapperIttNSC_4lessItEEEEEE10hipError_tPvRmT0_T1_T2_T3_T4_T5_mmT6_P12ihipStream_tbEUlT_E0_NS1_11comp_targetILNS1_3genE3ELNS1_11target_archE908ELNS1_3gpuE7ELNS1_3repE0EEENS1_30default_config_static_selectorELNS0_4arch9wavefront6targetE0EEEvS11_.has_recursion, 0
	.set _ZN7rocprim17ROCPRIM_400000_NS6detail17trampoline_kernelINS0_14default_configENS1_21merge_config_selectorINS0_5tupleIJttEEENS0_10empty_typeEEEZNS1_10merge_implIS3_NS0_12zip_iteratorINS5_IJN6thrust23THRUST_200600_302600_NS6detail15normal_iteratorINSC_10device_ptrIKtEEEESI_EEEEESK_NSA_INS5_IJNSC_16discard_iteratorINSC_11use_defaultEEESN_EEEEEPS7_SQ_SQ_NSC_11hip_rocprim7__merge17predicate_wrapperIttNSC_4lessItEEEEEE10hipError_tPvRmT0_T1_T2_T3_T4_T5_mmT6_P12ihipStream_tbEUlT_E0_NS1_11comp_targetILNS1_3genE3ELNS1_11target_archE908ELNS1_3gpuE7ELNS1_3repE0EEENS1_30default_config_static_selectorELNS0_4arch9wavefront6targetE0EEEvS11_.has_indirect_call, 0
	.section	.AMDGPU.csdata,"",@progbits
; Kernel info:
; codeLenInByte = 0
; TotalNumSgprs: 0
; NumVgprs: 0
; ScratchSize: 0
; MemoryBound: 0
; FloatMode: 240
; IeeeMode: 1
; LDSByteSize: 0 bytes/workgroup (compile time only)
; SGPRBlocks: 0
; VGPRBlocks: 0
; NumSGPRsForWavesPerEU: 1
; NumVGPRsForWavesPerEU: 1
; NamedBarCnt: 0
; Occupancy: 16
; WaveLimiterHint : 0
; COMPUTE_PGM_RSRC2:SCRATCH_EN: 0
; COMPUTE_PGM_RSRC2:USER_SGPR: 2
; COMPUTE_PGM_RSRC2:TRAP_HANDLER: 0
; COMPUTE_PGM_RSRC2:TGID_X_EN: 1
; COMPUTE_PGM_RSRC2:TGID_Y_EN: 0
; COMPUTE_PGM_RSRC2:TGID_Z_EN: 0
; COMPUTE_PGM_RSRC2:TIDIG_COMP_CNT: 0
	.section	.text._ZN7rocprim17ROCPRIM_400000_NS6detail17trampoline_kernelINS0_14default_configENS1_21merge_config_selectorINS0_5tupleIJttEEENS0_10empty_typeEEEZNS1_10merge_implIS3_NS0_12zip_iteratorINS5_IJN6thrust23THRUST_200600_302600_NS6detail15normal_iteratorINSC_10device_ptrIKtEEEESI_EEEEESK_NSA_INS5_IJNSC_16discard_iteratorINSC_11use_defaultEEESN_EEEEEPS7_SQ_SQ_NSC_11hip_rocprim7__merge17predicate_wrapperIttNSC_4lessItEEEEEE10hipError_tPvRmT0_T1_T2_T3_T4_T5_mmT6_P12ihipStream_tbEUlT_E0_NS1_11comp_targetILNS1_3genE2ELNS1_11target_archE906ELNS1_3gpuE6ELNS1_3repE0EEENS1_30default_config_static_selectorELNS0_4arch9wavefront6targetE0EEEvS11_,"axG",@progbits,_ZN7rocprim17ROCPRIM_400000_NS6detail17trampoline_kernelINS0_14default_configENS1_21merge_config_selectorINS0_5tupleIJttEEENS0_10empty_typeEEEZNS1_10merge_implIS3_NS0_12zip_iteratorINS5_IJN6thrust23THRUST_200600_302600_NS6detail15normal_iteratorINSC_10device_ptrIKtEEEESI_EEEEESK_NSA_INS5_IJNSC_16discard_iteratorINSC_11use_defaultEEESN_EEEEEPS7_SQ_SQ_NSC_11hip_rocprim7__merge17predicate_wrapperIttNSC_4lessItEEEEEE10hipError_tPvRmT0_T1_T2_T3_T4_T5_mmT6_P12ihipStream_tbEUlT_E0_NS1_11comp_targetILNS1_3genE2ELNS1_11target_archE906ELNS1_3gpuE6ELNS1_3repE0EEENS1_30default_config_static_selectorELNS0_4arch9wavefront6targetE0EEEvS11_,comdat
	.protected	_ZN7rocprim17ROCPRIM_400000_NS6detail17trampoline_kernelINS0_14default_configENS1_21merge_config_selectorINS0_5tupleIJttEEENS0_10empty_typeEEEZNS1_10merge_implIS3_NS0_12zip_iteratorINS5_IJN6thrust23THRUST_200600_302600_NS6detail15normal_iteratorINSC_10device_ptrIKtEEEESI_EEEEESK_NSA_INS5_IJNSC_16discard_iteratorINSC_11use_defaultEEESN_EEEEEPS7_SQ_SQ_NSC_11hip_rocprim7__merge17predicate_wrapperIttNSC_4lessItEEEEEE10hipError_tPvRmT0_T1_T2_T3_T4_T5_mmT6_P12ihipStream_tbEUlT_E0_NS1_11comp_targetILNS1_3genE2ELNS1_11target_archE906ELNS1_3gpuE6ELNS1_3repE0EEENS1_30default_config_static_selectorELNS0_4arch9wavefront6targetE0EEEvS11_ ; -- Begin function _ZN7rocprim17ROCPRIM_400000_NS6detail17trampoline_kernelINS0_14default_configENS1_21merge_config_selectorINS0_5tupleIJttEEENS0_10empty_typeEEEZNS1_10merge_implIS3_NS0_12zip_iteratorINS5_IJN6thrust23THRUST_200600_302600_NS6detail15normal_iteratorINSC_10device_ptrIKtEEEESI_EEEEESK_NSA_INS5_IJNSC_16discard_iteratorINSC_11use_defaultEEESN_EEEEEPS7_SQ_SQ_NSC_11hip_rocprim7__merge17predicate_wrapperIttNSC_4lessItEEEEEE10hipError_tPvRmT0_T1_T2_T3_T4_T5_mmT6_P12ihipStream_tbEUlT_E0_NS1_11comp_targetILNS1_3genE2ELNS1_11target_archE906ELNS1_3gpuE6ELNS1_3repE0EEENS1_30default_config_static_selectorELNS0_4arch9wavefront6targetE0EEEvS11_
	.globl	_ZN7rocprim17ROCPRIM_400000_NS6detail17trampoline_kernelINS0_14default_configENS1_21merge_config_selectorINS0_5tupleIJttEEENS0_10empty_typeEEEZNS1_10merge_implIS3_NS0_12zip_iteratorINS5_IJN6thrust23THRUST_200600_302600_NS6detail15normal_iteratorINSC_10device_ptrIKtEEEESI_EEEEESK_NSA_INS5_IJNSC_16discard_iteratorINSC_11use_defaultEEESN_EEEEEPS7_SQ_SQ_NSC_11hip_rocprim7__merge17predicate_wrapperIttNSC_4lessItEEEEEE10hipError_tPvRmT0_T1_T2_T3_T4_T5_mmT6_P12ihipStream_tbEUlT_E0_NS1_11comp_targetILNS1_3genE2ELNS1_11target_archE906ELNS1_3gpuE6ELNS1_3repE0EEENS1_30default_config_static_selectorELNS0_4arch9wavefront6targetE0EEEvS11_
	.p2align	8
	.type	_ZN7rocprim17ROCPRIM_400000_NS6detail17trampoline_kernelINS0_14default_configENS1_21merge_config_selectorINS0_5tupleIJttEEENS0_10empty_typeEEEZNS1_10merge_implIS3_NS0_12zip_iteratorINS5_IJN6thrust23THRUST_200600_302600_NS6detail15normal_iteratorINSC_10device_ptrIKtEEEESI_EEEEESK_NSA_INS5_IJNSC_16discard_iteratorINSC_11use_defaultEEESN_EEEEEPS7_SQ_SQ_NSC_11hip_rocprim7__merge17predicate_wrapperIttNSC_4lessItEEEEEE10hipError_tPvRmT0_T1_T2_T3_T4_T5_mmT6_P12ihipStream_tbEUlT_E0_NS1_11comp_targetILNS1_3genE2ELNS1_11target_archE906ELNS1_3gpuE6ELNS1_3repE0EEENS1_30default_config_static_selectorELNS0_4arch9wavefront6targetE0EEEvS11_,@function
_ZN7rocprim17ROCPRIM_400000_NS6detail17trampoline_kernelINS0_14default_configENS1_21merge_config_selectorINS0_5tupleIJttEEENS0_10empty_typeEEEZNS1_10merge_implIS3_NS0_12zip_iteratorINS5_IJN6thrust23THRUST_200600_302600_NS6detail15normal_iteratorINSC_10device_ptrIKtEEEESI_EEEEESK_NSA_INS5_IJNSC_16discard_iteratorINSC_11use_defaultEEESN_EEEEEPS7_SQ_SQ_NSC_11hip_rocprim7__merge17predicate_wrapperIttNSC_4lessItEEEEEE10hipError_tPvRmT0_T1_T2_T3_T4_T5_mmT6_P12ihipStream_tbEUlT_E0_NS1_11comp_targetILNS1_3genE2ELNS1_11target_archE906ELNS1_3gpuE6ELNS1_3repE0EEENS1_30default_config_static_selectorELNS0_4arch9wavefront6targetE0EEEvS11_: ; @_ZN7rocprim17ROCPRIM_400000_NS6detail17trampoline_kernelINS0_14default_configENS1_21merge_config_selectorINS0_5tupleIJttEEENS0_10empty_typeEEEZNS1_10merge_implIS3_NS0_12zip_iteratorINS5_IJN6thrust23THRUST_200600_302600_NS6detail15normal_iteratorINSC_10device_ptrIKtEEEESI_EEEEESK_NSA_INS5_IJNSC_16discard_iteratorINSC_11use_defaultEEESN_EEEEEPS7_SQ_SQ_NSC_11hip_rocprim7__merge17predicate_wrapperIttNSC_4lessItEEEEEE10hipError_tPvRmT0_T1_T2_T3_T4_T5_mmT6_P12ihipStream_tbEUlT_E0_NS1_11comp_targetILNS1_3genE2ELNS1_11target_archE906ELNS1_3gpuE6ELNS1_3repE0EEENS1_30default_config_static_selectorELNS0_4arch9wavefront6targetE0EEEvS11_
; %bb.0:
	.section	.rodata,"a",@progbits
	.p2align	6, 0x0
	.amdhsa_kernel _ZN7rocprim17ROCPRIM_400000_NS6detail17trampoline_kernelINS0_14default_configENS1_21merge_config_selectorINS0_5tupleIJttEEENS0_10empty_typeEEEZNS1_10merge_implIS3_NS0_12zip_iteratorINS5_IJN6thrust23THRUST_200600_302600_NS6detail15normal_iteratorINSC_10device_ptrIKtEEEESI_EEEEESK_NSA_INS5_IJNSC_16discard_iteratorINSC_11use_defaultEEESN_EEEEEPS7_SQ_SQ_NSC_11hip_rocprim7__merge17predicate_wrapperIttNSC_4lessItEEEEEE10hipError_tPvRmT0_T1_T2_T3_T4_T5_mmT6_P12ihipStream_tbEUlT_E0_NS1_11comp_targetILNS1_3genE2ELNS1_11target_archE906ELNS1_3gpuE6ELNS1_3repE0EEENS1_30default_config_static_selectorELNS0_4arch9wavefront6targetE0EEEvS11_
		.amdhsa_group_segment_fixed_size 0
		.amdhsa_private_segment_fixed_size 0
		.amdhsa_kernarg_size 128
		.amdhsa_user_sgpr_count 2
		.amdhsa_user_sgpr_dispatch_ptr 0
		.amdhsa_user_sgpr_queue_ptr 0
		.amdhsa_user_sgpr_kernarg_segment_ptr 1
		.amdhsa_user_sgpr_dispatch_id 0
		.amdhsa_user_sgpr_kernarg_preload_length 0
		.amdhsa_user_sgpr_kernarg_preload_offset 0
		.amdhsa_user_sgpr_private_segment_size 0
		.amdhsa_wavefront_size32 1
		.amdhsa_uses_dynamic_stack 0
		.amdhsa_enable_private_segment 0
		.amdhsa_system_sgpr_workgroup_id_x 1
		.amdhsa_system_sgpr_workgroup_id_y 0
		.amdhsa_system_sgpr_workgroup_id_z 0
		.amdhsa_system_sgpr_workgroup_info 0
		.amdhsa_system_vgpr_workitem_id 0
		.amdhsa_next_free_vgpr 1
		.amdhsa_next_free_sgpr 1
		.amdhsa_named_barrier_count 0
		.amdhsa_reserve_vcc 0
		.amdhsa_float_round_mode_32 0
		.amdhsa_float_round_mode_16_64 0
		.amdhsa_float_denorm_mode_32 3
		.amdhsa_float_denorm_mode_16_64 3
		.amdhsa_fp16_overflow 0
		.amdhsa_memory_ordered 1
		.amdhsa_forward_progress 1
		.amdhsa_inst_pref_size 0
		.amdhsa_round_robin_scheduling 0
		.amdhsa_exception_fp_ieee_invalid_op 0
		.amdhsa_exception_fp_denorm_src 0
		.amdhsa_exception_fp_ieee_div_zero 0
		.amdhsa_exception_fp_ieee_overflow 0
		.amdhsa_exception_fp_ieee_underflow 0
		.amdhsa_exception_fp_ieee_inexact 0
		.amdhsa_exception_int_div_zero 0
	.end_amdhsa_kernel
	.section	.text._ZN7rocprim17ROCPRIM_400000_NS6detail17trampoline_kernelINS0_14default_configENS1_21merge_config_selectorINS0_5tupleIJttEEENS0_10empty_typeEEEZNS1_10merge_implIS3_NS0_12zip_iteratorINS5_IJN6thrust23THRUST_200600_302600_NS6detail15normal_iteratorINSC_10device_ptrIKtEEEESI_EEEEESK_NSA_INS5_IJNSC_16discard_iteratorINSC_11use_defaultEEESN_EEEEEPS7_SQ_SQ_NSC_11hip_rocprim7__merge17predicate_wrapperIttNSC_4lessItEEEEEE10hipError_tPvRmT0_T1_T2_T3_T4_T5_mmT6_P12ihipStream_tbEUlT_E0_NS1_11comp_targetILNS1_3genE2ELNS1_11target_archE906ELNS1_3gpuE6ELNS1_3repE0EEENS1_30default_config_static_selectorELNS0_4arch9wavefront6targetE0EEEvS11_,"axG",@progbits,_ZN7rocprim17ROCPRIM_400000_NS6detail17trampoline_kernelINS0_14default_configENS1_21merge_config_selectorINS0_5tupleIJttEEENS0_10empty_typeEEEZNS1_10merge_implIS3_NS0_12zip_iteratorINS5_IJN6thrust23THRUST_200600_302600_NS6detail15normal_iteratorINSC_10device_ptrIKtEEEESI_EEEEESK_NSA_INS5_IJNSC_16discard_iteratorINSC_11use_defaultEEESN_EEEEEPS7_SQ_SQ_NSC_11hip_rocprim7__merge17predicate_wrapperIttNSC_4lessItEEEEEE10hipError_tPvRmT0_T1_T2_T3_T4_T5_mmT6_P12ihipStream_tbEUlT_E0_NS1_11comp_targetILNS1_3genE2ELNS1_11target_archE906ELNS1_3gpuE6ELNS1_3repE0EEENS1_30default_config_static_selectorELNS0_4arch9wavefront6targetE0EEEvS11_,comdat
.Lfunc_end564:
	.size	_ZN7rocprim17ROCPRIM_400000_NS6detail17trampoline_kernelINS0_14default_configENS1_21merge_config_selectorINS0_5tupleIJttEEENS0_10empty_typeEEEZNS1_10merge_implIS3_NS0_12zip_iteratorINS5_IJN6thrust23THRUST_200600_302600_NS6detail15normal_iteratorINSC_10device_ptrIKtEEEESI_EEEEESK_NSA_INS5_IJNSC_16discard_iteratorINSC_11use_defaultEEESN_EEEEEPS7_SQ_SQ_NSC_11hip_rocprim7__merge17predicate_wrapperIttNSC_4lessItEEEEEE10hipError_tPvRmT0_T1_T2_T3_T4_T5_mmT6_P12ihipStream_tbEUlT_E0_NS1_11comp_targetILNS1_3genE2ELNS1_11target_archE906ELNS1_3gpuE6ELNS1_3repE0EEENS1_30default_config_static_selectorELNS0_4arch9wavefront6targetE0EEEvS11_, .Lfunc_end564-_ZN7rocprim17ROCPRIM_400000_NS6detail17trampoline_kernelINS0_14default_configENS1_21merge_config_selectorINS0_5tupleIJttEEENS0_10empty_typeEEEZNS1_10merge_implIS3_NS0_12zip_iteratorINS5_IJN6thrust23THRUST_200600_302600_NS6detail15normal_iteratorINSC_10device_ptrIKtEEEESI_EEEEESK_NSA_INS5_IJNSC_16discard_iteratorINSC_11use_defaultEEESN_EEEEEPS7_SQ_SQ_NSC_11hip_rocprim7__merge17predicate_wrapperIttNSC_4lessItEEEEEE10hipError_tPvRmT0_T1_T2_T3_T4_T5_mmT6_P12ihipStream_tbEUlT_E0_NS1_11comp_targetILNS1_3genE2ELNS1_11target_archE906ELNS1_3gpuE6ELNS1_3repE0EEENS1_30default_config_static_selectorELNS0_4arch9wavefront6targetE0EEEvS11_
                                        ; -- End function
	.set _ZN7rocprim17ROCPRIM_400000_NS6detail17trampoline_kernelINS0_14default_configENS1_21merge_config_selectorINS0_5tupleIJttEEENS0_10empty_typeEEEZNS1_10merge_implIS3_NS0_12zip_iteratorINS5_IJN6thrust23THRUST_200600_302600_NS6detail15normal_iteratorINSC_10device_ptrIKtEEEESI_EEEEESK_NSA_INS5_IJNSC_16discard_iteratorINSC_11use_defaultEEESN_EEEEEPS7_SQ_SQ_NSC_11hip_rocprim7__merge17predicate_wrapperIttNSC_4lessItEEEEEE10hipError_tPvRmT0_T1_T2_T3_T4_T5_mmT6_P12ihipStream_tbEUlT_E0_NS1_11comp_targetILNS1_3genE2ELNS1_11target_archE906ELNS1_3gpuE6ELNS1_3repE0EEENS1_30default_config_static_selectorELNS0_4arch9wavefront6targetE0EEEvS11_.num_vgpr, 0
	.set _ZN7rocprim17ROCPRIM_400000_NS6detail17trampoline_kernelINS0_14default_configENS1_21merge_config_selectorINS0_5tupleIJttEEENS0_10empty_typeEEEZNS1_10merge_implIS3_NS0_12zip_iteratorINS5_IJN6thrust23THRUST_200600_302600_NS6detail15normal_iteratorINSC_10device_ptrIKtEEEESI_EEEEESK_NSA_INS5_IJNSC_16discard_iteratorINSC_11use_defaultEEESN_EEEEEPS7_SQ_SQ_NSC_11hip_rocprim7__merge17predicate_wrapperIttNSC_4lessItEEEEEE10hipError_tPvRmT0_T1_T2_T3_T4_T5_mmT6_P12ihipStream_tbEUlT_E0_NS1_11comp_targetILNS1_3genE2ELNS1_11target_archE906ELNS1_3gpuE6ELNS1_3repE0EEENS1_30default_config_static_selectorELNS0_4arch9wavefront6targetE0EEEvS11_.num_agpr, 0
	.set _ZN7rocprim17ROCPRIM_400000_NS6detail17trampoline_kernelINS0_14default_configENS1_21merge_config_selectorINS0_5tupleIJttEEENS0_10empty_typeEEEZNS1_10merge_implIS3_NS0_12zip_iteratorINS5_IJN6thrust23THRUST_200600_302600_NS6detail15normal_iteratorINSC_10device_ptrIKtEEEESI_EEEEESK_NSA_INS5_IJNSC_16discard_iteratorINSC_11use_defaultEEESN_EEEEEPS7_SQ_SQ_NSC_11hip_rocprim7__merge17predicate_wrapperIttNSC_4lessItEEEEEE10hipError_tPvRmT0_T1_T2_T3_T4_T5_mmT6_P12ihipStream_tbEUlT_E0_NS1_11comp_targetILNS1_3genE2ELNS1_11target_archE906ELNS1_3gpuE6ELNS1_3repE0EEENS1_30default_config_static_selectorELNS0_4arch9wavefront6targetE0EEEvS11_.numbered_sgpr, 0
	.set _ZN7rocprim17ROCPRIM_400000_NS6detail17trampoline_kernelINS0_14default_configENS1_21merge_config_selectorINS0_5tupleIJttEEENS0_10empty_typeEEEZNS1_10merge_implIS3_NS0_12zip_iteratorINS5_IJN6thrust23THRUST_200600_302600_NS6detail15normal_iteratorINSC_10device_ptrIKtEEEESI_EEEEESK_NSA_INS5_IJNSC_16discard_iteratorINSC_11use_defaultEEESN_EEEEEPS7_SQ_SQ_NSC_11hip_rocprim7__merge17predicate_wrapperIttNSC_4lessItEEEEEE10hipError_tPvRmT0_T1_T2_T3_T4_T5_mmT6_P12ihipStream_tbEUlT_E0_NS1_11comp_targetILNS1_3genE2ELNS1_11target_archE906ELNS1_3gpuE6ELNS1_3repE0EEENS1_30default_config_static_selectorELNS0_4arch9wavefront6targetE0EEEvS11_.num_named_barrier, 0
	.set _ZN7rocprim17ROCPRIM_400000_NS6detail17trampoline_kernelINS0_14default_configENS1_21merge_config_selectorINS0_5tupleIJttEEENS0_10empty_typeEEEZNS1_10merge_implIS3_NS0_12zip_iteratorINS5_IJN6thrust23THRUST_200600_302600_NS6detail15normal_iteratorINSC_10device_ptrIKtEEEESI_EEEEESK_NSA_INS5_IJNSC_16discard_iteratorINSC_11use_defaultEEESN_EEEEEPS7_SQ_SQ_NSC_11hip_rocprim7__merge17predicate_wrapperIttNSC_4lessItEEEEEE10hipError_tPvRmT0_T1_T2_T3_T4_T5_mmT6_P12ihipStream_tbEUlT_E0_NS1_11comp_targetILNS1_3genE2ELNS1_11target_archE906ELNS1_3gpuE6ELNS1_3repE0EEENS1_30default_config_static_selectorELNS0_4arch9wavefront6targetE0EEEvS11_.private_seg_size, 0
	.set _ZN7rocprim17ROCPRIM_400000_NS6detail17trampoline_kernelINS0_14default_configENS1_21merge_config_selectorINS0_5tupleIJttEEENS0_10empty_typeEEEZNS1_10merge_implIS3_NS0_12zip_iteratorINS5_IJN6thrust23THRUST_200600_302600_NS6detail15normal_iteratorINSC_10device_ptrIKtEEEESI_EEEEESK_NSA_INS5_IJNSC_16discard_iteratorINSC_11use_defaultEEESN_EEEEEPS7_SQ_SQ_NSC_11hip_rocprim7__merge17predicate_wrapperIttNSC_4lessItEEEEEE10hipError_tPvRmT0_T1_T2_T3_T4_T5_mmT6_P12ihipStream_tbEUlT_E0_NS1_11comp_targetILNS1_3genE2ELNS1_11target_archE906ELNS1_3gpuE6ELNS1_3repE0EEENS1_30default_config_static_selectorELNS0_4arch9wavefront6targetE0EEEvS11_.uses_vcc, 0
	.set _ZN7rocprim17ROCPRIM_400000_NS6detail17trampoline_kernelINS0_14default_configENS1_21merge_config_selectorINS0_5tupleIJttEEENS0_10empty_typeEEEZNS1_10merge_implIS3_NS0_12zip_iteratorINS5_IJN6thrust23THRUST_200600_302600_NS6detail15normal_iteratorINSC_10device_ptrIKtEEEESI_EEEEESK_NSA_INS5_IJNSC_16discard_iteratorINSC_11use_defaultEEESN_EEEEEPS7_SQ_SQ_NSC_11hip_rocprim7__merge17predicate_wrapperIttNSC_4lessItEEEEEE10hipError_tPvRmT0_T1_T2_T3_T4_T5_mmT6_P12ihipStream_tbEUlT_E0_NS1_11comp_targetILNS1_3genE2ELNS1_11target_archE906ELNS1_3gpuE6ELNS1_3repE0EEENS1_30default_config_static_selectorELNS0_4arch9wavefront6targetE0EEEvS11_.uses_flat_scratch, 0
	.set _ZN7rocprim17ROCPRIM_400000_NS6detail17trampoline_kernelINS0_14default_configENS1_21merge_config_selectorINS0_5tupleIJttEEENS0_10empty_typeEEEZNS1_10merge_implIS3_NS0_12zip_iteratorINS5_IJN6thrust23THRUST_200600_302600_NS6detail15normal_iteratorINSC_10device_ptrIKtEEEESI_EEEEESK_NSA_INS5_IJNSC_16discard_iteratorINSC_11use_defaultEEESN_EEEEEPS7_SQ_SQ_NSC_11hip_rocprim7__merge17predicate_wrapperIttNSC_4lessItEEEEEE10hipError_tPvRmT0_T1_T2_T3_T4_T5_mmT6_P12ihipStream_tbEUlT_E0_NS1_11comp_targetILNS1_3genE2ELNS1_11target_archE906ELNS1_3gpuE6ELNS1_3repE0EEENS1_30default_config_static_selectorELNS0_4arch9wavefront6targetE0EEEvS11_.has_dyn_sized_stack, 0
	.set _ZN7rocprim17ROCPRIM_400000_NS6detail17trampoline_kernelINS0_14default_configENS1_21merge_config_selectorINS0_5tupleIJttEEENS0_10empty_typeEEEZNS1_10merge_implIS3_NS0_12zip_iteratorINS5_IJN6thrust23THRUST_200600_302600_NS6detail15normal_iteratorINSC_10device_ptrIKtEEEESI_EEEEESK_NSA_INS5_IJNSC_16discard_iteratorINSC_11use_defaultEEESN_EEEEEPS7_SQ_SQ_NSC_11hip_rocprim7__merge17predicate_wrapperIttNSC_4lessItEEEEEE10hipError_tPvRmT0_T1_T2_T3_T4_T5_mmT6_P12ihipStream_tbEUlT_E0_NS1_11comp_targetILNS1_3genE2ELNS1_11target_archE906ELNS1_3gpuE6ELNS1_3repE0EEENS1_30default_config_static_selectorELNS0_4arch9wavefront6targetE0EEEvS11_.has_recursion, 0
	.set _ZN7rocprim17ROCPRIM_400000_NS6detail17trampoline_kernelINS0_14default_configENS1_21merge_config_selectorINS0_5tupleIJttEEENS0_10empty_typeEEEZNS1_10merge_implIS3_NS0_12zip_iteratorINS5_IJN6thrust23THRUST_200600_302600_NS6detail15normal_iteratorINSC_10device_ptrIKtEEEESI_EEEEESK_NSA_INS5_IJNSC_16discard_iteratorINSC_11use_defaultEEESN_EEEEEPS7_SQ_SQ_NSC_11hip_rocprim7__merge17predicate_wrapperIttNSC_4lessItEEEEEE10hipError_tPvRmT0_T1_T2_T3_T4_T5_mmT6_P12ihipStream_tbEUlT_E0_NS1_11comp_targetILNS1_3genE2ELNS1_11target_archE906ELNS1_3gpuE6ELNS1_3repE0EEENS1_30default_config_static_selectorELNS0_4arch9wavefront6targetE0EEEvS11_.has_indirect_call, 0
	.section	.AMDGPU.csdata,"",@progbits
; Kernel info:
; codeLenInByte = 0
; TotalNumSgprs: 0
; NumVgprs: 0
; ScratchSize: 0
; MemoryBound: 0
; FloatMode: 240
; IeeeMode: 1
; LDSByteSize: 0 bytes/workgroup (compile time only)
; SGPRBlocks: 0
; VGPRBlocks: 0
; NumSGPRsForWavesPerEU: 1
; NumVGPRsForWavesPerEU: 1
; NamedBarCnt: 0
; Occupancy: 16
; WaveLimiterHint : 0
; COMPUTE_PGM_RSRC2:SCRATCH_EN: 0
; COMPUTE_PGM_RSRC2:USER_SGPR: 2
; COMPUTE_PGM_RSRC2:TRAP_HANDLER: 0
; COMPUTE_PGM_RSRC2:TGID_X_EN: 1
; COMPUTE_PGM_RSRC2:TGID_Y_EN: 0
; COMPUTE_PGM_RSRC2:TGID_Z_EN: 0
; COMPUTE_PGM_RSRC2:TIDIG_COMP_CNT: 0
	.section	.text._ZN7rocprim17ROCPRIM_400000_NS6detail17trampoline_kernelINS0_14default_configENS1_21merge_config_selectorINS0_5tupleIJttEEENS0_10empty_typeEEEZNS1_10merge_implIS3_NS0_12zip_iteratorINS5_IJN6thrust23THRUST_200600_302600_NS6detail15normal_iteratorINSC_10device_ptrIKtEEEESI_EEEEESK_NSA_INS5_IJNSC_16discard_iteratorINSC_11use_defaultEEESN_EEEEEPS7_SQ_SQ_NSC_11hip_rocprim7__merge17predicate_wrapperIttNSC_4lessItEEEEEE10hipError_tPvRmT0_T1_T2_T3_T4_T5_mmT6_P12ihipStream_tbEUlT_E0_NS1_11comp_targetILNS1_3genE10ELNS1_11target_archE1201ELNS1_3gpuE5ELNS1_3repE0EEENS1_30default_config_static_selectorELNS0_4arch9wavefront6targetE0EEEvS11_,"axG",@progbits,_ZN7rocprim17ROCPRIM_400000_NS6detail17trampoline_kernelINS0_14default_configENS1_21merge_config_selectorINS0_5tupleIJttEEENS0_10empty_typeEEEZNS1_10merge_implIS3_NS0_12zip_iteratorINS5_IJN6thrust23THRUST_200600_302600_NS6detail15normal_iteratorINSC_10device_ptrIKtEEEESI_EEEEESK_NSA_INS5_IJNSC_16discard_iteratorINSC_11use_defaultEEESN_EEEEEPS7_SQ_SQ_NSC_11hip_rocprim7__merge17predicate_wrapperIttNSC_4lessItEEEEEE10hipError_tPvRmT0_T1_T2_T3_T4_T5_mmT6_P12ihipStream_tbEUlT_E0_NS1_11comp_targetILNS1_3genE10ELNS1_11target_archE1201ELNS1_3gpuE5ELNS1_3repE0EEENS1_30default_config_static_selectorELNS0_4arch9wavefront6targetE0EEEvS11_,comdat
	.protected	_ZN7rocprim17ROCPRIM_400000_NS6detail17trampoline_kernelINS0_14default_configENS1_21merge_config_selectorINS0_5tupleIJttEEENS0_10empty_typeEEEZNS1_10merge_implIS3_NS0_12zip_iteratorINS5_IJN6thrust23THRUST_200600_302600_NS6detail15normal_iteratorINSC_10device_ptrIKtEEEESI_EEEEESK_NSA_INS5_IJNSC_16discard_iteratorINSC_11use_defaultEEESN_EEEEEPS7_SQ_SQ_NSC_11hip_rocprim7__merge17predicate_wrapperIttNSC_4lessItEEEEEE10hipError_tPvRmT0_T1_T2_T3_T4_T5_mmT6_P12ihipStream_tbEUlT_E0_NS1_11comp_targetILNS1_3genE10ELNS1_11target_archE1201ELNS1_3gpuE5ELNS1_3repE0EEENS1_30default_config_static_selectorELNS0_4arch9wavefront6targetE0EEEvS11_ ; -- Begin function _ZN7rocprim17ROCPRIM_400000_NS6detail17trampoline_kernelINS0_14default_configENS1_21merge_config_selectorINS0_5tupleIJttEEENS0_10empty_typeEEEZNS1_10merge_implIS3_NS0_12zip_iteratorINS5_IJN6thrust23THRUST_200600_302600_NS6detail15normal_iteratorINSC_10device_ptrIKtEEEESI_EEEEESK_NSA_INS5_IJNSC_16discard_iteratorINSC_11use_defaultEEESN_EEEEEPS7_SQ_SQ_NSC_11hip_rocprim7__merge17predicate_wrapperIttNSC_4lessItEEEEEE10hipError_tPvRmT0_T1_T2_T3_T4_T5_mmT6_P12ihipStream_tbEUlT_E0_NS1_11comp_targetILNS1_3genE10ELNS1_11target_archE1201ELNS1_3gpuE5ELNS1_3repE0EEENS1_30default_config_static_selectorELNS0_4arch9wavefront6targetE0EEEvS11_
	.globl	_ZN7rocprim17ROCPRIM_400000_NS6detail17trampoline_kernelINS0_14default_configENS1_21merge_config_selectorINS0_5tupleIJttEEENS0_10empty_typeEEEZNS1_10merge_implIS3_NS0_12zip_iteratorINS5_IJN6thrust23THRUST_200600_302600_NS6detail15normal_iteratorINSC_10device_ptrIKtEEEESI_EEEEESK_NSA_INS5_IJNSC_16discard_iteratorINSC_11use_defaultEEESN_EEEEEPS7_SQ_SQ_NSC_11hip_rocprim7__merge17predicate_wrapperIttNSC_4lessItEEEEEE10hipError_tPvRmT0_T1_T2_T3_T4_T5_mmT6_P12ihipStream_tbEUlT_E0_NS1_11comp_targetILNS1_3genE10ELNS1_11target_archE1201ELNS1_3gpuE5ELNS1_3repE0EEENS1_30default_config_static_selectorELNS0_4arch9wavefront6targetE0EEEvS11_
	.p2align	8
	.type	_ZN7rocprim17ROCPRIM_400000_NS6detail17trampoline_kernelINS0_14default_configENS1_21merge_config_selectorINS0_5tupleIJttEEENS0_10empty_typeEEEZNS1_10merge_implIS3_NS0_12zip_iteratorINS5_IJN6thrust23THRUST_200600_302600_NS6detail15normal_iteratorINSC_10device_ptrIKtEEEESI_EEEEESK_NSA_INS5_IJNSC_16discard_iteratorINSC_11use_defaultEEESN_EEEEEPS7_SQ_SQ_NSC_11hip_rocprim7__merge17predicate_wrapperIttNSC_4lessItEEEEEE10hipError_tPvRmT0_T1_T2_T3_T4_T5_mmT6_P12ihipStream_tbEUlT_E0_NS1_11comp_targetILNS1_3genE10ELNS1_11target_archE1201ELNS1_3gpuE5ELNS1_3repE0EEENS1_30default_config_static_selectorELNS0_4arch9wavefront6targetE0EEEvS11_,@function
_ZN7rocprim17ROCPRIM_400000_NS6detail17trampoline_kernelINS0_14default_configENS1_21merge_config_selectorINS0_5tupleIJttEEENS0_10empty_typeEEEZNS1_10merge_implIS3_NS0_12zip_iteratorINS5_IJN6thrust23THRUST_200600_302600_NS6detail15normal_iteratorINSC_10device_ptrIKtEEEESI_EEEEESK_NSA_INS5_IJNSC_16discard_iteratorINSC_11use_defaultEEESN_EEEEEPS7_SQ_SQ_NSC_11hip_rocprim7__merge17predicate_wrapperIttNSC_4lessItEEEEEE10hipError_tPvRmT0_T1_T2_T3_T4_T5_mmT6_P12ihipStream_tbEUlT_E0_NS1_11comp_targetILNS1_3genE10ELNS1_11target_archE1201ELNS1_3gpuE5ELNS1_3repE0EEENS1_30default_config_static_selectorELNS0_4arch9wavefront6targetE0EEEvS11_: ; @_ZN7rocprim17ROCPRIM_400000_NS6detail17trampoline_kernelINS0_14default_configENS1_21merge_config_selectorINS0_5tupleIJttEEENS0_10empty_typeEEEZNS1_10merge_implIS3_NS0_12zip_iteratorINS5_IJN6thrust23THRUST_200600_302600_NS6detail15normal_iteratorINSC_10device_ptrIKtEEEESI_EEEEESK_NSA_INS5_IJNSC_16discard_iteratorINSC_11use_defaultEEESN_EEEEEPS7_SQ_SQ_NSC_11hip_rocprim7__merge17predicate_wrapperIttNSC_4lessItEEEEEE10hipError_tPvRmT0_T1_T2_T3_T4_T5_mmT6_P12ihipStream_tbEUlT_E0_NS1_11comp_targetILNS1_3genE10ELNS1_11target_archE1201ELNS1_3gpuE5ELNS1_3repE0EEENS1_30default_config_static_selectorELNS0_4arch9wavefront6targetE0EEEvS11_
; %bb.0:
	.section	.rodata,"a",@progbits
	.p2align	6, 0x0
	.amdhsa_kernel _ZN7rocprim17ROCPRIM_400000_NS6detail17trampoline_kernelINS0_14default_configENS1_21merge_config_selectorINS0_5tupleIJttEEENS0_10empty_typeEEEZNS1_10merge_implIS3_NS0_12zip_iteratorINS5_IJN6thrust23THRUST_200600_302600_NS6detail15normal_iteratorINSC_10device_ptrIKtEEEESI_EEEEESK_NSA_INS5_IJNSC_16discard_iteratorINSC_11use_defaultEEESN_EEEEEPS7_SQ_SQ_NSC_11hip_rocprim7__merge17predicate_wrapperIttNSC_4lessItEEEEEE10hipError_tPvRmT0_T1_T2_T3_T4_T5_mmT6_P12ihipStream_tbEUlT_E0_NS1_11comp_targetILNS1_3genE10ELNS1_11target_archE1201ELNS1_3gpuE5ELNS1_3repE0EEENS1_30default_config_static_selectorELNS0_4arch9wavefront6targetE0EEEvS11_
		.amdhsa_group_segment_fixed_size 0
		.amdhsa_private_segment_fixed_size 0
		.amdhsa_kernarg_size 128
		.amdhsa_user_sgpr_count 2
		.amdhsa_user_sgpr_dispatch_ptr 0
		.amdhsa_user_sgpr_queue_ptr 0
		.amdhsa_user_sgpr_kernarg_segment_ptr 1
		.amdhsa_user_sgpr_dispatch_id 0
		.amdhsa_user_sgpr_kernarg_preload_length 0
		.amdhsa_user_sgpr_kernarg_preload_offset 0
		.amdhsa_user_sgpr_private_segment_size 0
		.amdhsa_wavefront_size32 1
		.amdhsa_uses_dynamic_stack 0
		.amdhsa_enable_private_segment 0
		.amdhsa_system_sgpr_workgroup_id_x 1
		.amdhsa_system_sgpr_workgroup_id_y 0
		.amdhsa_system_sgpr_workgroup_id_z 0
		.amdhsa_system_sgpr_workgroup_info 0
		.amdhsa_system_vgpr_workitem_id 0
		.amdhsa_next_free_vgpr 1
		.amdhsa_next_free_sgpr 1
		.amdhsa_named_barrier_count 0
		.amdhsa_reserve_vcc 0
		.amdhsa_float_round_mode_32 0
		.amdhsa_float_round_mode_16_64 0
		.amdhsa_float_denorm_mode_32 3
		.amdhsa_float_denorm_mode_16_64 3
		.amdhsa_fp16_overflow 0
		.amdhsa_memory_ordered 1
		.amdhsa_forward_progress 1
		.amdhsa_inst_pref_size 0
		.amdhsa_round_robin_scheduling 0
		.amdhsa_exception_fp_ieee_invalid_op 0
		.amdhsa_exception_fp_denorm_src 0
		.amdhsa_exception_fp_ieee_div_zero 0
		.amdhsa_exception_fp_ieee_overflow 0
		.amdhsa_exception_fp_ieee_underflow 0
		.amdhsa_exception_fp_ieee_inexact 0
		.amdhsa_exception_int_div_zero 0
	.end_amdhsa_kernel
	.section	.text._ZN7rocprim17ROCPRIM_400000_NS6detail17trampoline_kernelINS0_14default_configENS1_21merge_config_selectorINS0_5tupleIJttEEENS0_10empty_typeEEEZNS1_10merge_implIS3_NS0_12zip_iteratorINS5_IJN6thrust23THRUST_200600_302600_NS6detail15normal_iteratorINSC_10device_ptrIKtEEEESI_EEEEESK_NSA_INS5_IJNSC_16discard_iteratorINSC_11use_defaultEEESN_EEEEEPS7_SQ_SQ_NSC_11hip_rocprim7__merge17predicate_wrapperIttNSC_4lessItEEEEEE10hipError_tPvRmT0_T1_T2_T3_T4_T5_mmT6_P12ihipStream_tbEUlT_E0_NS1_11comp_targetILNS1_3genE10ELNS1_11target_archE1201ELNS1_3gpuE5ELNS1_3repE0EEENS1_30default_config_static_selectorELNS0_4arch9wavefront6targetE0EEEvS11_,"axG",@progbits,_ZN7rocprim17ROCPRIM_400000_NS6detail17trampoline_kernelINS0_14default_configENS1_21merge_config_selectorINS0_5tupleIJttEEENS0_10empty_typeEEEZNS1_10merge_implIS3_NS0_12zip_iteratorINS5_IJN6thrust23THRUST_200600_302600_NS6detail15normal_iteratorINSC_10device_ptrIKtEEEESI_EEEEESK_NSA_INS5_IJNSC_16discard_iteratorINSC_11use_defaultEEESN_EEEEEPS7_SQ_SQ_NSC_11hip_rocprim7__merge17predicate_wrapperIttNSC_4lessItEEEEEE10hipError_tPvRmT0_T1_T2_T3_T4_T5_mmT6_P12ihipStream_tbEUlT_E0_NS1_11comp_targetILNS1_3genE10ELNS1_11target_archE1201ELNS1_3gpuE5ELNS1_3repE0EEENS1_30default_config_static_selectorELNS0_4arch9wavefront6targetE0EEEvS11_,comdat
.Lfunc_end565:
	.size	_ZN7rocprim17ROCPRIM_400000_NS6detail17trampoline_kernelINS0_14default_configENS1_21merge_config_selectorINS0_5tupleIJttEEENS0_10empty_typeEEEZNS1_10merge_implIS3_NS0_12zip_iteratorINS5_IJN6thrust23THRUST_200600_302600_NS6detail15normal_iteratorINSC_10device_ptrIKtEEEESI_EEEEESK_NSA_INS5_IJNSC_16discard_iteratorINSC_11use_defaultEEESN_EEEEEPS7_SQ_SQ_NSC_11hip_rocprim7__merge17predicate_wrapperIttNSC_4lessItEEEEEE10hipError_tPvRmT0_T1_T2_T3_T4_T5_mmT6_P12ihipStream_tbEUlT_E0_NS1_11comp_targetILNS1_3genE10ELNS1_11target_archE1201ELNS1_3gpuE5ELNS1_3repE0EEENS1_30default_config_static_selectorELNS0_4arch9wavefront6targetE0EEEvS11_, .Lfunc_end565-_ZN7rocprim17ROCPRIM_400000_NS6detail17trampoline_kernelINS0_14default_configENS1_21merge_config_selectorINS0_5tupleIJttEEENS0_10empty_typeEEEZNS1_10merge_implIS3_NS0_12zip_iteratorINS5_IJN6thrust23THRUST_200600_302600_NS6detail15normal_iteratorINSC_10device_ptrIKtEEEESI_EEEEESK_NSA_INS5_IJNSC_16discard_iteratorINSC_11use_defaultEEESN_EEEEEPS7_SQ_SQ_NSC_11hip_rocprim7__merge17predicate_wrapperIttNSC_4lessItEEEEEE10hipError_tPvRmT0_T1_T2_T3_T4_T5_mmT6_P12ihipStream_tbEUlT_E0_NS1_11comp_targetILNS1_3genE10ELNS1_11target_archE1201ELNS1_3gpuE5ELNS1_3repE0EEENS1_30default_config_static_selectorELNS0_4arch9wavefront6targetE0EEEvS11_
                                        ; -- End function
	.set _ZN7rocprim17ROCPRIM_400000_NS6detail17trampoline_kernelINS0_14default_configENS1_21merge_config_selectorINS0_5tupleIJttEEENS0_10empty_typeEEEZNS1_10merge_implIS3_NS0_12zip_iteratorINS5_IJN6thrust23THRUST_200600_302600_NS6detail15normal_iteratorINSC_10device_ptrIKtEEEESI_EEEEESK_NSA_INS5_IJNSC_16discard_iteratorINSC_11use_defaultEEESN_EEEEEPS7_SQ_SQ_NSC_11hip_rocprim7__merge17predicate_wrapperIttNSC_4lessItEEEEEE10hipError_tPvRmT0_T1_T2_T3_T4_T5_mmT6_P12ihipStream_tbEUlT_E0_NS1_11comp_targetILNS1_3genE10ELNS1_11target_archE1201ELNS1_3gpuE5ELNS1_3repE0EEENS1_30default_config_static_selectorELNS0_4arch9wavefront6targetE0EEEvS11_.num_vgpr, 0
	.set _ZN7rocprim17ROCPRIM_400000_NS6detail17trampoline_kernelINS0_14default_configENS1_21merge_config_selectorINS0_5tupleIJttEEENS0_10empty_typeEEEZNS1_10merge_implIS3_NS0_12zip_iteratorINS5_IJN6thrust23THRUST_200600_302600_NS6detail15normal_iteratorINSC_10device_ptrIKtEEEESI_EEEEESK_NSA_INS5_IJNSC_16discard_iteratorINSC_11use_defaultEEESN_EEEEEPS7_SQ_SQ_NSC_11hip_rocprim7__merge17predicate_wrapperIttNSC_4lessItEEEEEE10hipError_tPvRmT0_T1_T2_T3_T4_T5_mmT6_P12ihipStream_tbEUlT_E0_NS1_11comp_targetILNS1_3genE10ELNS1_11target_archE1201ELNS1_3gpuE5ELNS1_3repE0EEENS1_30default_config_static_selectorELNS0_4arch9wavefront6targetE0EEEvS11_.num_agpr, 0
	.set _ZN7rocprim17ROCPRIM_400000_NS6detail17trampoline_kernelINS0_14default_configENS1_21merge_config_selectorINS0_5tupleIJttEEENS0_10empty_typeEEEZNS1_10merge_implIS3_NS0_12zip_iteratorINS5_IJN6thrust23THRUST_200600_302600_NS6detail15normal_iteratorINSC_10device_ptrIKtEEEESI_EEEEESK_NSA_INS5_IJNSC_16discard_iteratorINSC_11use_defaultEEESN_EEEEEPS7_SQ_SQ_NSC_11hip_rocprim7__merge17predicate_wrapperIttNSC_4lessItEEEEEE10hipError_tPvRmT0_T1_T2_T3_T4_T5_mmT6_P12ihipStream_tbEUlT_E0_NS1_11comp_targetILNS1_3genE10ELNS1_11target_archE1201ELNS1_3gpuE5ELNS1_3repE0EEENS1_30default_config_static_selectorELNS0_4arch9wavefront6targetE0EEEvS11_.numbered_sgpr, 0
	.set _ZN7rocprim17ROCPRIM_400000_NS6detail17trampoline_kernelINS0_14default_configENS1_21merge_config_selectorINS0_5tupleIJttEEENS0_10empty_typeEEEZNS1_10merge_implIS3_NS0_12zip_iteratorINS5_IJN6thrust23THRUST_200600_302600_NS6detail15normal_iteratorINSC_10device_ptrIKtEEEESI_EEEEESK_NSA_INS5_IJNSC_16discard_iteratorINSC_11use_defaultEEESN_EEEEEPS7_SQ_SQ_NSC_11hip_rocprim7__merge17predicate_wrapperIttNSC_4lessItEEEEEE10hipError_tPvRmT0_T1_T2_T3_T4_T5_mmT6_P12ihipStream_tbEUlT_E0_NS1_11comp_targetILNS1_3genE10ELNS1_11target_archE1201ELNS1_3gpuE5ELNS1_3repE0EEENS1_30default_config_static_selectorELNS0_4arch9wavefront6targetE0EEEvS11_.num_named_barrier, 0
	.set _ZN7rocprim17ROCPRIM_400000_NS6detail17trampoline_kernelINS0_14default_configENS1_21merge_config_selectorINS0_5tupleIJttEEENS0_10empty_typeEEEZNS1_10merge_implIS3_NS0_12zip_iteratorINS5_IJN6thrust23THRUST_200600_302600_NS6detail15normal_iteratorINSC_10device_ptrIKtEEEESI_EEEEESK_NSA_INS5_IJNSC_16discard_iteratorINSC_11use_defaultEEESN_EEEEEPS7_SQ_SQ_NSC_11hip_rocprim7__merge17predicate_wrapperIttNSC_4lessItEEEEEE10hipError_tPvRmT0_T1_T2_T3_T4_T5_mmT6_P12ihipStream_tbEUlT_E0_NS1_11comp_targetILNS1_3genE10ELNS1_11target_archE1201ELNS1_3gpuE5ELNS1_3repE0EEENS1_30default_config_static_selectorELNS0_4arch9wavefront6targetE0EEEvS11_.private_seg_size, 0
	.set _ZN7rocprim17ROCPRIM_400000_NS6detail17trampoline_kernelINS0_14default_configENS1_21merge_config_selectorINS0_5tupleIJttEEENS0_10empty_typeEEEZNS1_10merge_implIS3_NS0_12zip_iteratorINS5_IJN6thrust23THRUST_200600_302600_NS6detail15normal_iteratorINSC_10device_ptrIKtEEEESI_EEEEESK_NSA_INS5_IJNSC_16discard_iteratorINSC_11use_defaultEEESN_EEEEEPS7_SQ_SQ_NSC_11hip_rocprim7__merge17predicate_wrapperIttNSC_4lessItEEEEEE10hipError_tPvRmT0_T1_T2_T3_T4_T5_mmT6_P12ihipStream_tbEUlT_E0_NS1_11comp_targetILNS1_3genE10ELNS1_11target_archE1201ELNS1_3gpuE5ELNS1_3repE0EEENS1_30default_config_static_selectorELNS0_4arch9wavefront6targetE0EEEvS11_.uses_vcc, 0
	.set _ZN7rocprim17ROCPRIM_400000_NS6detail17trampoline_kernelINS0_14default_configENS1_21merge_config_selectorINS0_5tupleIJttEEENS0_10empty_typeEEEZNS1_10merge_implIS3_NS0_12zip_iteratorINS5_IJN6thrust23THRUST_200600_302600_NS6detail15normal_iteratorINSC_10device_ptrIKtEEEESI_EEEEESK_NSA_INS5_IJNSC_16discard_iteratorINSC_11use_defaultEEESN_EEEEEPS7_SQ_SQ_NSC_11hip_rocprim7__merge17predicate_wrapperIttNSC_4lessItEEEEEE10hipError_tPvRmT0_T1_T2_T3_T4_T5_mmT6_P12ihipStream_tbEUlT_E0_NS1_11comp_targetILNS1_3genE10ELNS1_11target_archE1201ELNS1_3gpuE5ELNS1_3repE0EEENS1_30default_config_static_selectorELNS0_4arch9wavefront6targetE0EEEvS11_.uses_flat_scratch, 0
	.set _ZN7rocprim17ROCPRIM_400000_NS6detail17trampoline_kernelINS0_14default_configENS1_21merge_config_selectorINS0_5tupleIJttEEENS0_10empty_typeEEEZNS1_10merge_implIS3_NS0_12zip_iteratorINS5_IJN6thrust23THRUST_200600_302600_NS6detail15normal_iteratorINSC_10device_ptrIKtEEEESI_EEEEESK_NSA_INS5_IJNSC_16discard_iteratorINSC_11use_defaultEEESN_EEEEEPS7_SQ_SQ_NSC_11hip_rocprim7__merge17predicate_wrapperIttNSC_4lessItEEEEEE10hipError_tPvRmT0_T1_T2_T3_T4_T5_mmT6_P12ihipStream_tbEUlT_E0_NS1_11comp_targetILNS1_3genE10ELNS1_11target_archE1201ELNS1_3gpuE5ELNS1_3repE0EEENS1_30default_config_static_selectorELNS0_4arch9wavefront6targetE0EEEvS11_.has_dyn_sized_stack, 0
	.set _ZN7rocprim17ROCPRIM_400000_NS6detail17trampoline_kernelINS0_14default_configENS1_21merge_config_selectorINS0_5tupleIJttEEENS0_10empty_typeEEEZNS1_10merge_implIS3_NS0_12zip_iteratorINS5_IJN6thrust23THRUST_200600_302600_NS6detail15normal_iteratorINSC_10device_ptrIKtEEEESI_EEEEESK_NSA_INS5_IJNSC_16discard_iteratorINSC_11use_defaultEEESN_EEEEEPS7_SQ_SQ_NSC_11hip_rocprim7__merge17predicate_wrapperIttNSC_4lessItEEEEEE10hipError_tPvRmT0_T1_T2_T3_T4_T5_mmT6_P12ihipStream_tbEUlT_E0_NS1_11comp_targetILNS1_3genE10ELNS1_11target_archE1201ELNS1_3gpuE5ELNS1_3repE0EEENS1_30default_config_static_selectorELNS0_4arch9wavefront6targetE0EEEvS11_.has_recursion, 0
	.set _ZN7rocprim17ROCPRIM_400000_NS6detail17trampoline_kernelINS0_14default_configENS1_21merge_config_selectorINS0_5tupleIJttEEENS0_10empty_typeEEEZNS1_10merge_implIS3_NS0_12zip_iteratorINS5_IJN6thrust23THRUST_200600_302600_NS6detail15normal_iteratorINSC_10device_ptrIKtEEEESI_EEEEESK_NSA_INS5_IJNSC_16discard_iteratorINSC_11use_defaultEEESN_EEEEEPS7_SQ_SQ_NSC_11hip_rocprim7__merge17predicate_wrapperIttNSC_4lessItEEEEEE10hipError_tPvRmT0_T1_T2_T3_T4_T5_mmT6_P12ihipStream_tbEUlT_E0_NS1_11comp_targetILNS1_3genE10ELNS1_11target_archE1201ELNS1_3gpuE5ELNS1_3repE0EEENS1_30default_config_static_selectorELNS0_4arch9wavefront6targetE0EEEvS11_.has_indirect_call, 0
	.section	.AMDGPU.csdata,"",@progbits
; Kernel info:
; codeLenInByte = 0
; TotalNumSgprs: 0
; NumVgprs: 0
; ScratchSize: 0
; MemoryBound: 0
; FloatMode: 240
; IeeeMode: 1
; LDSByteSize: 0 bytes/workgroup (compile time only)
; SGPRBlocks: 0
; VGPRBlocks: 0
; NumSGPRsForWavesPerEU: 1
; NumVGPRsForWavesPerEU: 1
; NamedBarCnt: 0
; Occupancy: 16
; WaveLimiterHint : 0
; COMPUTE_PGM_RSRC2:SCRATCH_EN: 0
; COMPUTE_PGM_RSRC2:USER_SGPR: 2
; COMPUTE_PGM_RSRC2:TRAP_HANDLER: 0
; COMPUTE_PGM_RSRC2:TGID_X_EN: 1
; COMPUTE_PGM_RSRC2:TGID_Y_EN: 0
; COMPUTE_PGM_RSRC2:TGID_Z_EN: 0
; COMPUTE_PGM_RSRC2:TIDIG_COMP_CNT: 0
	.section	.text._ZN7rocprim17ROCPRIM_400000_NS6detail17trampoline_kernelINS0_14default_configENS1_21merge_config_selectorINS0_5tupleIJttEEENS0_10empty_typeEEEZNS1_10merge_implIS3_NS0_12zip_iteratorINS5_IJN6thrust23THRUST_200600_302600_NS6detail15normal_iteratorINSC_10device_ptrIKtEEEESI_EEEEESK_NSA_INS5_IJNSC_16discard_iteratorINSC_11use_defaultEEESN_EEEEEPS7_SQ_SQ_NSC_11hip_rocprim7__merge17predicate_wrapperIttNSC_4lessItEEEEEE10hipError_tPvRmT0_T1_T2_T3_T4_T5_mmT6_P12ihipStream_tbEUlT_E0_NS1_11comp_targetILNS1_3genE10ELNS1_11target_archE1200ELNS1_3gpuE4ELNS1_3repE0EEENS1_30default_config_static_selectorELNS0_4arch9wavefront6targetE0EEEvS11_,"axG",@progbits,_ZN7rocprim17ROCPRIM_400000_NS6detail17trampoline_kernelINS0_14default_configENS1_21merge_config_selectorINS0_5tupleIJttEEENS0_10empty_typeEEEZNS1_10merge_implIS3_NS0_12zip_iteratorINS5_IJN6thrust23THRUST_200600_302600_NS6detail15normal_iteratorINSC_10device_ptrIKtEEEESI_EEEEESK_NSA_INS5_IJNSC_16discard_iteratorINSC_11use_defaultEEESN_EEEEEPS7_SQ_SQ_NSC_11hip_rocprim7__merge17predicate_wrapperIttNSC_4lessItEEEEEE10hipError_tPvRmT0_T1_T2_T3_T4_T5_mmT6_P12ihipStream_tbEUlT_E0_NS1_11comp_targetILNS1_3genE10ELNS1_11target_archE1200ELNS1_3gpuE4ELNS1_3repE0EEENS1_30default_config_static_selectorELNS0_4arch9wavefront6targetE0EEEvS11_,comdat
	.protected	_ZN7rocprim17ROCPRIM_400000_NS6detail17trampoline_kernelINS0_14default_configENS1_21merge_config_selectorINS0_5tupleIJttEEENS0_10empty_typeEEEZNS1_10merge_implIS3_NS0_12zip_iteratorINS5_IJN6thrust23THRUST_200600_302600_NS6detail15normal_iteratorINSC_10device_ptrIKtEEEESI_EEEEESK_NSA_INS5_IJNSC_16discard_iteratorINSC_11use_defaultEEESN_EEEEEPS7_SQ_SQ_NSC_11hip_rocprim7__merge17predicate_wrapperIttNSC_4lessItEEEEEE10hipError_tPvRmT0_T1_T2_T3_T4_T5_mmT6_P12ihipStream_tbEUlT_E0_NS1_11comp_targetILNS1_3genE10ELNS1_11target_archE1200ELNS1_3gpuE4ELNS1_3repE0EEENS1_30default_config_static_selectorELNS0_4arch9wavefront6targetE0EEEvS11_ ; -- Begin function _ZN7rocprim17ROCPRIM_400000_NS6detail17trampoline_kernelINS0_14default_configENS1_21merge_config_selectorINS0_5tupleIJttEEENS0_10empty_typeEEEZNS1_10merge_implIS3_NS0_12zip_iteratorINS5_IJN6thrust23THRUST_200600_302600_NS6detail15normal_iteratorINSC_10device_ptrIKtEEEESI_EEEEESK_NSA_INS5_IJNSC_16discard_iteratorINSC_11use_defaultEEESN_EEEEEPS7_SQ_SQ_NSC_11hip_rocprim7__merge17predicate_wrapperIttNSC_4lessItEEEEEE10hipError_tPvRmT0_T1_T2_T3_T4_T5_mmT6_P12ihipStream_tbEUlT_E0_NS1_11comp_targetILNS1_3genE10ELNS1_11target_archE1200ELNS1_3gpuE4ELNS1_3repE0EEENS1_30default_config_static_selectorELNS0_4arch9wavefront6targetE0EEEvS11_
	.globl	_ZN7rocprim17ROCPRIM_400000_NS6detail17trampoline_kernelINS0_14default_configENS1_21merge_config_selectorINS0_5tupleIJttEEENS0_10empty_typeEEEZNS1_10merge_implIS3_NS0_12zip_iteratorINS5_IJN6thrust23THRUST_200600_302600_NS6detail15normal_iteratorINSC_10device_ptrIKtEEEESI_EEEEESK_NSA_INS5_IJNSC_16discard_iteratorINSC_11use_defaultEEESN_EEEEEPS7_SQ_SQ_NSC_11hip_rocprim7__merge17predicate_wrapperIttNSC_4lessItEEEEEE10hipError_tPvRmT0_T1_T2_T3_T4_T5_mmT6_P12ihipStream_tbEUlT_E0_NS1_11comp_targetILNS1_3genE10ELNS1_11target_archE1200ELNS1_3gpuE4ELNS1_3repE0EEENS1_30default_config_static_selectorELNS0_4arch9wavefront6targetE0EEEvS11_
	.p2align	8
	.type	_ZN7rocprim17ROCPRIM_400000_NS6detail17trampoline_kernelINS0_14default_configENS1_21merge_config_selectorINS0_5tupleIJttEEENS0_10empty_typeEEEZNS1_10merge_implIS3_NS0_12zip_iteratorINS5_IJN6thrust23THRUST_200600_302600_NS6detail15normal_iteratorINSC_10device_ptrIKtEEEESI_EEEEESK_NSA_INS5_IJNSC_16discard_iteratorINSC_11use_defaultEEESN_EEEEEPS7_SQ_SQ_NSC_11hip_rocprim7__merge17predicate_wrapperIttNSC_4lessItEEEEEE10hipError_tPvRmT0_T1_T2_T3_T4_T5_mmT6_P12ihipStream_tbEUlT_E0_NS1_11comp_targetILNS1_3genE10ELNS1_11target_archE1200ELNS1_3gpuE4ELNS1_3repE0EEENS1_30default_config_static_selectorELNS0_4arch9wavefront6targetE0EEEvS11_,@function
_ZN7rocprim17ROCPRIM_400000_NS6detail17trampoline_kernelINS0_14default_configENS1_21merge_config_selectorINS0_5tupleIJttEEENS0_10empty_typeEEEZNS1_10merge_implIS3_NS0_12zip_iteratorINS5_IJN6thrust23THRUST_200600_302600_NS6detail15normal_iteratorINSC_10device_ptrIKtEEEESI_EEEEESK_NSA_INS5_IJNSC_16discard_iteratorINSC_11use_defaultEEESN_EEEEEPS7_SQ_SQ_NSC_11hip_rocprim7__merge17predicate_wrapperIttNSC_4lessItEEEEEE10hipError_tPvRmT0_T1_T2_T3_T4_T5_mmT6_P12ihipStream_tbEUlT_E0_NS1_11comp_targetILNS1_3genE10ELNS1_11target_archE1200ELNS1_3gpuE4ELNS1_3repE0EEENS1_30default_config_static_selectorELNS0_4arch9wavefront6targetE0EEEvS11_: ; @_ZN7rocprim17ROCPRIM_400000_NS6detail17trampoline_kernelINS0_14default_configENS1_21merge_config_selectorINS0_5tupleIJttEEENS0_10empty_typeEEEZNS1_10merge_implIS3_NS0_12zip_iteratorINS5_IJN6thrust23THRUST_200600_302600_NS6detail15normal_iteratorINSC_10device_ptrIKtEEEESI_EEEEESK_NSA_INS5_IJNSC_16discard_iteratorINSC_11use_defaultEEESN_EEEEEPS7_SQ_SQ_NSC_11hip_rocprim7__merge17predicate_wrapperIttNSC_4lessItEEEEEE10hipError_tPvRmT0_T1_T2_T3_T4_T5_mmT6_P12ihipStream_tbEUlT_E0_NS1_11comp_targetILNS1_3genE10ELNS1_11target_archE1200ELNS1_3gpuE4ELNS1_3repE0EEENS1_30default_config_static_selectorELNS0_4arch9wavefront6targetE0EEEvS11_
; %bb.0:
	.section	.rodata,"a",@progbits
	.p2align	6, 0x0
	.amdhsa_kernel _ZN7rocprim17ROCPRIM_400000_NS6detail17trampoline_kernelINS0_14default_configENS1_21merge_config_selectorINS0_5tupleIJttEEENS0_10empty_typeEEEZNS1_10merge_implIS3_NS0_12zip_iteratorINS5_IJN6thrust23THRUST_200600_302600_NS6detail15normal_iteratorINSC_10device_ptrIKtEEEESI_EEEEESK_NSA_INS5_IJNSC_16discard_iteratorINSC_11use_defaultEEESN_EEEEEPS7_SQ_SQ_NSC_11hip_rocprim7__merge17predicate_wrapperIttNSC_4lessItEEEEEE10hipError_tPvRmT0_T1_T2_T3_T4_T5_mmT6_P12ihipStream_tbEUlT_E0_NS1_11comp_targetILNS1_3genE10ELNS1_11target_archE1200ELNS1_3gpuE4ELNS1_3repE0EEENS1_30default_config_static_selectorELNS0_4arch9wavefront6targetE0EEEvS11_
		.amdhsa_group_segment_fixed_size 0
		.amdhsa_private_segment_fixed_size 0
		.amdhsa_kernarg_size 128
		.amdhsa_user_sgpr_count 2
		.amdhsa_user_sgpr_dispatch_ptr 0
		.amdhsa_user_sgpr_queue_ptr 0
		.amdhsa_user_sgpr_kernarg_segment_ptr 1
		.amdhsa_user_sgpr_dispatch_id 0
		.amdhsa_user_sgpr_kernarg_preload_length 0
		.amdhsa_user_sgpr_kernarg_preload_offset 0
		.amdhsa_user_sgpr_private_segment_size 0
		.amdhsa_wavefront_size32 1
		.amdhsa_uses_dynamic_stack 0
		.amdhsa_enable_private_segment 0
		.amdhsa_system_sgpr_workgroup_id_x 1
		.amdhsa_system_sgpr_workgroup_id_y 0
		.amdhsa_system_sgpr_workgroup_id_z 0
		.amdhsa_system_sgpr_workgroup_info 0
		.amdhsa_system_vgpr_workitem_id 0
		.amdhsa_next_free_vgpr 1
		.amdhsa_next_free_sgpr 1
		.amdhsa_named_barrier_count 0
		.amdhsa_reserve_vcc 0
		.amdhsa_float_round_mode_32 0
		.amdhsa_float_round_mode_16_64 0
		.amdhsa_float_denorm_mode_32 3
		.amdhsa_float_denorm_mode_16_64 3
		.amdhsa_fp16_overflow 0
		.amdhsa_memory_ordered 1
		.amdhsa_forward_progress 1
		.amdhsa_inst_pref_size 0
		.amdhsa_round_robin_scheduling 0
		.amdhsa_exception_fp_ieee_invalid_op 0
		.amdhsa_exception_fp_denorm_src 0
		.amdhsa_exception_fp_ieee_div_zero 0
		.amdhsa_exception_fp_ieee_overflow 0
		.amdhsa_exception_fp_ieee_underflow 0
		.amdhsa_exception_fp_ieee_inexact 0
		.amdhsa_exception_int_div_zero 0
	.end_amdhsa_kernel
	.section	.text._ZN7rocprim17ROCPRIM_400000_NS6detail17trampoline_kernelINS0_14default_configENS1_21merge_config_selectorINS0_5tupleIJttEEENS0_10empty_typeEEEZNS1_10merge_implIS3_NS0_12zip_iteratorINS5_IJN6thrust23THRUST_200600_302600_NS6detail15normal_iteratorINSC_10device_ptrIKtEEEESI_EEEEESK_NSA_INS5_IJNSC_16discard_iteratorINSC_11use_defaultEEESN_EEEEEPS7_SQ_SQ_NSC_11hip_rocprim7__merge17predicate_wrapperIttNSC_4lessItEEEEEE10hipError_tPvRmT0_T1_T2_T3_T4_T5_mmT6_P12ihipStream_tbEUlT_E0_NS1_11comp_targetILNS1_3genE10ELNS1_11target_archE1200ELNS1_3gpuE4ELNS1_3repE0EEENS1_30default_config_static_selectorELNS0_4arch9wavefront6targetE0EEEvS11_,"axG",@progbits,_ZN7rocprim17ROCPRIM_400000_NS6detail17trampoline_kernelINS0_14default_configENS1_21merge_config_selectorINS0_5tupleIJttEEENS0_10empty_typeEEEZNS1_10merge_implIS3_NS0_12zip_iteratorINS5_IJN6thrust23THRUST_200600_302600_NS6detail15normal_iteratorINSC_10device_ptrIKtEEEESI_EEEEESK_NSA_INS5_IJNSC_16discard_iteratorINSC_11use_defaultEEESN_EEEEEPS7_SQ_SQ_NSC_11hip_rocprim7__merge17predicate_wrapperIttNSC_4lessItEEEEEE10hipError_tPvRmT0_T1_T2_T3_T4_T5_mmT6_P12ihipStream_tbEUlT_E0_NS1_11comp_targetILNS1_3genE10ELNS1_11target_archE1200ELNS1_3gpuE4ELNS1_3repE0EEENS1_30default_config_static_selectorELNS0_4arch9wavefront6targetE0EEEvS11_,comdat
.Lfunc_end566:
	.size	_ZN7rocprim17ROCPRIM_400000_NS6detail17trampoline_kernelINS0_14default_configENS1_21merge_config_selectorINS0_5tupleIJttEEENS0_10empty_typeEEEZNS1_10merge_implIS3_NS0_12zip_iteratorINS5_IJN6thrust23THRUST_200600_302600_NS6detail15normal_iteratorINSC_10device_ptrIKtEEEESI_EEEEESK_NSA_INS5_IJNSC_16discard_iteratorINSC_11use_defaultEEESN_EEEEEPS7_SQ_SQ_NSC_11hip_rocprim7__merge17predicate_wrapperIttNSC_4lessItEEEEEE10hipError_tPvRmT0_T1_T2_T3_T4_T5_mmT6_P12ihipStream_tbEUlT_E0_NS1_11comp_targetILNS1_3genE10ELNS1_11target_archE1200ELNS1_3gpuE4ELNS1_3repE0EEENS1_30default_config_static_selectorELNS0_4arch9wavefront6targetE0EEEvS11_, .Lfunc_end566-_ZN7rocprim17ROCPRIM_400000_NS6detail17trampoline_kernelINS0_14default_configENS1_21merge_config_selectorINS0_5tupleIJttEEENS0_10empty_typeEEEZNS1_10merge_implIS3_NS0_12zip_iteratorINS5_IJN6thrust23THRUST_200600_302600_NS6detail15normal_iteratorINSC_10device_ptrIKtEEEESI_EEEEESK_NSA_INS5_IJNSC_16discard_iteratorINSC_11use_defaultEEESN_EEEEEPS7_SQ_SQ_NSC_11hip_rocprim7__merge17predicate_wrapperIttNSC_4lessItEEEEEE10hipError_tPvRmT0_T1_T2_T3_T4_T5_mmT6_P12ihipStream_tbEUlT_E0_NS1_11comp_targetILNS1_3genE10ELNS1_11target_archE1200ELNS1_3gpuE4ELNS1_3repE0EEENS1_30default_config_static_selectorELNS0_4arch9wavefront6targetE0EEEvS11_
                                        ; -- End function
	.set _ZN7rocprim17ROCPRIM_400000_NS6detail17trampoline_kernelINS0_14default_configENS1_21merge_config_selectorINS0_5tupleIJttEEENS0_10empty_typeEEEZNS1_10merge_implIS3_NS0_12zip_iteratorINS5_IJN6thrust23THRUST_200600_302600_NS6detail15normal_iteratorINSC_10device_ptrIKtEEEESI_EEEEESK_NSA_INS5_IJNSC_16discard_iteratorINSC_11use_defaultEEESN_EEEEEPS7_SQ_SQ_NSC_11hip_rocprim7__merge17predicate_wrapperIttNSC_4lessItEEEEEE10hipError_tPvRmT0_T1_T2_T3_T4_T5_mmT6_P12ihipStream_tbEUlT_E0_NS1_11comp_targetILNS1_3genE10ELNS1_11target_archE1200ELNS1_3gpuE4ELNS1_3repE0EEENS1_30default_config_static_selectorELNS0_4arch9wavefront6targetE0EEEvS11_.num_vgpr, 0
	.set _ZN7rocprim17ROCPRIM_400000_NS6detail17trampoline_kernelINS0_14default_configENS1_21merge_config_selectorINS0_5tupleIJttEEENS0_10empty_typeEEEZNS1_10merge_implIS3_NS0_12zip_iteratorINS5_IJN6thrust23THRUST_200600_302600_NS6detail15normal_iteratorINSC_10device_ptrIKtEEEESI_EEEEESK_NSA_INS5_IJNSC_16discard_iteratorINSC_11use_defaultEEESN_EEEEEPS7_SQ_SQ_NSC_11hip_rocprim7__merge17predicate_wrapperIttNSC_4lessItEEEEEE10hipError_tPvRmT0_T1_T2_T3_T4_T5_mmT6_P12ihipStream_tbEUlT_E0_NS1_11comp_targetILNS1_3genE10ELNS1_11target_archE1200ELNS1_3gpuE4ELNS1_3repE0EEENS1_30default_config_static_selectorELNS0_4arch9wavefront6targetE0EEEvS11_.num_agpr, 0
	.set _ZN7rocprim17ROCPRIM_400000_NS6detail17trampoline_kernelINS0_14default_configENS1_21merge_config_selectorINS0_5tupleIJttEEENS0_10empty_typeEEEZNS1_10merge_implIS3_NS0_12zip_iteratorINS5_IJN6thrust23THRUST_200600_302600_NS6detail15normal_iteratorINSC_10device_ptrIKtEEEESI_EEEEESK_NSA_INS5_IJNSC_16discard_iteratorINSC_11use_defaultEEESN_EEEEEPS7_SQ_SQ_NSC_11hip_rocprim7__merge17predicate_wrapperIttNSC_4lessItEEEEEE10hipError_tPvRmT0_T1_T2_T3_T4_T5_mmT6_P12ihipStream_tbEUlT_E0_NS1_11comp_targetILNS1_3genE10ELNS1_11target_archE1200ELNS1_3gpuE4ELNS1_3repE0EEENS1_30default_config_static_selectorELNS0_4arch9wavefront6targetE0EEEvS11_.numbered_sgpr, 0
	.set _ZN7rocprim17ROCPRIM_400000_NS6detail17trampoline_kernelINS0_14default_configENS1_21merge_config_selectorINS0_5tupleIJttEEENS0_10empty_typeEEEZNS1_10merge_implIS3_NS0_12zip_iteratorINS5_IJN6thrust23THRUST_200600_302600_NS6detail15normal_iteratorINSC_10device_ptrIKtEEEESI_EEEEESK_NSA_INS5_IJNSC_16discard_iteratorINSC_11use_defaultEEESN_EEEEEPS7_SQ_SQ_NSC_11hip_rocprim7__merge17predicate_wrapperIttNSC_4lessItEEEEEE10hipError_tPvRmT0_T1_T2_T3_T4_T5_mmT6_P12ihipStream_tbEUlT_E0_NS1_11comp_targetILNS1_3genE10ELNS1_11target_archE1200ELNS1_3gpuE4ELNS1_3repE0EEENS1_30default_config_static_selectorELNS0_4arch9wavefront6targetE0EEEvS11_.num_named_barrier, 0
	.set _ZN7rocprim17ROCPRIM_400000_NS6detail17trampoline_kernelINS0_14default_configENS1_21merge_config_selectorINS0_5tupleIJttEEENS0_10empty_typeEEEZNS1_10merge_implIS3_NS0_12zip_iteratorINS5_IJN6thrust23THRUST_200600_302600_NS6detail15normal_iteratorINSC_10device_ptrIKtEEEESI_EEEEESK_NSA_INS5_IJNSC_16discard_iteratorINSC_11use_defaultEEESN_EEEEEPS7_SQ_SQ_NSC_11hip_rocprim7__merge17predicate_wrapperIttNSC_4lessItEEEEEE10hipError_tPvRmT0_T1_T2_T3_T4_T5_mmT6_P12ihipStream_tbEUlT_E0_NS1_11comp_targetILNS1_3genE10ELNS1_11target_archE1200ELNS1_3gpuE4ELNS1_3repE0EEENS1_30default_config_static_selectorELNS0_4arch9wavefront6targetE0EEEvS11_.private_seg_size, 0
	.set _ZN7rocprim17ROCPRIM_400000_NS6detail17trampoline_kernelINS0_14default_configENS1_21merge_config_selectorINS0_5tupleIJttEEENS0_10empty_typeEEEZNS1_10merge_implIS3_NS0_12zip_iteratorINS5_IJN6thrust23THRUST_200600_302600_NS6detail15normal_iteratorINSC_10device_ptrIKtEEEESI_EEEEESK_NSA_INS5_IJNSC_16discard_iteratorINSC_11use_defaultEEESN_EEEEEPS7_SQ_SQ_NSC_11hip_rocprim7__merge17predicate_wrapperIttNSC_4lessItEEEEEE10hipError_tPvRmT0_T1_T2_T3_T4_T5_mmT6_P12ihipStream_tbEUlT_E0_NS1_11comp_targetILNS1_3genE10ELNS1_11target_archE1200ELNS1_3gpuE4ELNS1_3repE0EEENS1_30default_config_static_selectorELNS0_4arch9wavefront6targetE0EEEvS11_.uses_vcc, 0
	.set _ZN7rocprim17ROCPRIM_400000_NS6detail17trampoline_kernelINS0_14default_configENS1_21merge_config_selectorINS0_5tupleIJttEEENS0_10empty_typeEEEZNS1_10merge_implIS3_NS0_12zip_iteratorINS5_IJN6thrust23THRUST_200600_302600_NS6detail15normal_iteratorINSC_10device_ptrIKtEEEESI_EEEEESK_NSA_INS5_IJNSC_16discard_iteratorINSC_11use_defaultEEESN_EEEEEPS7_SQ_SQ_NSC_11hip_rocprim7__merge17predicate_wrapperIttNSC_4lessItEEEEEE10hipError_tPvRmT0_T1_T2_T3_T4_T5_mmT6_P12ihipStream_tbEUlT_E0_NS1_11comp_targetILNS1_3genE10ELNS1_11target_archE1200ELNS1_3gpuE4ELNS1_3repE0EEENS1_30default_config_static_selectorELNS0_4arch9wavefront6targetE0EEEvS11_.uses_flat_scratch, 0
	.set _ZN7rocprim17ROCPRIM_400000_NS6detail17trampoline_kernelINS0_14default_configENS1_21merge_config_selectorINS0_5tupleIJttEEENS0_10empty_typeEEEZNS1_10merge_implIS3_NS0_12zip_iteratorINS5_IJN6thrust23THRUST_200600_302600_NS6detail15normal_iteratorINSC_10device_ptrIKtEEEESI_EEEEESK_NSA_INS5_IJNSC_16discard_iteratorINSC_11use_defaultEEESN_EEEEEPS7_SQ_SQ_NSC_11hip_rocprim7__merge17predicate_wrapperIttNSC_4lessItEEEEEE10hipError_tPvRmT0_T1_T2_T3_T4_T5_mmT6_P12ihipStream_tbEUlT_E0_NS1_11comp_targetILNS1_3genE10ELNS1_11target_archE1200ELNS1_3gpuE4ELNS1_3repE0EEENS1_30default_config_static_selectorELNS0_4arch9wavefront6targetE0EEEvS11_.has_dyn_sized_stack, 0
	.set _ZN7rocprim17ROCPRIM_400000_NS6detail17trampoline_kernelINS0_14default_configENS1_21merge_config_selectorINS0_5tupleIJttEEENS0_10empty_typeEEEZNS1_10merge_implIS3_NS0_12zip_iteratorINS5_IJN6thrust23THRUST_200600_302600_NS6detail15normal_iteratorINSC_10device_ptrIKtEEEESI_EEEEESK_NSA_INS5_IJNSC_16discard_iteratorINSC_11use_defaultEEESN_EEEEEPS7_SQ_SQ_NSC_11hip_rocprim7__merge17predicate_wrapperIttNSC_4lessItEEEEEE10hipError_tPvRmT0_T1_T2_T3_T4_T5_mmT6_P12ihipStream_tbEUlT_E0_NS1_11comp_targetILNS1_3genE10ELNS1_11target_archE1200ELNS1_3gpuE4ELNS1_3repE0EEENS1_30default_config_static_selectorELNS0_4arch9wavefront6targetE0EEEvS11_.has_recursion, 0
	.set _ZN7rocprim17ROCPRIM_400000_NS6detail17trampoline_kernelINS0_14default_configENS1_21merge_config_selectorINS0_5tupleIJttEEENS0_10empty_typeEEEZNS1_10merge_implIS3_NS0_12zip_iteratorINS5_IJN6thrust23THRUST_200600_302600_NS6detail15normal_iteratorINSC_10device_ptrIKtEEEESI_EEEEESK_NSA_INS5_IJNSC_16discard_iteratorINSC_11use_defaultEEESN_EEEEEPS7_SQ_SQ_NSC_11hip_rocprim7__merge17predicate_wrapperIttNSC_4lessItEEEEEE10hipError_tPvRmT0_T1_T2_T3_T4_T5_mmT6_P12ihipStream_tbEUlT_E0_NS1_11comp_targetILNS1_3genE10ELNS1_11target_archE1200ELNS1_3gpuE4ELNS1_3repE0EEENS1_30default_config_static_selectorELNS0_4arch9wavefront6targetE0EEEvS11_.has_indirect_call, 0
	.section	.AMDGPU.csdata,"",@progbits
; Kernel info:
; codeLenInByte = 0
; TotalNumSgprs: 0
; NumVgprs: 0
; ScratchSize: 0
; MemoryBound: 0
; FloatMode: 240
; IeeeMode: 1
; LDSByteSize: 0 bytes/workgroup (compile time only)
; SGPRBlocks: 0
; VGPRBlocks: 0
; NumSGPRsForWavesPerEU: 1
; NumVGPRsForWavesPerEU: 1
; NamedBarCnt: 0
; Occupancy: 16
; WaveLimiterHint : 0
; COMPUTE_PGM_RSRC2:SCRATCH_EN: 0
; COMPUTE_PGM_RSRC2:USER_SGPR: 2
; COMPUTE_PGM_RSRC2:TRAP_HANDLER: 0
; COMPUTE_PGM_RSRC2:TGID_X_EN: 1
; COMPUTE_PGM_RSRC2:TGID_Y_EN: 0
; COMPUTE_PGM_RSRC2:TGID_Z_EN: 0
; COMPUTE_PGM_RSRC2:TIDIG_COMP_CNT: 0
	.section	.text._ZN7rocprim17ROCPRIM_400000_NS6detail17trampoline_kernelINS0_14default_configENS1_21merge_config_selectorINS0_5tupleIJttEEENS0_10empty_typeEEEZNS1_10merge_implIS3_NS0_12zip_iteratorINS5_IJN6thrust23THRUST_200600_302600_NS6detail15normal_iteratorINSC_10device_ptrIKtEEEESI_EEEEESK_NSA_INS5_IJNSC_16discard_iteratorINSC_11use_defaultEEESN_EEEEEPS7_SQ_SQ_NSC_11hip_rocprim7__merge17predicate_wrapperIttNSC_4lessItEEEEEE10hipError_tPvRmT0_T1_T2_T3_T4_T5_mmT6_P12ihipStream_tbEUlT_E0_NS1_11comp_targetILNS1_3genE9ELNS1_11target_archE1100ELNS1_3gpuE3ELNS1_3repE0EEENS1_30default_config_static_selectorELNS0_4arch9wavefront6targetE0EEEvS11_,"axG",@progbits,_ZN7rocprim17ROCPRIM_400000_NS6detail17trampoline_kernelINS0_14default_configENS1_21merge_config_selectorINS0_5tupleIJttEEENS0_10empty_typeEEEZNS1_10merge_implIS3_NS0_12zip_iteratorINS5_IJN6thrust23THRUST_200600_302600_NS6detail15normal_iteratorINSC_10device_ptrIKtEEEESI_EEEEESK_NSA_INS5_IJNSC_16discard_iteratorINSC_11use_defaultEEESN_EEEEEPS7_SQ_SQ_NSC_11hip_rocprim7__merge17predicate_wrapperIttNSC_4lessItEEEEEE10hipError_tPvRmT0_T1_T2_T3_T4_T5_mmT6_P12ihipStream_tbEUlT_E0_NS1_11comp_targetILNS1_3genE9ELNS1_11target_archE1100ELNS1_3gpuE3ELNS1_3repE0EEENS1_30default_config_static_selectorELNS0_4arch9wavefront6targetE0EEEvS11_,comdat
	.protected	_ZN7rocprim17ROCPRIM_400000_NS6detail17trampoline_kernelINS0_14default_configENS1_21merge_config_selectorINS0_5tupleIJttEEENS0_10empty_typeEEEZNS1_10merge_implIS3_NS0_12zip_iteratorINS5_IJN6thrust23THRUST_200600_302600_NS6detail15normal_iteratorINSC_10device_ptrIKtEEEESI_EEEEESK_NSA_INS5_IJNSC_16discard_iteratorINSC_11use_defaultEEESN_EEEEEPS7_SQ_SQ_NSC_11hip_rocprim7__merge17predicate_wrapperIttNSC_4lessItEEEEEE10hipError_tPvRmT0_T1_T2_T3_T4_T5_mmT6_P12ihipStream_tbEUlT_E0_NS1_11comp_targetILNS1_3genE9ELNS1_11target_archE1100ELNS1_3gpuE3ELNS1_3repE0EEENS1_30default_config_static_selectorELNS0_4arch9wavefront6targetE0EEEvS11_ ; -- Begin function _ZN7rocprim17ROCPRIM_400000_NS6detail17trampoline_kernelINS0_14default_configENS1_21merge_config_selectorINS0_5tupleIJttEEENS0_10empty_typeEEEZNS1_10merge_implIS3_NS0_12zip_iteratorINS5_IJN6thrust23THRUST_200600_302600_NS6detail15normal_iteratorINSC_10device_ptrIKtEEEESI_EEEEESK_NSA_INS5_IJNSC_16discard_iteratorINSC_11use_defaultEEESN_EEEEEPS7_SQ_SQ_NSC_11hip_rocprim7__merge17predicate_wrapperIttNSC_4lessItEEEEEE10hipError_tPvRmT0_T1_T2_T3_T4_T5_mmT6_P12ihipStream_tbEUlT_E0_NS1_11comp_targetILNS1_3genE9ELNS1_11target_archE1100ELNS1_3gpuE3ELNS1_3repE0EEENS1_30default_config_static_selectorELNS0_4arch9wavefront6targetE0EEEvS11_
	.globl	_ZN7rocprim17ROCPRIM_400000_NS6detail17trampoline_kernelINS0_14default_configENS1_21merge_config_selectorINS0_5tupleIJttEEENS0_10empty_typeEEEZNS1_10merge_implIS3_NS0_12zip_iteratorINS5_IJN6thrust23THRUST_200600_302600_NS6detail15normal_iteratorINSC_10device_ptrIKtEEEESI_EEEEESK_NSA_INS5_IJNSC_16discard_iteratorINSC_11use_defaultEEESN_EEEEEPS7_SQ_SQ_NSC_11hip_rocprim7__merge17predicate_wrapperIttNSC_4lessItEEEEEE10hipError_tPvRmT0_T1_T2_T3_T4_T5_mmT6_P12ihipStream_tbEUlT_E0_NS1_11comp_targetILNS1_3genE9ELNS1_11target_archE1100ELNS1_3gpuE3ELNS1_3repE0EEENS1_30default_config_static_selectorELNS0_4arch9wavefront6targetE0EEEvS11_
	.p2align	8
	.type	_ZN7rocprim17ROCPRIM_400000_NS6detail17trampoline_kernelINS0_14default_configENS1_21merge_config_selectorINS0_5tupleIJttEEENS0_10empty_typeEEEZNS1_10merge_implIS3_NS0_12zip_iteratorINS5_IJN6thrust23THRUST_200600_302600_NS6detail15normal_iteratorINSC_10device_ptrIKtEEEESI_EEEEESK_NSA_INS5_IJNSC_16discard_iteratorINSC_11use_defaultEEESN_EEEEEPS7_SQ_SQ_NSC_11hip_rocprim7__merge17predicate_wrapperIttNSC_4lessItEEEEEE10hipError_tPvRmT0_T1_T2_T3_T4_T5_mmT6_P12ihipStream_tbEUlT_E0_NS1_11comp_targetILNS1_3genE9ELNS1_11target_archE1100ELNS1_3gpuE3ELNS1_3repE0EEENS1_30default_config_static_selectorELNS0_4arch9wavefront6targetE0EEEvS11_,@function
_ZN7rocprim17ROCPRIM_400000_NS6detail17trampoline_kernelINS0_14default_configENS1_21merge_config_selectorINS0_5tupleIJttEEENS0_10empty_typeEEEZNS1_10merge_implIS3_NS0_12zip_iteratorINS5_IJN6thrust23THRUST_200600_302600_NS6detail15normal_iteratorINSC_10device_ptrIKtEEEESI_EEEEESK_NSA_INS5_IJNSC_16discard_iteratorINSC_11use_defaultEEESN_EEEEEPS7_SQ_SQ_NSC_11hip_rocprim7__merge17predicate_wrapperIttNSC_4lessItEEEEEE10hipError_tPvRmT0_T1_T2_T3_T4_T5_mmT6_P12ihipStream_tbEUlT_E0_NS1_11comp_targetILNS1_3genE9ELNS1_11target_archE1100ELNS1_3gpuE3ELNS1_3repE0EEENS1_30default_config_static_selectorELNS0_4arch9wavefront6targetE0EEEvS11_: ; @_ZN7rocprim17ROCPRIM_400000_NS6detail17trampoline_kernelINS0_14default_configENS1_21merge_config_selectorINS0_5tupleIJttEEENS0_10empty_typeEEEZNS1_10merge_implIS3_NS0_12zip_iteratorINS5_IJN6thrust23THRUST_200600_302600_NS6detail15normal_iteratorINSC_10device_ptrIKtEEEESI_EEEEESK_NSA_INS5_IJNSC_16discard_iteratorINSC_11use_defaultEEESN_EEEEEPS7_SQ_SQ_NSC_11hip_rocprim7__merge17predicate_wrapperIttNSC_4lessItEEEEEE10hipError_tPvRmT0_T1_T2_T3_T4_T5_mmT6_P12ihipStream_tbEUlT_E0_NS1_11comp_targetILNS1_3genE9ELNS1_11target_archE1100ELNS1_3gpuE3ELNS1_3repE0EEENS1_30default_config_static_selectorELNS0_4arch9wavefront6targetE0EEEvS11_
; %bb.0:
	.section	.rodata,"a",@progbits
	.p2align	6, 0x0
	.amdhsa_kernel _ZN7rocprim17ROCPRIM_400000_NS6detail17trampoline_kernelINS0_14default_configENS1_21merge_config_selectorINS0_5tupleIJttEEENS0_10empty_typeEEEZNS1_10merge_implIS3_NS0_12zip_iteratorINS5_IJN6thrust23THRUST_200600_302600_NS6detail15normal_iteratorINSC_10device_ptrIKtEEEESI_EEEEESK_NSA_INS5_IJNSC_16discard_iteratorINSC_11use_defaultEEESN_EEEEEPS7_SQ_SQ_NSC_11hip_rocprim7__merge17predicate_wrapperIttNSC_4lessItEEEEEE10hipError_tPvRmT0_T1_T2_T3_T4_T5_mmT6_P12ihipStream_tbEUlT_E0_NS1_11comp_targetILNS1_3genE9ELNS1_11target_archE1100ELNS1_3gpuE3ELNS1_3repE0EEENS1_30default_config_static_selectorELNS0_4arch9wavefront6targetE0EEEvS11_
		.amdhsa_group_segment_fixed_size 0
		.amdhsa_private_segment_fixed_size 0
		.amdhsa_kernarg_size 128
		.amdhsa_user_sgpr_count 2
		.amdhsa_user_sgpr_dispatch_ptr 0
		.amdhsa_user_sgpr_queue_ptr 0
		.amdhsa_user_sgpr_kernarg_segment_ptr 1
		.amdhsa_user_sgpr_dispatch_id 0
		.amdhsa_user_sgpr_kernarg_preload_length 0
		.amdhsa_user_sgpr_kernarg_preload_offset 0
		.amdhsa_user_sgpr_private_segment_size 0
		.amdhsa_wavefront_size32 1
		.amdhsa_uses_dynamic_stack 0
		.amdhsa_enable_private_segment 0
		.amdhsa_system_sgpr_workgroup_id_x 1
		.amdhsa_system_sgpr_workgroup_id_y 0
		.amdhsa_system_sgpr_workgroup_id_z 0
		.amdhsa_system_sgpr_workgroup_info 0
		.amdhsa_system_vgpr_workitem_id 0
		.amdhsa_next_free_vgpr 1
		.amdhsa_next_free_sgpr 1
		.amdhsa_named_barrier_count 0
		.amdhsa_reserve_vcc 0
		.amdhsa_float_round_mode_32 0
		.amdhsa_float_round_mode_16_64 0
		.amdhsa_float_denorm_mode_32 3
		.amdhsa_float_denorm_mode_16_64 3
		.amdhsa_fp16_overflow 0
		.amdhsa_memory_ordered 1
		.amdhsa_forward_progress 1
		.amdhsa_inst_pref_size 0
		.amdhsa_round_robin_scheduling 0
		.amdhsa_exception_fp_ieee_invalid_op 0
		.amdhsa_exception_fp_denorm_src 0
		.amdhsa_exception_fp_ieee_div_zero 0
		.amdhsa_exception_fp_ieee_overflow 0
		.amdhsa_exception_fp_ieee_underflow 0
		.amdhsa_exception_fp_ieee_inexact 0
		.amdhsa_exception_int_div_zero 0
	.end_amdhsa_kernel
	.section	.text._ZN7rocprim17ROCPRIM_400000_NS6detail17trampoline_kernelINS0_14default_configENS1_21merge_config_selectorINS0_5tupleIJttEEENS0_10empty_typeEEEZNS1_10merge_implIS3_NS0_12zip_iteratorINS5_IJN6thrust23THRUST_200600_302600_NS6detail15normal_iteratorINSC_10device_ptrIKtEEEESI_EEEEESK_NSA_INS5_IJNSC_16discard_iteratorINSC_11use_defaultEEESN_EEEEEPS7_SQ_SQ_NSC_11hip_rocprim7__merge17predicate_wrapperIttNSC_4lessItEEEEEE10hipError_tPvRmT0_T1_T2_T3_T4_T5_mmT6_P12ihipStream_tbEUlT_E0_NS1_11comp_targetILNS1_3genE9ELNS1_11target_archE1100ELNS1_3gpuE3ELNS1_3repE0EEENS1_30default_config_static_selectorELNS0_4arch9wavefront6targetE0EEEvS11_,"axG",@progbits,_ZN7rocprim17ROCPRIM_400000_NS6detail17trampoline_kernelINS0_14default_configENS1_21merge_config_selectorINS0_5tupleIJttEEENS0_10empty_typeEEEZNS1_10merge_implIS3_NS0_12zip_iteratorINS5_IJN6thrust23THRUST_200600_302600_NS6detail15normal_iteratorINSC_10device_ptrIKtEEEESI_EEEEESK_NSA_INS5_IJNSC_16discard_iteratorINSC_11use_defaultEEESN_EEEEEPS7_SQ_SQ_NSC_11hip_rocprim7__merge17predicate_wrapperIttNSC_4lessItEEEEEE10hipError_tPvRmT0_T1_T2_T3_T4_T5_mmT6_P12ihipStream_tbEUlT_E0_NS1_11comp_targetILNS1_3genE9ELNS1_11target_archE1100ELNS1_3gpuE3ELNS1_3repE0EEENS1_30default_config_static_selectorELNS0_4arch9wavefront6targetE0EEEvS11_,comdat
.Lfunc_end567:
	.size	_ZN7rocprim17ROCPRIM_400000_NS6detail17trampoline_kernelINS0_14default_configENS1_21merge_config_selectorINS0_5tupleIJttEEENS0_10empty_typeEEEZNS1_10merge_implIS3_NS0_12zip_iteratorINS5_IJN6thrust23THRUST_200600_302600_NS6detail15normal_iteratorINSC_10device_ptrIKtEEEESI_EEEEESK_NSA_INS5_IJNSC_16discard_iteratorINSC_11use_defaultEEESN_EEEEEPS7_SQ_SQ_NSC_11hip_rocprim7__merge17predicate_wrapperIttNSC_4lessItEEEEEE10hipError_tPvRmT0_T1_T2_T3_T4_T5_mmT6_P12ihipStream_tbEUlT_E0_NS1_11comp_targetILNS1_3genE9ELNS1_11target_archE1100ELNS1_3gpuE3ELNS1_3repE0EEENS1_30default_config_static_selectorELNS0_4arch9wavefront6targetE0EEEvS11_, .Lfunc_end567-_ZN7rocprim17ROCPRIM_400000_NS6detail17trampoline_kernelINS0_14default_configENS1_21merge_config_selectorINS0_5tupleIJttEEENS0_10empty_typeEEEZNS1_10merge_implIS3_NS0_12zip_iteratorINS5_IJN6thrust23THRUST_200600_302600_NS6detail15normal_iteratorINSC_10device_ptrIKtEEEESI_EEEEESK_NSA_INS5_IJNSC_16discard_iteratorINSC_11use_defaultEEESN_EEEEEPS7_SQ_SQ_NSC_11hip_rocprim7__merge17predicate_wrapperIttNSC_4lessItEEEEEE10hipError_tPvRmT0_T1_T2_T3_T4_T5_mmT6_P12ihipStream_tbEUlT_E0_NS1_11comp_targetILNS1_3genE9ELNS1_11target_archE1100ELNS1_3gpuE3ELNS1_3repE0EEENS1_30default_config_static_selectorELNS0_4arch9wavefront6targetE0EEEvS11_
                                        ; -- End function
	.set _ZN7rocprim17ROCPRIM_400000_NS6detail17trampoline_kernelINS0_14default_configENS1_21merge_config_selectorINS0_5tupleIJttEEENS0_10empty_typeEEEZNS1_10merge_implIS3_NS0_12zip_iteratorINS5_IJN6thrust23THRUST_200600_302600_NS6detail15normal_iteratorINSC_10device_ptrIKtEEEESI_EEEEESK_NSA_INS5_IJNSC_16discard_iteratorINSC_11use_defaultEEESN_EEEEEPS7_SQ_SQ_NSC_11hip_rocprim7__merge17predicate_wrapperIttNSC_4lessItEEEEEE10hipError_tPvRmT0_T1_T2_T3_T4_T5_mmT6_P12ihipStream_tbEUlT_E0_NS1_11comp_targetILNS1_3genE9ELNS1_11target_archE1100ELNS1_3gpuE3ELNS1_3repE0EEENS1_30default_config_static_selectorELNS0_4arch9wavefront6targetE0EEEvS11_.num_vgpr, 0
	.set _ZN7rocprim17ROCPRIM_400000_NS6detail17trampoline_kernelINS0_14default_configENS1_21merge_config_selectorINS0_5tupleIJttEEENS0_10empty_typeEEEZNS1_10merge_implIS3_NS0_12zip_iteratorINS5_IJN6thrust23THRUST_200600_302600_NS6detail15normal_iteratorINSC_10device_ptrIKtEEEESI_EEEEESK_NSA_INS5_IJNSC_16discard_iteratorINSC_11use_defaultEEESN_EEEEEPS7_SQ_SQ_NSC_11hip_rocprim7__merge17predicate_wrapperIttNSC_4lessItEEEEEE10hipError_tPvRmT0_T1_T2_T3_T4_T5_mmT6_P12ihipStream_tbEUlT_E0_NS1_11comp_targetILNS1_3genE9ELNS1_11target_archE1100ELNS1_3gpuE3ELNS1_3repE0EEENS1_30default_config_static_selectorELNS0_4arch9wavefront6targetE0EEEvS11_.num_agpr, 0
	.set _ZN7rocprim17ROCPRIM_400000_NS6detail17trampoline_kernelINS0_14default_configENS1_21merge_config_selectorINS0_5tupleIJttEEENS0_10empty_typeEEEZNS1_10merge_implIS3_NS0_12zip_iteratorINS5_IJN6thrust23THRUST_200600_302600_NS6detail15normal_iteratorINSC_10device_ptrIKtEEEESI_EEEEESK_NSA_INS5_IJNSC_16discard_iteratorINSC_11use_defaultEEESN_EEEEEPS7_SQ_SQ_NSC_11hip_rocprim7__merge17predicate_wrapperIttNSC_4lessItEEEEEE10hipError_tPvRmT0_T1_T2_T3_T4_T5_mmT6_P12ihipStream_tbEUlT_E0_NS1_11comp_targetILNS1_3genE9ELNS1_11target_archE1100ELNS1_3gpuE3ELNS1_3repE0EEENS1_30default_config_static_selectorELNS0_4arch9wavefront6targetE0EEEvS11_.numbered_sgpr, 0
	.set _ZN7rocprim17ROCPRIM_400000_NS6detail17trampoline_kernelINS0_14default_configENS1_21merge_config_selectorINS0_5tupleIJttEEENS0_10empty_typeEEEZNS1_10merge_implIS3_NS0_12zip_iteratorINS5_IJN6thrust23THRUST_200600_302600_NS6detail15normal_iteratorINSC_10device_ptrIKtEEEESI_EEEEESK_NSA_INS5_IJNSC_16discard_iteratorINSC_11use_defaultEEESN_EEEEEPS7_SQ_SQ_NSC_11hip_rocprim7__merge17predicate_wrapperIttNSC_4lessItEEEEEE10hipError_tPvRmT0_T1_T2_T3_T4_T5_mmT6_P12ihipStream_tbEUlT_E0_NS1_11comp_targetILNS1_3genE9ELNS1_11target_archE1100ELNS1_3gpuE3ELNS1_3repE0EEENS1_30default_config_static_selectorELNS0_4arch9wavefront6targetE0EEEvS11_.num_named_barrier, 0
	.set _ZN7rocprim17ROCPRIM_400000_NS6detail17trampoline_kernelINS0_14default_configENS1_21merge_config_selectorINS0_5tupleIJttEEENS0_10empty_typeEEEZNS1_10merge_implIS3_NS0_12zip_iteratorINS5_IJN6thrust23THRUST_200600_302600_NS6detail15normal_iteratorINSC_10device_ptrIKtEEEESI_EEEEESK_NSA_INS5_IJNSC_16discard_iteratorINSC_11use_defaultEEESN_EEEEEPS7_SQ_SQ_NSC_11hip_rocprim7__merge17predicate_wrapperIttNSC_4lessItEEEEEE10hipError_tPvRmT0_T1_T2_T3_T4_T5_mmT6_P12ihipStream_tbEUlT_E0_NS1_11comp_targetILNS1_3genE9ELNS1_11target_archE1100ELNS1_3gpuE3ELNS1_3repE0EEENS1_30default_config_static_selectorELNS0_4arch9wavefront6targetE0EEEvS11_.private_seg_size, 0
	.set _ZN7rocprim17ROCPRIM_400000_NS6detail17trampoline_kernelINS0_14default_configENS1_21merge_config_selectorINS0_5tupleIJttEEENS0_10empty_typeEEEZNS1_10merge_implIS3_NS0_12zip_iteratorINS5_IJN6thrust23THRUST_200600_302600_NS6detail15normal_iteratorINSC_10device_ptrIKtEEEESI_EEEEESK_NSA_INS5_IJNSC_16discard_iteratorINSC_11use_defaultEEESN_EEEEEPS7_SQ_SQ_NSC_11hip_rocprim7__merge17predicate_wrapperIttNSC_4lessItEEEEEE10hipError_tPvRmT0_T1_T2_T3_T4_T5_mmT6_P12ihipStream_tbEUlT_E0_NS1_11comp_targetILNS1_3genE9ELNS1_11target_archE1100ELNS1_3gpuE3ELNS1_3repE0EEENS1_30default_config_static_selectorELNS0_4arch9wavefront6targetE0EEEvS11_.uses_vcc, 0
	.set _ZN7rocprim17ROCPRIM_400000_NS6detail17trampoline_kernelINS0_14default_configENS1_21merge_config_selectorINS0_5tupleIJttEEENS0_10empty_typeEEEZNS1_10merge_implIS3_NS0_12zip_iteratorINS5_IJN6thrust23THRUST_200600_302600_NS6detail15normal_iteratorINSC_10device_ptrIKtEEEESI_EEEEESK_NSA_INS5_IJNSC_16discard_iteratorINSC_11use_defaultEEESN_EEEEEPS7_SQ_SQ_NSC_11hip_rocprim7__merge17predicate_wrapperIttNSC_4lessItEEEEEE10hipError_tPvRmT0_T1_T2_T3_T4_T5_mmT6_P12ihipStream_tbEUlT_E0_NS1_11comp_targetILNS1_3genE9ELNS1_11target_archE1100ELNS1_3gpuE3ELNS1_3repE0EEENS1_30default_config_static_selectorELNS0_4arch9wavefront6targetE0EEEvS11_.uses_flat_scratch, 0
	.set _ZN7rocprim17ROCPRIM_400000_NS6detail17trampoline_kernelINS0_14default_configENS1_21merge_config_selectorINS0_5tupleIJttEEENS0_10empty_typeEEEZNS1_10merge_implIS3_NS0_12zip_iteratorINS5_IJN6thrust23THRUST_200600_302600_NS6detail15normal_iteratorINSC_10device_ptrIKtEEEESI_EEEEESK_NSA_INS5_IJNSC_16discard_iteratorINSC_11use_defaultEEESN_EEEEEPS7_SQ_SQ_NSC_11hip_rocprim7__merge17predicate_wrapperIttNSC_4lessItEEEEEE10hipError_tPvRmT0_T1_T2_T3_T4_T5_mmT6_P12ihipStream_tbEUlT_E0_NS1_11comp_targetILNS1_3genE9ELNS1_11target_archE1100ELNS1_3gpuE3ELNS1_3repE0EEENS1_30default_config_static_selectorELNS0_4arch9wavefront6targetE0EEEvS11_.has_dyn_sized_stack, 0
	.set _ZN7rocprim17ROCPRIM_400000_NS6detail17trampoline_kernelINS0_14default_configENS1_21merge_config_selectorINS0_5tupleIJttEEENS0_10empty_typeEEEZNS1_10merge_implIS3_NS0_12zip_iteratorINS5_IJN6thrust23THRUST_200600_302600_NS6detail15normal_iteratorINSC_10device_ptrIKtEEEESI_EEEEESK_NSA_INS5_IJNSC_16discard_iteratorINSC_11use_defaultEEESN_EEEEEPS7_SQ_SQ_NSC_11hip_rocprim7__merge17predicate_wrapperIttNSC_4lessItEEEEEE10hipError_tPvRmT0_T1_T2_T3_T4_T5_mmT6_P12ihipStream_tbEUlT_E0_NS1_11comp_targetILNS1_3genE9ELNS1_11target_archE1100ELNS1_3gpuE3ELNS1_3repE0EEENS1_30default_config_static_selectorELNS0_4arch9wavefront6targetE0EEEvS11_.has_recursion, 0
	.set _ZN7rocprim17ROCPRIM_400000_NS6detail17trampoline_kernelINS0_14default_configENS1_21merge_config_selectorINS0_5tupleIJttEEENS0_10empty_typeEEEZNS1_10merge_implIS3_NS0_12zip_iteratorINS5_IJN6thrust23THRUST_200600_302600_NS6detail15normal_iteratorINSC_10device_ptrIKtEEEESI_EEEEESK_NSA_INS5_IJNSC_16discard_iteratorINSC_11use_defaultEEESN_EEEEEPS7_SQ_SQ_NSC_11hip_rocprim7__merge17predicate_wrapperIttNSC_4lessItEEEEEE10hipError_tPvRmT0_T1_T2_T3_T4_T5_mmT6_P12ihipStream_tbEUlT_E0_NS1_11comp_targetILNS1_3genE9ELNS1_11target_archE1100ELNS1_3gpuE3ELNS1_3repE0EEENS1_30default_config_static_selectorELNS0_4arch9wavefront6targetE0EEEvS11_.has_indirect_call, 0
	.section	.AMDGPU.csdata,"",@progbits
; Kernel info:
; codeLenInByte = 0
; TotalNumSgprs: 0
; NumVgprs: 0
; ScratchSize: 0
; MemoryBound: 0
; FloatMode: 240
; IeeeMode: 1
; LDSByteSize: 0 bytes/workgroup (compile time only)
; SGPRBlocks: 0
; VGPRBlocks: 0
; NumSGPRsForWavesPerEU: 1
; NumVGPRsForWavesPerEU: 1
; NamedBarCnt: 0
; Occupancy: 16
; WaveLimiterHint : 0
; COMPUTE_PGM_RSRC2:SCRATCH_EN: 0
; COMPUTE_PGM_RSRC2:USER_SGPR: 2
; COMPUTE_PGM_RSRC2:TRAP_HANDLER: 0
; COMPUTE_PGM_RSRC2:TGID_X_EN: 1
; COMPUTE_PGM_RSRC2:TGID_Y_EN: 0
; COMPUTE_PGM_RSRC2:TGID_Z_EN: 0
; COMPUTE_PGM_RSRC2:TIDIG_COMP_CNT: 0
	.section	.text._ZN7rocprim17ROCPRIM_400000_NS6detail17trampoline_kernelINS0_14default_configENS1_21merge_config_selectorINS0_5tupleIJttEEENS0_10empty_typeEEEZNS1_10merge_implIS3_NS0_12zip_iteratorINS5_IJN6thrust23THRUST_200600_302600_NS6detail15normal_iteratorINSC_10device_ptrIKtEEEESI_EEEEESK_NSA_INS5_IJNSC_16discard_iteratorINSC_11use_defaultEEESN_EEEEEPS7_SQ_SQ_NSC_11hip_rocprim7__merge17predicate_wrapperIttNSC_4lessItEEEEEE10hipError_tPvRmT0_T1_T2_T3_T4_T5_mmT6_P12ihipStream_tbEUlT_E0_NS1_11comp_targetILNS1_3genE8ELNS1_11target_archE1030ELNS1_3gpuE2ELNS1_3repE0EEENS1_30default_config_static_selectorELNS0_4arch9wavefront6targetE0EEEvS11_,"axG",@progbits,_ZN7rocprim17ROCPRIM_400000_NS6detail17trampoline_kernelINS0_14default_configENS1_21merge_config_selectorINS0_5tupleIJttEEENS0_10empty_typeEEEZNS1_10merge_implIS3_NS0_12zip_iteratorINS5_IJN6thrust23THRUST_200600_302600_NS6detail15normal_iteratorINSC_10device_ptrIKtEEEESI_EEEEESK_NSA_INS5_IJNSC_16discard_iteratorINSC_11use_defaultEEESN_EEEEEPS7_SQ_SQ_NSC_11hip_rocprim7__merge17predicate_wrapperIttNSC_4lessItEEEEEE10hipError_tPvRmT0_T1_T2_T3_T4_T5_mmT6_P12ihipStream_tbEUlT_E0_NS1_11comp_targetILNS1_3genE8ELNS1_11target_archE1030ELNS1_3gpuE2ELNS1_3repE0EEENS1_30default_config_static_selectorELNS0_4arch9wavefront6targetE0EEEvS11_,comdat
	.protected	_ZN7rocprim17ROCPRIM_400000_NS6detail17trampoline_kernelINS0_14default_configENS1_21merge_config_selectorINS0_5tupleIJttEEENS0_10empty_typeEEEZNS1_10merge_implIS3_NS0_12zip_iteratorINS5_IJN6thrust23THRUST_200600_302600_NS6detail15normal_iteratorINSC_10device_ptrIKtEEEESI_EEEEESK_NSA_INS5_IJNSC_16discard_iteratorINSC_11use_defaultEEESN_EEEEEPS7_SQ_SQ_NSC_11hip_rocprim7__merge17predicate_wrapperIttNSC_4lessItEEEEEE10hipError_tPvRmT0_T1_T2_T3_T4_T5_mmT6_P12ihipStream_tbEUlT_E0_NS1_11comp_targetILNS1_3genE8ELNS1_11target_archE1030ELNS1_3gpuE2ELNS1_3repE0EEENS1_30default_config_static_selectorELNS0_4arch9wavefront6targetE0EEEvS11_ ; -- Begin function _ZN7rocprim17ROCPRIM_400000_NS6detail17trampoline_kernelINS0_14default_configENS1_21merge_config_selectorINS0_5tupleIJttEEENS0_10empty_typeEEEZNS1_10merge_implIS3_NS0_12zip_iteratorINS5_IJN6thrust23THRUST_200600_302600_NS6detail15normal_iteratorINSC_10device_ptrIKtEEEESI_EEEEESK_NSA_INS5_IJNSC_16discard_iteratorINSC_11use_defaultEEESN_EEEEEPS7_SQ_SQ_NSC_11hip_rocprim7__merge17predicate_wrapperIttNSC_4lessItEEEEEE10hipError_tPvRmT0_T1_T2_T3_T4_T5_mmT6_P12ihipStream_tbEUlT_E0_NS1_11comp_targetILNS1_3genE8ELNS1_11target_archE1030ELNS1_3gpuE2ELNS1_3repE0EEENS1_30default_config_static_selectorELNS0_4arch9wavefront6targetE0EEEvS11_
	.globl	_ZN7rocprim17ROCPRIM_400000_NS6detail17trampoline_kernelINS0_14default_configENS1_21merge_config_selectorINS0_5tupleIJttEEENS0_10empty_typeEEEZNS1_10merge_implIS3_NS0_12zip_iteratorINS5_IJN6thrust23THRUST_200600_302600_NS6detail15normal_iteratorINSC_10device_ptrIKtEEEESI_EEEEESK_NSA_INS5_IJNSC_16discard_iteratorINSC_11use_defaultEEESN_EEEEEPS7_SQ_SQ_NSC_11hip_rocprim7__merge17predicate_wrapperIttNSC_4lessItEEEEEE10hipError_tPvRmT0_T1_T2_T3_T4_T5_mmT6_P12ihipStream_tbEUlT_E0_NS1_11comp_targetILNS1_3genE8ELNS1_11target_archE1030ELNS1_3gpuE2ELNS1_3repE0EEENS1_30default_config_static_selectorELNS0_4arch9wavefront6targetE0EEEvS11_
	.p2align	8
	.type	_ZN7rocprim17ROCPRIM_400000_NS6detail17trampoline_kernelINS0_14default_configENS1_21merge_config_selectorINS0_5tupleIJttEEENS0_10empty_typeEEEZNS1_10merge_implIS3_NS0_12zip_iteratorINS5_IJN6thrust23THRUST_200600_302600_NS6detail15normal_iteratorINSC_10device_ptrIKtEEEESI_EEEEESK_NSA_INS5_IJNSC_16discard_iteratorINSC_11use_defaultEEESN_EEEEEPS7_SQ_SQ_NSC_11hip_rocprim7__merge17predicate_wrapperIttNSC_4lessItEEEEEE10hipError_tPvRmT0_T1_T2_T3_T4_T5_mmT6_P12ihipStream_tbEUlT_E0_NS1_11comp_targetILNS1_3genE8ELNS1_11target_archE1030ELNS1_3gpuE2ELNS1_3repE0EEENS1_30default_config_static_selectorELNS0_4arch9wavefront6targetE0EEEvS11_,@function
_ZN7rocprim17ROCPRIM_400000_NS6detail17trampoline_kernelINS0_14default_configENS1_21merge_config_selectorINS0_5tupleIJttEEENS0_10empty_typeEEEZNS1_10merge_implIS3_NS0_12zip_iteratorINS5_IJN6thrust23THRUST_200600_302600_NS6detail15normal_iteratorINSC_10device_ptrIKtEEEESI_EEEEESK_NSA_INS5_IJNSC_16discard_iteratorINSC_11use_defaultEEESN_EEEEEPS7_SQ_SQ_NSC_11hip_rocprim7__merge17predicate_wrapperIttNSC_4lessItEEEEEE10hipError_tPvRmT0_T1_T2_T3_T4_T5_mmT6_P12ihipStream_tbEUlT_E0_NS1_11comp_targetILNS1_3genE8ELNS1_11target_archE1030ELNS1_3gpuE2ELNS1_3repE0EEENS1_30default_config_static_selectorELNS0_4arch9wavefront6targetE0EEEvS11_: ; @_ZN7rocprim17ROCPRIM_400000_NS6detail17trampoline_kernelINS0_14default_configENS1_21merge_config_selectorINS0_5tupleIJttEEENS0_10empty_typeEEEZNS1_10merge_implIS3_NS0_12zip_iteratorINS5_IJN6thrust23THRUST_200600_302600_NS6detail15normal_iteratorINSC_10device_ptrIKtEEEESI_EEEEESK_NSA_INS5_IJNSC_16discard_iteratorINSC_11use_defaultEEESN_EEEEEPS7_SQ_SQ_NSC_11hip_rocprim7__merge17predicate_wrapperIttNSC_4lessItEEEEEE10hipError_tPvRmT0_T1_T2_T3_T4_T5_mmT6_P12ihipStream_tbEUlT_E0_NS1_11comp_targetILNS1_3genE8ELNS1_11target_archE1030ELNS1_3gpuE2ELNS1_3repE0EEENS1_30default_config_static_selectorELNS0_4arch9wavefront6targetE0EEEvS11_
; %bb.0:
	.section	.rodata,"a",@progbits
	.p2align	6, 0x0
	.amdhsa_kernel _ZN7rocprim17ROCPRIM_400000_NS6detail17trampoline_kernelINS0_14default_configENS1_21merge_config_selectorINS0_5tupleIJttEEENS0_10empty_typeEEEZNS1_10merge_implIS3_NS0_12zip_iteratorINS5_IJN6thrust23THRUST_200600_302600_NS6detail15normal_iteratorINSC_10device_ptrIKtEEEESI_EEEEESK_NSA_INS5_IJNSC_16discard_iteratorINSC_11use_defaultEEESN_EEEEEPS7_SQ_SQ_NSC_11hip_rocprim7__merge17predicate_wrapperIttNSC_4lessItEEEEEE10hipError_tPvRmT0_T1_T2_T3_T4_T5_mmT6_P12ihipStream_tbEUlT_E0_NS1_11comp_targetILNS1_3genE8ELNS1_11target_archE1030ELNS1_3gpuE2ELNS1_3repE0EEENS1_30default_config_static_selectorELNS0_4arch9wavefront6targetE0EEEvS11_
		.amdhsa_group_segment_fixed_size 0
		.amdhsa_private_segment_fixed_size 0
		.amdhsa_kernarg_size 128
		.amdhsa_user_sgpr_count 2
		.amdhsa_user_sgpr_dispatch_ptr 0
		.amdhsa_user_sgpr_queue_ptr 0
		.amdhsa_user_sgpr_kernarg_segment_ptr 1
		.amdhsa_user_sgpr_dispatch_id 0
		.amdhsa_user_sgpr_kernarg_preload_length 0
		.amdhsa_user_sgpr_kernarg_preload_offset 0
		.amdhsa_user_sgpr_private_segment_size 0
		.amdhsa_wavefront_size32 1
		.amdhsa_uses_dynamic_stack 0
		.amdhsa_enable_private_segment 0
		.amdhsa_system_sgpr_workgroup_id_x 1
		.amdhsa_system_sgpr_workgroup_id_y 0
		.amdhsa_system_sgpr_workgroup_id_z 0
		.amdhsa_system_sgpr_workgroup_info 0
		.amdhsa_system_vgpr_workitem_id 0
		.amdhsa_next_free_vgpr 1
		.amdhsa_next_free_sgpr 1
		.amdhsa_named_barrier_count 0
		.amdhsa_reserve_vcc 0
		.amdhsa_float_round_mode_32 0
		.amdhsa_float_round_mode_16_64 0
		.amdhsa_float_denorm_mode_32 3
		.amdhsa_float_denorm_mode_16_64 3
		.amdhsa_fp16_overflow 0
		.amdhsa_memory_ordered 1
		.amdhsa_forward_progress 1
		.amdhsa_inst_pref_size 0
		.amdhsa_round_robin_scheduling 0
		.amdhsa_exception_fp_ieee_invalid_op 0
		.amdhsa_exception_fp_denorm_src 0
		.amdhsa_exception_fp_ieee_div_zero 0
		.amdhsa_exception_fp_ieee_overflow 0
		.amdhsa_exception_fp_ieee_underflow 0
		.amdhsa_exception_fp_ieee_inexact 0
		.amdhsa_exception_int_div_zero 0
	.end_amdhsa_kernel
	.section	.text._ZN7rocprim17ROCPRIM_400000_NS6detail17trampoline_kernelINS0_14default_configENS1_21merge_config_selectorINS0_5tupleIJttEEENS0_10empty_typeEEEZNS1_10merge_implIS3_NS0_12zip_iteratorINS5_IJN6thrust23THRUST_200600_302600_NS6detail15normal_iteratorINSC_10device_ptrIKtEEEESI_EEEEESK_NSA_INS5_IJNSC_16discard_iteratorINSC_11use_defaultEEESN_EEEEEPS7_SQ_SQ_NSC_11hip_rocprim7__merge17predicate_wrapperIttNSC_4lessItEEEEEE10hipError_tPvRmT0_T1_T2_T3_T4_T5_mmT6_P12ihipStream_tbEUlT_E0_NS1_11comp_targetILNS1_3genE8ELNS1_11target_archE1030ELNS1_3gpuE2ELNS1_3repE0EEENS1_30default_config_static_selectorELNS0_4arch9wavefront6targetE0EEEvS11_,"axG",@progbits,_ZN7rocprim17ROCPRIM_400000_NS6detail17trampoline_kernelINS0_14default_configENS1_21merge_config_selectorINS0_5tupleIJttEEENS0_10empty_typeEEEZNS1_10merge_implIS3_NS0_12zip_iteratorINS5_IJN6thrust23THRUST_200600_302600_NS6detail15normal_iteratorINSC_10device_ptrIKtEEEESI_EEEEESK_NSA_INS5_IJNSC_16discard_iteratorINSC_11use_defaultEEESN_EEEEEPS7_SQ_SQ_NSC_11hip_rocprim7__merge17predicate_wrapperIttNSC_4lessItEEEEEE10hipError_tPvRmT0_T1_T2_T3_T4_T5_mmT6_P12ihipStream_tbEUlT_E0_NS1_11comp_targetILNS1_3genE8ELNS1_11target_archE1030ELNS1_3gpuE2ELNS1_3repE0EEENS1_30default_config_static_selectorELNS0_4arch9wavefront6targetE0EEEvS11_,comdat
.Lfunc_end568:
	.size	_ZN7rocprim17ROCPRIM_400000_NS6detail17trampoline_kernelINS0_14default_configENS1_21merge_config_selectorINS0_5tupleIJttEEENS0_10empty_typeEEEZNS1_10merge_implIS3_NS0_12zip_iteratorINS5_IJN6thrust23THRUST_200600_302600_NS6detail15normal_iteratorINSC_10device_ptrIKtEEEESI_EEEEESK_NSA_INS5_IJNSC_16discard_iteratorINSC_11use_defaultEEESN_EEEEEPS7_SQ_SQ_NSC_11hip_rocprim7__merge17predicate_wrapperIttNSC_4lessItEEEEEE10hipError_tPvRmT0_T1_T2_T3_T4_T5_mmT6_P12ihipStream_tbEUlT_E0_NS1_11comp_targetILNS1_3genE8ELNS1_11target_archE1030ELNS1_3gpuE2ELNS1_3repE0EEENS1_30default_config_static_selectorELNS0_4arch9wavefront6targetE0EEEvS11_, .Lfunc_end568-_ZN7rocprim17ROCPRIM_400000_NS6detail17trampoline_kernelINS0_14default_configENS1_21merge_config_selectorINS0_5tupleIJttEEENS0_10empty_typeEEEZNS1_10merge_implIS3_NS0_12zip_iteratorINS5_IJN6thrust23THRUST_200600_302600_NS6detail15normal_iteratorINSC_10device_ptrIKtEEEESI_EEEEESK_NSA_INS5_IJNSC_16discard_iteratorINSC_11use_defaultEEESN_EEEEEPS7_SQ_SQ_NSC_11hip_rocprim7__merge17predicate_wrapperIttNSC_4lessItEEEEEE10hipError_tPvRmT0_T1_T2_T3_T4_T5_mmT6_P12ihipStream_tbEUlT_E0_NS1_11comp_targetILNS1_3genE8ELNS1_11target_archE1030ELNS1_3gpuE2ELNS1_3repE0EEENS1_30default_config_static_selectorELNS0_4arch9wavefront6targetE0EEEvS11_
                                        ; -- End function
	.set _ZN7rocprim17ROCPRIM_400000_NS6detail17trampoline_kernelINS0_14default_configENS1_21merge_config_selectorINS0_5tupleIJttEEENS0_10empty_typeEEEZNS1_10merge_implIS3_NS0_12zip_iteratorINS5_IJN6thrust23THRUST_200600_302600_NS6detail15normal_iteratorINSC_10device_ptrIKtEEEESI_EEEEESK_NSA_INS5_IJNSC_16discard_iteratorINSC_11use_defaultEEESN_EEEEEPS7_SQ_SQ_NSC_11hip_rocprim7__merge17predicate_wrapperIttNSC_4lessItEEEEEE10hipError_tPvRmT0_T1_T2_T3_T4_T5_mmT6_P12ihipStream_tbEUlT_E0_NS1_11comp_targetILNS1_3genE8ELNS1_11target_archE1030ELNS1_3gpuE2ELNS1_3repE0EEENS1_30default_config_static_selectorELNS0_4arch9wavefront6targetE0EEEvS11_.num_vgpr, 0
	.set _ZN7rocprim17ROCPRIM_400000_NS6detail17trampoline_kernelINS0_14default_configENS1_21merge_config_selectorINS0_5tupleIJttEEENS0_10empty_typeEEEZNS1_10merge_implIS3_NS0_12zip_iteratorINS5_IJN6thrust23THRUST_200600_302600_NS6detail15normal_iteratorINSC_10device_ptrIKtEEEESI_EEEEESK_NSA_INS5_IJNSC_16discard_iteratorINSC_11use_defaultEEESN_EEEEEPS7_SQ_SQ_NSC_11hip_rocprim7__merge17predicate_wrapperIttNSC_4lessItEEEEEE10hipError_tPvRmT0_T1_T2_T3_T4_T5_mmT6_P12ihipStream_tbEUlT_E0_NS1_11comp_targetILNS1_3genE8ELNS1_11target_archE1030ELNS1_3gpuE2ELNS1_3repE0EEENS1_30default_config_static_selectorELNS0_4arch9wavefront6targetE0EEEvS11_.num_agpr, 0
	.set _ZN7rocprim17ROCPRIM_400000_NS6detail17trampoline_kernelINS0_14default_configENS1_21merge_config_selectorINS0_5tupleIJttEEENS0_10empty_typeEEEZNS1_10merge_implIS3_NS0_12zip_iteratorINS5_IJN6thrust23THRUST_200600_302600_NS6detail15normal_iteratorINSC_10device_ptrIKtEEEESI_EEEEESK_NSA_INS5_IJNSC_16discard_iteratorINSC_11use_defaultEEESN_EEEEEPS7_SQ_SQ_NSC_11hip_rocprim7__merge17predicate_wrapperIttNSC_4lessItEEEEEE10hipError_tPvRmT0_T1_T2_T3_T4_T5_mmT6_P12ihipStream_tbEUlT_E0_NS1_11comp_targetILNS1_3genE8ELNS1_11target_archE1030ELNS1_3gpuE2ELNS1_3repE0EEENS1_30default_config_static_selectorELNS0_4arch9wavefront6targetE0EEEvS11_.numbered_sgpr, 0
	.set _ZN7rocprim17ROCPRIM_400000_NS6detail17trampoline_kernelINS0_14default_configENS1_21merge_config_selectorINS0_5tupleIJttEEENS0_10empty_typeEEEZNS1_10merge_implIS3_NS0_12zip_iteratorINS5_IJN6thrust23THRUST_200600_302600_NS6detail15normal_iteratorINSC_10device_ptrIKtEEEESI_EEEEESK_NSA_INS5_IJNSC_16discard_iteratorINSC_11use_defaultEEESN_EEEEEPS7_SQ_SQ_NSC_11hip_rocprim7__merge17predicate_wrapperIttNSC_4lessItEEEEEE10hipError_tPvRmT0_T1_T2_T3_T4_T5_mmT6_P12ihipStream_tbEUlT_E0_NS1_11comp_targetILNS1_3genE8ELNS1_11target_archE1030ELNS1_3gpuE2ELNS1_3repE0EEENS1_30default_config_static_selectorELNS0_4arch9wavefront6targetE0EEEvS11_.num_named_barrier, 0
	.set _ZN7rocprim17ROCPRIM_400000_NS6detail17trampoline_kernelINS0_14default_configENS1_21merge_config_selectorINS0_5tupleIJttEEENS0_10empty_typeEEEZNS1_10merge_implIS3_NS0_12zip_iteratorINS5_IJN6thrust23THRUST_200600_302600_NS6detail15normal_iteratorINSC_10device_ptrIKtEEEESI_EEEEESK_NSA_INS5_IJNSC_16discard_iteratorINSC_11use_defaultEEESN_EEEEEPS7_SQ_SQ_NSC_11hip_rocprim7__merge17predicate_wrapperIttNSC_4lessItEEEEEE10hipError_tPvRmT0_T1_T2_T3_T4_T5_mmT6_P12ihipStream_tbEUlT_E0_NS1_11comp_targetILNS1_3genE8ELNS1_11target_archE1030ELNS1_3gpuE2ELNS1_3repE0EEENS1_30default_config_static_selectorELNS0_4arch9wavefront6targetE0EEEvS11_.private_seg_size, 0
	.set _ZN7rocprim17ROCPRIM_400000_NS6detail17trampoline_kernelINS0_14default_configENS1_21merge_config_selectorINS0_5tupleIJttEEENS0_10empty_typeEEEZNS1_10merge_implIS3_NS0_12zip_iteratorINS5_IJN6thrust23THRUST_200600_302600_NS6detail15normal_iteratorINSC_10device_ptrIKtEEEESI_EEEEESK_NSA_INS5_IJNSC_16discard_iteratorINSC_11use_defaultEEESN_EEEEEPS7_SQ_SQ_NSC_11hip_rocprim7__merge17predicate_wrapperIttNSC_4lessItEEEEEE10hipError_tPvRmT0_T1_T2_T3_T4_T5_mmT6_P12ihipStream_tbEUlT_E0_NS1_11comp_targetILNS1_3genE8ELNS1_11target_archE1030ELNS1_3gpuE2ELNS1_3repE0EEENS1_30default_config_static_selectorELNS0_4arch9wavefront6targetE0EEEvS11_.uses_vcc, 0
	.set _ZN7rocprim17ROCPRIM_400000_NS6detail17trampoline_kernelINS0_14default_configENS1_21merge_config_selectorINS0_5tupleIJttEEENS0_10empty_typeEEEZNS1_10merge_implIS3_NS0_12zip_iteratorINS5_IJN6thrust23THRUST_200600_302600_NS6detail15normal_iteratorINSC_10device_ptrIKtEEEESI_EEEEESK_NSA_INS5_IJNSC_16discard_iteratorINSC_11use_defaultEEESN_EEEEEPS7_SQ_SQ_NSC_11hip_rocprim7__merge17predicate_wrapperIttNSC_4lessItEEEEEE10hipError_tPvRmT0_T1_T2_T3_T4_T5_mmT6_P12ihipStream_tbEUlT_E0_NS1_11comp_targetILNS1_3genE8ELNS1_11target_archE1030ELNS1_3gpuE2ELNS1_3repE0EEENS1_30default_config_static_selectorELNS0_4arch9wavefront6targetE0EEEvS11_.uses_flat_scratch, 0
	.set _ZN7rocprim17ROCPRIM_400000_NS6detail17trampoline_kernelINS0_14default_configENS1_21merge_config_selectorINS0_5tupleIJttEEENS0_10empty_typeEEEZNS1_10merge_implIS3_NS0_12zip_iteratorINS5_IJN6thrust23THRUST_200600_302600_NS6detail15normal_iteratorINSC_10device_ptrIKtEEEESI_EEEEESK_NSA_INS5_IJNSC_16discard_iteratorINSC_11use_defaultEEESN_EEEEEPS7_SQ_SQ_NSC_11hip_rocprim7__merge17predicate_wrapperIttNSC_4lessItEEEEEE10hipError_tPvRmT0_T1_T2_T3_T4_T5_mmT6_P12ihipStream_tbEUlT_E0_NS1_11comp_targetILNS1_3genE8ELNS1_11target_archE1030ELNS1_3gpuE2ELNS1_3repE0EEENS1_30default_config_static_selectorELNS0_4arch9wavefront6targetE0EEEvS11_.has_dyn_sized_stack, 0
	.set _ZN7rocprim17ROCPRIM_400000_NS6detail17trampoline_kernelINS0_14default_configENS1_21merge_config_selectorINS0_5tupleIJttEEENS0_10empty_typeEEEZNS1_10merge_implIS3_NS0_12zip_iteratorINS5_IJN6thrust23THRUST_200600_302600_NS6detail15normal_iteratorINSC_10device_ptrIKtEEEESI_EEEEESK_NSA_INS5_IJNSC_16discard_iteratorINSC_11use_defaultEEESN_EEEEEPS7_SQ_SQ_NSC_11hip_rocprim7__merge17predicate_wrapperIttNSC_4lessItEEEEEE10hipError_tPvRmT0_T1_T2_T3_T4_T5_mmT6_P12ihipStream_tbEUlT_E0_NS1_11comp_targetILNS1_3genE8ELNS1_11target_archE1030ELNS1_3gpuE2ELNS1_3repE0EEENS1_30default_config_static_selectorELNS0_4arch9wavefront6targetE0EEEvS11_.has_recursion, 0
	.set _ZN7rocprim17ROCPRIM_400000_NS6detail17trampoline_kernelINS0_14default_configENS1_21merge_config_selectorINS0_5tupleIJttEEENS0_10empty_typeEEEZNS1_10merge_implIS3_NS0_12zip_iteratorINS5_IJN6thrust23THRUST_200600_302600_NS6detail15normal_iteratorINSC_10device_ptrIKtEEEESI_EEEEESK_NSA_INS5_IJNSC_16discard_iteratorINSC_11use_defaultEEESN_EEEEEPS7_SQ_SQ_NSC_11hip_rocprim7__merge17predicate_wrapperIttNSC_4lessItEEEEEE10hipError_tPvRmT0_T1_T2_T3_T4_T5_mmT6_P12ihipStream_tbEUlT_E0_NS1_11comp_targetILNS1_3genE8ELNS1_11target_archE1030ELNS1_3gpuE2ELNS1_3repE0EEENS1_30default_config_static_selectorELNS0_4arch9wavefront6targetE0EEEvS11_.has_indirect_call, 0
	.section	.AMDGPU.csdata,"",@progbits
; Kernel info:
; codeLenInByte = 0
; TotalNumSgprs: 0
; NumVgprs: 0
; ScratchSize: 0
; MemoryBound: 0
; FloatMode: 240
; IeeeMode: 1
; LDSByteSize: 0 bytes/workgroup (compile time only)
; SGPRBlocks: 0
; VGPRBlocks: 0
; NumSGPRsForWavesPerEU: 1
; NumVGPRsForWavesPerEU: 1
; NamedBarCnt: 0
; Occupancy: 16
; WaveLimiterHint : 0
; COMPUTE_PGM_RSRC2:SCRATCH_EN: 0
; COMPUTE_PGM_RSRC2:USER_SGPR: 2
; COMPUTE_PGM_RSRC2:TRAP_HANDLER: 0
; COMPUTE_PGM_RSRC2:TGID_X_EN: 1
; COMPUTE_PGM_RSRC2:TGID_Y_EN: 0
; COMPUTE_PGM_RSRC2:TGID_Z_EN: 0
; COMPUTE_PGM_RSRC2:TIDIG_COMP_CNT: 0
	.section	.text._ZN7rocprim17ROCPRIM_400000_NS6detail17trampoline_kernelINS0_14default_configENS1_21merge_config_selectorINS0_5tupleIJxxEEENS0_10empty_typeEEEZNS1_10merge_implIS3_NS0_12zip_iteratorINS5_IJN6thrust23THRUST_200600_302600_NS6detail15normal_iteratorINSC_10device_ptrIKxEEEESI_EEEEESK_NSA_INS5_IJNSC_16discard_iteratorINSC_11use_defaultEEESN_EEEEEPS7_SQ_SQ_NSC_11hip_rocprim7__merge17predicate_wrapperIxxNSC_4lessIxEEEEEE10hipError_tPvRmT0_T1_T2_T3_T4_T5_mmT6_P12ihipStream_tbEUlT_E_NS1_11comp_targetILNS1_3genE0ELNS1_11target_archE4294967295ELNS1_3gpuE0ELNS1_3repE0EEENS1_30default_config_static_selectorELNS0_4arch9wavefront6targetE0EEEvS11_,"axG",@progbits,_ZN7rocprim17ROCPRIM_400000_NS6detail17trampoline_kernelINS0_14default_configENS1_21merge_config_selectorINS0_5tupleIJxxEEENS0_10empty_typeEEEZNS1_10merge_implIS3_NS0_12zip_iteratorINS5_IJN6thrust23THRUST_200600_302600_NS6detail15normal_iteratorINSC_10device_ptrIKxEEEESI_EEEEESK_NSA_INS5_IJNSC_16discard_iteratorINSC_11use_defaultEEESN_EEEEEPS7_SQ_SQ_NSC_11hip_rocprim7__merge17predicate_wrapperIxxNSC_4lessIxEEEEEE10hipError_tPvRmT0_T1_T2_T3_T4_T5_mmT6_P12ihipStream_tbEUlT_E_NS1_11comp_targetILNS1_3genE0ELNS1_11target_archE4294967295ELNS1_3gpuE0ELNS1_3repE0EEENS1_30default_config_static_selectorELNS0_4arch9wavefront6targetE0EEEvS11_,comdat
	.protected	_ZN7rocprim17ROCPRIM_400000_NS6detail17trampoline_kernelINS0_14default_configENS1_21merge_config_selectorINS0_5tupleIJxxEEENS0_10empty_typeEEEZNS1_10merge_implIS3_NS0_12zip_iteratorINS5_IJN6thrust23THRUST_200600_302600_NS6detail15normal_iteratorINSC_10device_ptrIKxEEEESI_EEEEESK_NSA_INS5_IJNSC_16discard_iteratorINSC_11use_defaultEEESN_EEEEEPS7_SQ_SQ_NSC_11hip_rocprim7__merge17predicate_wrapperIxxNSC_4lessIxEEEEEE10hipError_tPvRmT0_T1_T2_T3_T4_T5_mmT6_P12ihipStream_tbEUlT_E_NS1_11comp_targetILNS1_3genE0ELNS1_11target_archE4294967295ELNS1_3gpuE0ELNS1_3repE0EEENS1_30default_config_static_selectorELNS0_4arch9wavefront6targetE0EEEvS11_ ; -- Begin function _ZN7rocprim17ROCPRIM_400000_NS6detail17trampoline_kernelINS0_14default_configENS1_21merge_config_selectorINS0_5tupleIJxxEEENS0_10empty_typeEEEZNS1_10merge_implIS3_NS0_12zip_iteratorINS5_IJN6thrust23THRUST_200600_302600_NS6detail15normal_iteratorINSC_10device_ptrIKxEEEESI_EEEEESK_NSA_INS5_IJNSC_16discard_iteratorINSC_11use_defaultEEESN_EEEEEPS7_SQ_SQ_NSC_11hip_rocprim7__merge17predicate_wrapperIxxNSC_4lessIxEEEEEE10hipError_tPvRmT0_T1_T2_T3_T4_T5_mmT6_P12ihipStream_tbEUlT_E_NS1_11comp_targetILNS1_3genE0ELNS1_11target_archE4294967295ELNS1_3gpuE0ELNS1_3repE0EEENS1_30default_config_static_selectorELNS0_4arch9wavefront6targetE0EEEvS11_
	.globl	_ZN7rocprim17ROCPRIM_400000_NS6detail17trampoline_kernelINS0_14default_configENS1_21merge_config_selectorINS0_5tupleIJxxEEENS0_10empty_typeEEEZNS1_10merge_implIS3_NS0_12zip_iteratorINS5_IJN6thrust23THRUST_200600_302600_NS6detail15normal_iteratorINSC_10device_ptrIKxEEEESI_EEEEESK_NSA_INS5_IJNSC_16discard_iteratorINSC_11use_defaultEEESN_EEEEEPS7_SQ_SQ_NSC_11hip_rocprim7__merge17predicate_wrapperIxxNSC_4lessIxEEEEEE10hipError_tPvRmT0_T1_T2_T3_T4_T5_mmT6_P12ihipStream_tbEUlT_E_NS1_11comp_targetILNS1_3genE0ELNS1_11target_archE4294967295ELNS1_3gpuE0ELNS1_3repE0EEENS1_30default_config_static_selectorELNS0_4arch9wavefront6targetE0EEEvS11_
	.p2align	8
	.type	_ZN7rocprim17ROCPRIM_400000_NS6detail17trampoline_kernelINS0_14default_configENS1_21merge_config_selectorINS0_5tupleIJxxEEENS0_10empty_typeEEEZNS1_10merge_implIS3_NS0_12zip_iteratorINS5_IJN6thrust23THRUST_200600_302600_NS6detail15normal_iteratorINSC_10device_ptrIKxEEEESI_EEEEESK_NSA_INS5_IJNSC_16discard_iteratorINSC_11use_defaultEEESN_EEEEEPS7_SQ_SQ_NSC_11hip_rocprim7__merge17predicate_wrapperIxxNSC_4lessIxEEEEEE10hipError_tPvRmT0_T1_T2_T3_T4_T5_mmT6_P12ihipStream_tbEUlT_E_NS1_11comp_targetILNS1_3genE0ELNS1_11target_archE4294967295ELNS1_3gpuE0ELNS1_3repE0EEENS1_30default_config_static_selectorELNS0_4arch9wavefront6targetE0EEEvS11_,@function
_ZN7rocprim17ROCPRIM_400000_NS6detail17trampoline_kernelINS0_14default_configENS1_21merge_config_selectorINS0_5tupleIJxxEEENS0_10empty_typeEEEZNS1_10merge_implIS3_NS0_12zip_iteratorINS5_IJN6thrust23THRUST_200600_302600_NS6detail15normal_iteratorINSC_10device_ptrIKxEEEESI_EEEEESK_NSA_INS5_IJNSC_16discard_iteratorINSC_11use_defaultEEESN_EEEEEPS7_SQ_SQ_NSC_11hip_rocprim7__merge17predicate_wrapperIxxNSC_4lessIxEEEEEE10hipError_tPvRmT0_T1_T2_T3_T4_T5_mmT6_P12ihipStream_tbEUlT_E_NS1_11comp_targetILNS1_3genE0ELNS1_11target_archE4294967295ELNS1_3gpuE0ELNS1_3repE0EEENS1_30default_config_static_selectorELNS0_4arch9wavefront6targetE0EEEvS11_: ; @_ZN7rocprim17ROCPRIM_400000_NS6detail17trampoline_kernelINS0_14default_configENS1_21merge_config_selectorINS0_5tupleIJxxEEENS0_10empty_typeEEEZNS1_10merge_implIS3_NS0_12zip_iteratorINS5_IJN6thrust23THRUST_200600_302600_NS6detail15normal_iteratorINSC_10device_ptrIKxEEEESI_EEEEESK_NSA_INS5_IJNSC_16discard_iteratorINSC_11use_defaultEEESN_EEEEEPS7_SQ_SQ_NSC_11hip_rocprim7__merge17predicate_wrapperIxxNSC_4lessIxEEEEEE10hipError_tPvRmT0_T1_T2_T3_T4_T5_mmT6_P12ihipStream_tbEUlT_E_NS1_11comp_targetILNS1_3genE0ELNS1_11target_archE4294967295ELNS1_3gpuE0ELNS1_3repE0EEENS1_30default_config_static_selectorELNS0_4arch9wavefront6targetE0EEEvS11_
; %bb.0:
	s_clause 0x2
	s_load_b32 s4, s[0:1], 0x38
	s_load_b32 s2, s[0:1], 0x4c
	s_load_b128 s[8:11], s[0:1], 0x28
	s_getreg_b32 s7, hwreg(HW_REG_IB_STS2, 6, 4)
	s_wait_kmcnt 0x0
	s_cvt_f32_u32 s3, s4
	s_and_b32 s6, s2, 0xffff
	s_and_b32 s2, ttmp6, 15
	s_delay_alu instid0(SALU_CYCLE_1) | instskip(SKIP_1) | instid1(SALU_CYCLE_1)
	v_rcp_iflag_f32_e32 v1, s3
	s_bfe_u32 s3, ttmp6, 0x4000c
	s_add_co_i32 s3, s3, 1
	s_delay_alu instid0(SALU_CYCLE_1) | instskip(NEXT) | instid1(SALU_CYCLE_1)
	s_mul_i32 s3, ttmp9, s3
	s_add_co_i32 s2, s2, s3
	v_nop
	s_delay_alu instid0(TRANS32_DEP_1)
	v_readfirstlane_b32 s5, v1
	s_cmp_eq_u32 s7, 0
	s_cselect_b32 s7, ttmp9, s2
	s_sub_co_i32 s12, 0, s4
	s_mul_f32 s5, s5, 0x4f7ffffe
	s_add_nc_u64 s[2:3], s[10:11], s[8:9]
	v_mad_u32 v6, s7, s6, v0
	s_add_co_i32 s13, s4, s2
	s_cvt_u32_f32 s5, s5
	s_add_co_i32 s13, s13, -1
	s_delay_alu instid0(SALU_CYCLE_2) | instskip(NEXT) | instid1(SALU_CYCLE_1)
	s_mul_i32 s12, s12, s5
	s_mul_hi_u32 s12, s5, s12
	s_delay_alu instid0(SALU_CYCLE_1) | instskip(NEXT) | instid1(SALU_CYCLE_1)
	s_add_co_i32 s5, s5, s12
	s_mul_hi_u32 s5, s13, s5
	s_delay_alu instid0(SALU_CYCLE_1) | instskip(SKIP_2) | instid1(SALU_CYCLE_1)
	s_mul_i32 s12, s5, s4
	s_add_co_i32 s7, s5, 1
	s_sub_co_i32 s6, s13, s12
	s_sub_co_i32 s12, s6, s4
	s_cmp_ge_u32 s6, s4
	s_cselect_b32 s5, s7, s5
	s_cselect_b32 s6, s12, s6
	s_add_co_i32 s7, s5, 1
	s_cmp_ge_u32 s6, s4
	s_cselect_b32 s5, s7, s5
	s_delay_alu instid0(SALU_CYCLE_1)
	v_cmp_ge_u32_e32 vcc_lo, s5, v6
	s_and_saveexec_b32 s5, vcc_lo
	s_cbranch_execz .LBB569_6
; %bb.1:
	v_mul_lo_u32 v0, v6, s4
	v_mov_b32_e32 v1, 0
	s_load_b128 s[4:7], s[0:1], 0x0
	s_delay_alu instid0(VALU_DEP_1) | instskip(SKIP_1) | instid1(VALU_DEP_1)
	v_min_u64 v[4:5], v[0:1], s[2:3]
	s_mov_b32 s2, exec_lo
	v_max_u64 v[0:1], v[4:5], s[10:11]
	v_min_u64 v[2:3], v[4:5], s[8:9]
	s_delay_alu instid0(VALU_DEP_2) | instskip(NEXT) | instid1(VALU_DEP_1)
	v_sub_nc_u64_e64 v[0:1], v[0:1], s[10:11]
	v_cmpx_lt_u64_e64 v[0:1], v[2:3]
	s_cbranch_execz .LBB569_5
; %bb.2:
	s_wait_xcnt 0x0
	s_load_b64 s[0:1], s[0:1], 0x18
	s_wait_kmcnt 0x0
	v_lshl_add_u64 v[4:5], v[4:5], 3, s[0:1]
	s_mov_b32 s0, 0
.LBB569_3:                              ; =>This Inner Loop Header: Depth=1
	v_add_nc_u64_e32 v[8:9], v[2:3], v[0:1]
	s_delay_alu instid0(VALU_DEP_1) | instskip(NEXT) | instid1(VALU_DEP_1)
	v_lshrrev_b64 v[8:9], 1, v[8:9]
	v_lshlrev_b64_e32 v[10:11], 3, v[8:9]
	s_delay_alu instid0(VALU_DEP_1) | instskip(NEXT) | instid1(VALU_DEP_2)
	v_xor_b32_e32 v13, -1, v11
	v_xor_b32_e32 v12, -8, v10
	v_add_nc_u64_e32 v[10:11], s[6:7], v[10:11]
	s_delay_alu instid0(VALU_DEP_2)
	v_add_nc_u64_e32 v[12:13], v[4:5], v[12:13]
	global_load_b64 v[14:15], v[10:11], off
	global_load_b64 v[16:17], v[12:13], off
	s_wait_xcnt 0x1
	v_add_nc_u64_e32 v[10:11], 1, v[8:9]
	s_wait_loadcnt 0x0
	v_cmp_lt_i64_e32 vcc_lo, v[16:17], v[14:15]
	v_dual_cndmask_b32 v3, v3, v9 :: v_dual_cndmask_b32 v2, v2, v8
	s_delay_alu instid0(VALU_DEP_3) | instskip(NEXT) | instid1(VALU_DEP_1)
	v_dual_cndmask_b32 v1, v11, v1 :: v_dual_cndmask_b32 v0, v10, v0
	v_cmp_ge_u64_e32 vcc_lo, v[0:1], v[2:3]
	s_or_b32 s0, vcc_lo, s0
	s_delay_alu instid0(SALU_CYCLE_1)
	s_and_not1_b32 exec_lo, exec_lo, s0
	s_cbranch_execnz .LBB569_3
; %bb.4:
	s_or_b32 exec_lo, exec_lo, s0
.LBB569_5:
	s_delay_alu instid0(SALU_CYCLE_1)
	s_or_b32 exec_lo, exec_lo, s2
	s_wait_kmcnt 0x0
	global_store_b32 v6, v0, s[4:5] scale_offset
.LBB569_6:
	s_endpgm
	.section	.rodata,"a",@progbits
	.p2align	6, 0x0
	.amdhsa_kernel _ZN7rocprim17ROCPRIM_400000_NS6detail17trampoline_kernelINS0_14default_configENS1_21merge_config_selectorINS0_5tupleIJxxEEENS0_10empty_typeEEEZNS1_10merge_implIS3_NS0_12zip_iteratorINS5_IJN6thrust23THRUST_200600_302600_NS6detail15normal_iteratorINSC_10device_ptrIKxEEEESI_EEEEESK_NSA_INS5_IJNSC_16discard_iteratorINSC_11use_defaultEEESN_EEEEEPS7_SQ_SQ_NSC_11hip_rocprim7__merge17predicate_wrapperIxxNSC_4lessIxEEEEEE10hipError_tPvRmT0_T1_T2_T3_T4_T5_mmT6_P12ihipStream_tbEUlT_E_NS1_11comp_targetILNS1_3genE0ELNS1_11target_archE4294967295ELNS1_3gpuE0ELNS1_3repE0EEENS1_30default_config_static_selectorELNS0_4arch9wavefront6targetE0EEEvS11_
		.amdhsa_group_segment_fixed_size 0
		.amdhsa_private_segment_fixed_size 0
		.amdhsa_kernarg_size 320
		.amdhsa_user_sgpr_count 2
		.amdhsa_user_sgpr_dispatch_ptr 0
		.amdhsa_user_sgpr_queue_ptr 0
		.amdhsa_user_sgpr_kernarg_segment_ptr 1
		.amdhsa_user_sgpr_dispatch_id 0
		.amdhsa_user_sgpr_kernarg_preload_length 0
		.amdhsa_user_sgpr_kernarg_preload_offset 0
		.amdhsa_user_sgpr_private_segment_size 0
		.amdhsa_wavefront_size32 1
		.amdhsa_uses_dynamic_stack 0
		.amdhsa_enable_private_segment 0
		.amdhsa_system_sgpr_workgroup_id_x 1
		.amdhsa_system_sgpr_workgroup_id_y 0
		.amdhsa_system_sgpr_workgroup_id_z 0
		.amdhsa_system_sgpr_workgroup_info 0
		.amdhsa_system_vgpr_workitem_id 0
		.amdhsa_next_free_vgpr 18
		.amdhsa_next_free_sgpr 14
		.amdhsa_named_barrier_count 0
		.amdhsa_reserve_vcc 1
		.amdhsa_float_round_mode_32 0
		.amdhsa_float_round_mode_16_64 0
		.amdhsa_float_denorm_mode_32 3
		.amdhsa_float_denorm_mode_16_64 3
		.amdhsa_fp16_overflow 0
		.amdhsa_memory_ordered 1
		.amdhsa_forward_progress 1
		.amdhsa_inst_pref_size 4
		.amdhsa_round_robin_scheduling 0
		.amdhsa_exception_fp_ieee_invalid_op 0
		.amdhsa_exception_fp_denorm_src 0
		.amdhsa_exception_fp_ieee_div_zero 0
		.amdhsa_exception_fp_ieee_overflow 0
		.amdhsa_exception_fp_ieee_underflow 0
		.amdhsa_exception_fp_ieee_inexact 0
		.amdhsa_exception_int_div_zero 0
	.end_amdhsa_kernel
	.section	.text._ZN7rocprim17ROCPRIM_400000_NS6detail17trampoline_kernelINS0_14default_configENS1_21merge_config_selectorINS0_5tupleIJxxEEENS0_10empty_typeEEEZNS1_10merge_implIS3_NS0_12zip_iteratorINS5_IJN6thrust23THRUST_200600_302600_NS6detail15normal_iteratorINSC_10device_ptrIKxEEEESI_EEEEESK_NSA_INS5_IJNSC_16discard_iteratorINSC_11use_defaultEEESN_EEEEEPS7_SQ_SQ_NSC_11hip_rocprim7__merge17predicate_wrapperIxxNSC_4lessIxEEEEEE10hipError_tPvRmT0_T1_T2_T3_T4_T5_mmT6_P12ihipStream_tbEUlT_E_NS1_11comp_targetILNS1_3genE0ELNS1_11target_archE4294967295ELNS1_3gpuE0ELNS1_3repE0EEENS1_30default_config_static_selectorELNS0_4arch9wavefront6targetE0EEEvS11_,"axG",@progbits,_ZN7rocprim17ROCPRIM_400000_NS6detail17trampoline_kernelINS0_14default_configENS1_21merge_config_selectorINS0_5tupleIJxxEEENS0_10empty_typeEEEZNS1_10merge_implIS3_NS0_12zip_iteratorINS5_IJN6thrust23THRUST_200600_302600_NS6detail15normal_iteratorINSC_10device_ptrIKxEEEESI_EEEEESK_NSA_INS5_IJNSC_16discard_iteratorINSC_11use_defaultEEESN_EEEEEPS7_SQ_SQ_NSC_11hip_rocprim7__merge17predicate_wrapperIxxNSC_4lessIxEEEEEE10hipError_tPvRmT0_T1_T2_T3_T4_T5_mmT6_P12ihipStream_tbEUlT_E_NS1_11comp_targetILNS1_3genE0ELNS1_11target_archE4294967295ELNS1_3gpuE0ELNS1_3repE0EEENS1_30default_config_static_selectorELNS0_4arch9wavefront6targetE0EEEvS11_,comdat
.Lfunc_end569:
	.size	_ZN7rocprim17ROCPRIM_400000_NS6detail17trampoline_kernelINS0_14default_configENS1_21merge_config_selectorINS0_5tupleIJxxEEENS0_10empty_typeEEEZNS1_10merge_implIS3_NS0_12zip_iteratorINS5_IJN6thrust23THRUST_200600_302600_NS6detail15normal_iteratorINSC_10device_ptrIKxEEEESI_EEEEESK_NSA_INS5_IJNSC_16discard_iteratorINSC_11use_defaultEEESN_EEEEEPS7_SQ_SQ_NSC_11hip_rocprim7__merge17predicate_wrapperIxxNSC_4lessIxEEEEEE10hipError_tPvRmT0_T1_T2_T3_T4_T5_mmT6_P12ihipStream_tbEUlT_E_NS1_11comp_targetILNS1_3genE0ELNS1_11target_archE4294967295ELNS1_3gpuE0ELNS1_3repE0EEENS1_30default_config_static_selectorELNS0_4arch9wavefront6targetE0EEEvS11_, .Lfunc_end569-_ZN7rocprim17ROCPRIM_400000_NS6detail17trampoline_kernelINS0_14default_configENS1_21merge_config_selectorINS0_5tupleIJxxEEENS0_10empty_typeEEEZNS1_10merge_implIS3_NS0_12zip_iteratorINS5_IJN6thrust23THRUST_200600_302600_NS6detail15normal_iteratorINSC_10device_ptrIKxEEEESI_EEEEESK_NSA_INS5_IJNSC_16discard_iteratorINSC_11use_defaultEEESN_EEEEEPS7_SQ_SQ_NSC_11hip_rocprim7__merge17predicate_wrapperIxxNSC_4lessIxEEEEEE10hipError_tPvRmT0_T1_T2_T3_T4_T5_mmT6_P12ihipStream_tbEUlT_E_NS1_11comp_targetILNS1_3genE0ELNS1_11target_archE4294967295ELNS1_3gpuE0ELNS1_3repE0EEENS1_30default_config_static_selectorELNS0_4arch9wavefront6targetE0EEEvS11_
                                        ; -- End function
	.set _ZN7rocprim17ROCPRIM_400000_NS6detail17trampoline_kernelINS0_14default_configENS1_21merge_config_selectorINS0_5tupleIJxxEEENS0_10empty_typeEEEZNS1_10merge_implIS3_NS0_12zip_iteratorINS5_IJN6thrust23THRUST_200600_302600_NS6detail15normal_iteratorINSC_10device_ptrIKxEEEESI_EEEEESK_NSA_INS5_IJNSC_16discard_iteratorINSC_11use_defaultEEESN_EEEEEPS7_SQ_SQ_NSC_11hip_rocprim7__merge17predicate_wrapperIxxNSC_4lessIxEEEEEE10hipError_tPvRmT0_T1_T2_T3_T4_T5_mmT6_P12ihipStream_tbEUlT_E_NS1_11comp_targetILNS1_3genE0ELNS1_11target_archE4294967295ELNS1_3gpuE0ELNS1_3repE0EEENS1_30default_config_static_selectorELNS0_4arch9wavefront6targetE0EEEvS11_.num_vgpr, 18
	.set _ZN7rocprim17ROCPRIM_400000_NS6detail17trampoline_kernelINS0_14default_configENS1_21merge_config_selectorINS0_5tupleIJxxEEENS0_10empty_typeEEEZNS1_10merge_implIS3_NS0_12zip_iteratorINS5_IJN6thrust23THRUST_200600_302600_NS6detail15normal_iteratorINSC_10device_ptrIKxEEEESI_EEEEESK_NSA_INS5_IJNSC_16discard_iteratorINSC_11use_defaultEEESN_EEEEEPS7_SQ_SQ_NSC_11hip_rocprim7__merge17predicate_wrapperIxxNSC_4lessIxEEEEEE10hipError_tPvRmT0_T1_T2_T3_T4_T5_mmT6_P12ihipStream_tbEUlT_E_NS1_11comp_targetILNS1_3genE0ELNS1_11target_archE4294967295ELNS1_3gpuE0ELNS1_3repE0EEENS1_30default_config_static_selectorELNS0_4arch9wavefront6targetE0EEEvS11_.num_agpr, 0
	.set _ZN7rocprim17ROCPRIM_400000_NS6detail17trampoline_kernelINS0_14default_configENS1_21merge_config_selectorINS0_5tupleIJxxEEENS0_10empty_typeEEEZNS1_10merge_implIS3_NS0_12zip_iteratorINS5_IJN6thrust23THRUST_200600_302600_NS6detail15normal_iteratorINSC_10device_ptrIKxEEEESI_EEEEESK_NSA_INS5_IJNSC_16discard_iteratorINSC_11use_defaultEEESN_EEEEEPS7_SQ_SQ_NSC_11hip_rocprim7__merge17predicate_wrapperIxxNSC_4lessIxEEEEEE10hipError_tPvRmT0_T1_T2_T3_T4_T5_mmT6_P12ihipStream_tbEUlT_E_NS1_11comp_targetILNS1_3genE0ELNS1_11target_archE4294967295ELNS1_3gpuE0ELNS1_3repE0EEENS1_30default_config_static_selectorELNS0_4arch9wavefront6targetE0EEEvS11_.numbered_sgpr, 14
	.set _ZN7rocprim17ROCPRIM_400000_NS6detail17trampoline_kernelINS0_14default_configENS1_21merge_config_selectorINS0_5tupleIJxxEEENS0_10empty_typeEEEZNS1_10merge_implIS3_NS0_12zip_iteratorINS5_IJN6thrust23THRUST_200600_302600_NS6detail15normal_iteratorINSC_10device_ptrIKxEEEESI_EEEEESK_NSA_INS5_IJNSC_16discard_iteratorINSC_11use_defaultEEESN_EEEEEPS7_SQ_SQ_NSC_11hip_rocprim7__merge17predicate_wrapperIxxNSC_4lessIxEEEEEE10hipError_tPvRmT0_T1_T2_T3_T4_T5_mmT6_P12ihipStream_tbEUlT_E_NS1_11comp_targetILNS1_3genE0ELNS1_11target_archE4294967295ELNS1_3gpuE0ELNS1_3repE0EEENS1_30default_config_static_selectorELNS0_4arch9wavefront6targetE0EEEvS11_.num_named_barrier, 0
	.set _ZN7rocprim17ROCPRIM_400000_NS6detail17trampoline_kernelINS0_14default_configENS1_21merge_config_selectorINS0_5tupleIJxxEEENS0_10empty_typeEEEZNS1_10merge_implIS3_NS0_12zip_iteratorINS5_IJN6thrust23THRUST_200600_302600_NS6detail15normal_iteratorINSC_10device_ptrIKxEEEESI_EEEEESK_NSA_INS5_IJNSC_16discard_iteratorINSC_11use_defaultEEESN_EEEEEPS7_SQ_SQ_NSC_11hip_rocprim7__merge17predicate_wrapperIxxNSC_4lessIxEEEEEE10hipError_tPvRmT0_T1_T2_T3_T4_T5_mmT6_P12ihipStream_tbEUlT_E_NS1_11comp_targetILNS1_3genE0ELNS1_11target_archE4294967295ELNS1_3gpuE0ELNS1_3repE0EEENS1_30default_config_static_selectorELNS0_4arch9wavefront6targetE0EEEvS11_.private_seg_size, 0
	.set _ZN7rocprim17ROCPRIM_400000_NS6detail17trampoline_kernelINS0_14default_configENS1_21merge_config_selectorINS0_5tupleIJxxEEENS0_10empty_typeEEEZNS1_10merge_implIS3_NS0_12zip_iteratorINS5_IJN6thrust23THRUST_200600_302600_NS6detail15normal_iteratorINSC_10device_ptrIKxEEEESI_EEEEESK_NSA_INS5_IJNSC_16discard_iteratorINSC_11use_defaultEEESN_EEEEEPS7_SQ_SQ_NSC_11hip_rocprim7__merge17predicate_wrapperIxxNSC_4lessIxEEEEEE10hipError_tPvRmT0_T1_T2_T3_T4_T5_mmT6_P12ihipStream_tbEUlT_E_NS1_11comp_targetILNS1_3genE0ELNS1_11target_archE4294967295ELNS1_3gpuE0ELNS1_3repE0EEENS1_30default_config_static_selectorELNS0_4arch9wavefront6targetE0EEEvS11_.uses_vcc, 1
	.set _ZN7rocprim17ROCPRIM_400000_NS6detail17trampoline_kernelINS0_14default_configENS1_21merge_config_selectorINS0_5tupleIJxxEEENS0_10empty_typeEEEZNS1_10merge_implIS3_NS0_12zip_iteratorINS5_IJN6thrust23THRUST_200600_302600_NS6detail15normal_iteratorINSC_10device_ptrIKxEEEESI_EEEEESK_NSA_INS5_IJNSC_16discard_iteratorINSC_11use_defaultEEESN_EEEEEPS7_SQ_SQ_NSC_11hip_rocprim7__merge17predicate_wrapperIxxNSC_4lessIxEEEEEE10hipError_tPvRmT0_T1_T2_T3_T4_T5_mmT6_P12ihipStream_tbEUlT_E_NS1_11comp_targetILNS1_3genE0ELNS1_11target_archE4294967295ELNS1_3gpuE0ELNS1_3repE0EEENS1_30default_config_static_selectorELNS0_4arch9wavefront6targetE0EEEvS11_.uses_flat_scratch, 0
	.set _ZN7rocprim17ROCPRIM_400000_NS6detail17trampoline_kernelINS0_14default_configENS1_21merge_config_selectorINS0_5tupleIJxxEEENS0_10empty_typeEEEZNS1_10merge_implIS3_NS0_12zip_iteratorINS5_IJN6thrust23THRUST_200600_302600_NS6detail15normal_iteratorINSC_10device_ptrIKxEEEESI_EEEEESK_NSA_INS5_IJNSC_16discard_iteratorINSC_11use_defaultEEESN_EEEEEPS7_SQ_SQ_NSC_11hip_rocprim7__merge17predicate_wrapperIxxNSC_4lessIxEEEEEE10hipError_tPvRmT0_T1_T2_T3_T4_T5_mmT6_P12ihipStream_tbEUlT_E_NS1_11comp_targetILNS1_3genE0ELNS1_11target_archE4294967295ELNS1_3gpuE0ELNS1_3repE0EEENS1_30default_config_static_selectorELNS0_4arch9wavefront6targetE0EEEvS11_.has_dyn_sized_stack, 0
	.set _ZN7rocprim17ROCPRIM_400000_NS6detail17trampoline_kernelINS0_14default_configENS1_21merge_config_selectorINS0_5tupleIJxxEEENS0_10empty_typeEEEZNS1_10merge_implIS3_NS0_12zip_iteratorINS5_IJN6thrust23THRUST_200600_302600_NS6detail15normal_iteratorINSC_10device_ptrIKxEEEESI_EEEEESK_NSA_INS5_IJNSC_16discard_iteratorINSC_11use_defaultEEESN_EEEEEPS7_SQ_SQ_NSC_11hip_rocprim7__merge17predicate_wrapperIxxNSC_4lessIxEEEEEE10hipError_tPvRmT0_T1_T2_T3_T4_T5_mmT6_P12ihipStream_tbEUlT_E_NS1_11comp_targetILNS1_3genE0ELNS1_11target_archE4294967295ELNS1_3gpuE0ELNS1_3repE0EEENS1_30default_config_static_selectorELNS0_4arch9wavefront6targetE0EEEvS11_.has_recursion, 0
	.set _ZN7rocprim17ROCPRIM_400000_NS6detail17trampoline_kernelINS0_14default_configENS1_21merge_config_selectorINS0_5tupleIJxxEEENS0_10empty_typeEEEZNS1_10merge_implIS3_NS0_12zip_iteratorINS5_IJN6thrust23THRUST_200600_302600_NS6detail15normal_iteratorINSC_10device_ptrIKxEEEESI_EEEEESK_NSA_INS5_IJNSC_16discard_iteratorINSC_11use_defaultEEESN_EEEEEPS7_SQ_SQ_NSC_11hip_rocprim7__merge17predicate_wrapperIxxNSC_4lessIxEEEEEE10hipError_tPvRmT0_T1_T2_T3_T4_T5_mmT6_P12ihipStream_tbEUlT_E_NS1_11comp_targetILNS1_3genE0ELNS1_11target_archE4294967295ELNS1_3gpuE0ELNS1_3repE0EEENS1_30default_config_static_selectorELNS0_4arch9wavefront6targetE0EEEvS11_.has_indirect_call, 0
	.section	.AMDGPU.csdata,"",@progbits
; Kernel info:
; codeLenInByte = 484
; TotalNumSgprs: 16
; NumVgprs: 18
; ScratchSize: 0
; MemoryBound: 0
; FloatMode: 240
; IeeeMode: 1
; LDSByteSize: 0 bytes/workgroup (compile time only)
; SGPRBlocks: 0
; VGPRBlocks: 1
; NumSGPRsForWavesPerEU: 16
; NumVGPRsForWavesPerEU: 18
; NamedBarCnt: 0
; Occupancy: 16
; WaveLimiterHint : 0
; COMPUTE_PGM_RSRC2:SCRATCH_EN: 0
; COMPUTE_PGM_RSRC2:USER_SGPR: 2
; COMPUTE_PGM_RSRC2:TRAP_HANDLER: 0
; COMPUTE_PGM_RSRC2:TGID_X_EN: 1
; COMPUTE_PGM_RSRC2:TGID_Y_EN: 0
; COMPUTE_PGM_RSRC2:TGID_Z_EN: 0
; COMPUTE_PGM_RSRC2:TIDIG_COMP_CNT: 0
	.section	.text._ZN7rocprim17ROCPRIM_400000_NS6detail17trampoline_kernelINS0_14default_configENS1_21merge_config_selectorINS0_5tupleIJxxEEENS0_10empty_typeEEEZNS1_10merge_implIS3_NS0_12zip_iteratorINS5_IJN6thrust23THRUST_200600_302600_NS6detail15normal_iteratorINSC_10device_ptrIKxEEEESI_EEEEESK_NSA_INS5_IJNSC_16discard_iteratorINSC_11use_defaultEEESN_EEEEEPS7_SQ_SQ_NSC_11hip_rocprim7__merge17predicate_wrapperIxxNSC_4lessIxEEEEEE10hipError_tPvRmT0_T1_T2_T3_T4_T5_mmT6_P12ihipStream_tbEUlT_E_NS1_11comp_targetILNS1_3genE5ELNS1_11target_archE942ELNS1_3gpuE9ELNS1_3repE0EEENS1_30default_config_static_selectorELNS0_4arch9wavefront6targetE0EEEvS11_,"axG",@progbits,_ZN7rocprim17ROCPRIM_400000_NS6detail17trampoline_kernelINS0_14default_configENS1_21merge_config_selectorINS0_5tupleIJxxEEENS0_10empty_typeEEEZNS1_10merge_implIS3_NS0_12zip_iteratorINS5_IJN6thrust23THRUST_200600_302600_NS6detail15normal_iteratorINSC_10device_ptrIKxEEEESI_EEEEESK_NSA_INS5_IJNSC_16discard_iteratorINSC_11use_defaultEEESN_EEEEEPS7_SQ_SQ_NSC_11hip_rocprim7__merge17predicate_wrapperIxxNSC_4lessIxEEEEEE10hipError_tPvRmT0_T1_T2_T3_T4_T5_mmT6_P12ihipStream_tbEUlT_E_NS1_11comp_targetILNS1_3genE5ELNS1_11target_archE942ELNS1_3gpuE9ELNS1_3repE0EEENS1_30default_config_static_selectorELNS0_4arch9wavefront6targetE0EEEvS11_,comdat
	.protected	_ZN7rocprim17ROCPRIM_400000_NS6detail17trampoline_kernelINS0_14default_configENS1_21merge_config_selectorINS0_5tupleIJxxEEENS0_10empty_typeEEEZNS1_10merge_implIS3_NS0_12zip_iteratorINS5_IJN6thrust23THRUST_200600_302600_NS6detail15normal_iteratorINSC_10device_ptrIKxEEEESI_EEEEESK_NSA_INS5_IJNSC_16discard_iteratorINSC_11use_defaultEEESN_EEEEEPS7_SQ_SQ_NSC_11hip_rocprim7__merge17predicate_wrapperIxxNSC_4lessIxEEEEEE10hipError_tPvRmT0_T1_T2_T3_T4_T5_mmT6_P12ihipStream_tbEUlT_E_NS1_11comp_targetILNS1_3genE5ELNS1_11target_archE942ELNS1_3gpuE9ELNS1_3repE0EEENS1_30default_config_static_selectorELNS0_4arch9wavefront6targetE0EEEvS11_ ; -- Begin function _ZN7rocprim17ROCPRIM_400000_NS6detail17trampoline_kernelINS0_14default_configENS1_21merge_config_selectorINS0_5tupleIJxxEEENS0_10empty_typeEEEZNS1_10merge_implIS3_NS0_12zip_iteratorINS5_IJN6thrust23THRUST_200600_302600_NS6detail15normal_iteratorINSC_10device_ptrIKxEEEESI_EEEEESK_NSA_INS5_IJNSC_16discard_iteratorINSC_11use_defaultEEESN_EEEEEPS7_SQ_SQ_NSC_11hip_rocprim7__merge17predicate_wrapperIxxNSC_4lessIxEEEEEE10hipError_tPvRmT0_T1_T2_T3_T4_T5_mmT6_P12ihipStream_tbEUlT_E_NS1_11comp_targetILNS1_3genE5ELNS1_11target_archE942ELNS1_3gpuE9ELNS1_3repE0EEENS1_30default_config_static_selectorELNS0_4arch9wavefront6targetE0EEEvS11_
	.globl	_ZN7rocprim17ROCPRIM_400000_NS6detail17trampoline_kernelINS0_14default_configENS1_21merge_config_selectorINS0_5tupleIJxxEEENS0_10empty_typeEEEZNS1_10merge_implIS3_NS0_12zip_iteratorINS5_IJN6thrust23THRUST_200600_302600_NS6detail15normal_iteratorINSC_10device_ptrIKxEEEESI_EEEEESK_NSA_INS5_IJNSC_16discard_iteratorINSC_11use_defaultEEESN_EEEEEPS7_SQ_SQ_NSC_11hip_rocprim7__merge17predicate_wrapperIxxNSC_4lessIxEEEEEE10hipError_tPvRmT0_T1_T2_T3_T4_T5_mmT6_P12ihipStream_tbEUlT_E_NS1_11comp_targetILNS1_3genE5ELNS1_11target_archE942ELNS1_3gpuE9ELNS1_3repE0EEENS1_30default_config_static_selectorELNS0_4arch9wavefront6targetE0EEEvS11_
	.p2align	8
	.type	_ZN7rocprim17ROCPRIM_400000_NS6detail17trampoline_kernelINS0_14default_configENS1_21merge_config_selectorINS0_5tupleIJxxEEENS0_10empty_typeEEEZNS1_10merge_implIS3_NS0_12zip_iteratorINS5_IJN6thrust23THRUST_200600_302600_NS6detail15normal_iteratorINSC_10device_ptrIKxEEEESI_EEEEESK_NSA_INS5_IJNSC_16discard_iteratorINSC_11use_defaultEEESN_EEEEEPS7_SQ_SQ_NSC_11hip_rocprim7__merge17predicate_wrapperIxxNSC_4lessIxEEEEEE10hipError_tPvRmT0_T1_T2_T3_T4_T5_mmT6_P12ihipStream_tbEUlT_E_NS1_11comp_targetILNS1_3genE5ELNS1_11target_archE942ELNS1_3gpuE9ELNS1_3repE0EEENS1_30default_config_static_selectorELNS0_4arch9wavefront6targetE0EEEvS11_,@function
_ZN7rocprim17ROCPRIM_400000_NS6detail17trampoline_kernelINS0_14default_configENS1_21merge_config_selectorINS0_5tupleIJxxEEENS0_10empty_typeEEEZNS1_10merge_implIS3_NS0_12zip_iteratorINS5_IJN6thrust23THRUST_200600_302600_NS6detail15normal_iteratorINSC_10device_ptrIKxEEEESI_EEEEESK_NSA_INS5_IJNSC_16discard_iteratorINSC_11use_defaultEEESN_EEEEEPS7_SQ_SQ_NSC_11hip_rocprim7__merge17predicate_wrapperIxxNSC_4lessIxEEEEEE10hipError_tPvRmT0_T1_T2_T3_T4_T5_mmT6_P12ihipStream_tbEUlT_E_NS1_11comp_targetILNS1_3genE5ELNS1_11target_archE942ELNS1_3gpuE9ELNS1_3repE0EEENS1_30default_config_static_selectorELNS0_4arch9wavefront6targetE0EEEvS11_: ; @_ZN7rocprim17ROCPRIM_400000_NS6detail17trampoline_kernelINS0_14default_configENS1_21merge_config_selectorINS0_5tupleIJxxEEENS0_10empty_typeEEEZNS1_10merge_implIS3_NS0_12zip_iteratorINS5_IJN6thrust23THRUST_200600_302600_NS6detail15normal_iteratorINSC_10device_ptrIKxEEEESI_EEEEESK_NSA_INS5_IJNSC_16discard_iteratorINSC_11use_defaultEEESN_EEEEEPS7_SQ_SQ_NSC_11hip_rocprim7__merge17predicate_wrapperIxxNSC_4lessIxEEEEEE10hipError_tPvRmT0_T1_T2_T3_T4_T5_mmT6_P12ihipStream_tbEUlT_E_NS1_11comp_targetILNS1_3genE5ELNS1_11target_archE942ELNS1_3gpuE9ELNS1_3repE0EEENS1_30default_config_static_selectorELNS0_4arch9wavefront6targetE0EEEvS11_
; %bb.0:
	.section	.rodata,"a",@progbits
	.p2align	6, 0x0
	.amdhsa_kernel _ZN7rocprim17ROCPRIM_400000_NS6detail17trampoline_kernelINS0_14default_configENS1_21merge_config_selectorINS0_5tupleIJxxEEENS0_10empty_typeEEEZNS1_10merge_implIS3_NS0_12zip_iteratorINS5_IJN6thrust23THRUST_200600_302600_NS6detail15normal_iteratorINSC_10device_ptrIKxEEEESI_EEEEESK_NSA_INS5_IJNSC_16discard_iteratorINSC_11use_defaultEEESN_EEEEEPS7_SQ_SQ_NSC_11hip_rocprim7__merge17predicate_wrapperIxxNSC_4lessIxEEEEEE10hipError_tPvRmT0_T1_T2_T3_T4_T5_mmT6_P12ihipStream_tbEUlT_E_NS1_11comp_targetILNS1_3genE5ELNS1_11target_archE942ELNS1_3gpuE9ELNS1_3repE0EEENS1_30default_config_static_selectorELNS0_4arch9wavefront6targetE0EEEvS11_
		.amdhsa_group_segment_fixed_size 0
		.amdhsa_private_segment_fixed_size 0
		.amdhsa_kernarg_size 64
		.amdhsa_user_sgpr_count 2
		.amdhsa_user_sgpr_dispatch_ptr 0
		.amdhsa_user_sgpr_queue_ptr 0
		.amdhsa_user_sgpr_kernarg_segment_ptr 1
		.amdhsa_user_sgpr_dispatch_id 0
		.amdhsa_user_sgpr_kernarg_preload_length 0
		.amdhsa_user_sgpr_kernarg_preload_offset 0
		.amdhsa_user_sgpr_private_segment_size 0
		.amdhsa_wavefront_size32 1
		.amdhsa_uses_dynamic_stack 0
		.amdhsa_enable_private_segment 0
		.amdhsa_system_sgpr_workgroup_id_x 1
		.amdhsa_system_sgpr_workgroup_id_y 0
		.amdhsa_system_sgpr_workgroup_id_z 0
		.amdhsa_system_sgpr_workgroup_info 0
		.amdhsa_system_vgpr_workitem_id 0
		.amdhsa_next_free_vgpr 1
		.amdhsa_next_free_sgpr 1
		.amdhsa_named_barrier_count 0
		.amdhsa_reserve_vcc 0
		.amdhsa_float_round_mode_32 0
		.amdhsa_float_round_mode_16_64 0
		.amdhsa_float_denorm_mode_32 3
		.amdhsa_float_denorm_mode_16_64 3
		.amdhsa_fp16_overflow 0
		.amdhsa_memory_ordered 1
		.amdhsa_forward_progress 1
		.amdhsa_inst_pref_size 0
		.amdhsa_round_robin_scheduling 0
		.amdhsa_exception_fp_ieee_invalid_op 0
		.amdhsa_exception_fp_denorm_src 0
		.amdhsa_exception_fp_ieee_div_zero 0
		.amdhsa_exception_fp_ieee_overflow 0
		.amdhsa_exception_fp_ieee_underflow 0
		.amdhsa_exception_fp_ieee_inexact 0
		.amdhsa_exception_int_div_zero 0
	.end_amdhsa_kernel
	.section	.text._ZN7rocprim17ROCPRIM_400000_NS6detail17trampoline_kernelINS0_14default_configENS1_21merge_config_selectorINS0_5tupleIJxxEEENS0_10empty_typeEEEZNS1_10merge_implIS3_NS0_12zip_iteratorINS5_IJN6thrust23THRUST_200600_302600_NS6detail15normal_iteratorINSC_10device_ptrIKxEEEESI_EEEEESK_NSA_INS5_IJNSC_16discard_iteratorINSC_11use_defaultEEESN_EEEEEPS7_SQ_SQ_NSC_11hip_rocprim7__merge17predicate_wrapperIxxNSC_4lessIxEEEEEE10hipError_tPvRmT0_T1_T2_T3_T4_T5_mmT6_P12ihipStream_tbEUlT_E_NS1_11comp_targetILNS1_3genE5ELNS1_11target_archE942ELNS1_3gpuE9ELNS1_3repE0EEENS1_30default_config_static_selectorELNS0_4arch9wavefront6targetE0EEEvS11_,"axG",@progbits,_ZN7rocprim17ROCPRIM_400000_NS6detail17trampoline_kernelINS0_14default_configENS1_21merge_config_selectorINS0_5tupleIJxxEEENS0_10empty_typeEEEZNS1_10merge_implIS3_NS0_12zip_iteratorINS5_IJN6thrust23THRUST_200600_302600_NS6detail15normal_iteratorINSC_10device_ptrIKxEEEESI_EEEEESK_NSA_INS5_IJNSC_16discard_iteratorINSC_11use_defaultEEESN_EEEEEPS7_SQ_SQ_NSC_11hip_rocprim7__merge17predicate_wrapperIxxNSC_4lessIxEEEEEE10hipError_tPvRmT0_T1_T2_T3_T4_T5_mmT6_P12ihipStream_tbEUlT_E_NS1_11comp_targetILNS1_3genE5ELNS1_11target_archE942ELNS1_3gpuE9ELNS1_3repE0EEENS1_30default_config_static_selectorELNS0_4arch9wavefront6targetE0EEEvS11_,comdat
.Lfunc_end570:
	.size	_ZN7rocprim17ROCPRIM_400000_NS6detail17trampoline_kernelINS0_14default_configENS1_21merge_config_selectorINS0_5tupleIJxxEEENS0_10empty_typeEEEZNS1_10merge_implIS3_NS0_12zip_iteratorINS5_IJN6thrust23THRUST_200600_302600_NS6detail15normal_iteratorINSC_10device_ptrIKxEEEESI_EEEEESK_NSA_INS5_IJNSC_16discard_iteratorINSC_11use_defaultEEESN_EEEEEPS7_SQ_SQ_NSC_11hip_rocprim7__merge17predicate_wrapperIxxNSC_4lessIxEEEEEE10hipError_tPvRmT0_T1_T2_T3_T4_T5_mmT6_P12ihipStream_tbEUlT_E_NS1_11comp_targetILNS1_3genE5ELNS1_11target_archE942ELNS1_3gpuE9ELNS1_3repE0EEENS1_30default_config_static_selectorELNS0_4arch9wavefront6targetE0EEEvS11_, .Lfunc_end570-_ZN7rocprim17ROCPRIM_400000_NS6detail17trampoline_kernelINS0_14default_configENS1_21merge_config_selectorINS0_5tupleIJxxEEENS0_10empty_typeEEEZNS1_10merge_implIS3_NS0_12zip_iteratorINS5_IJN6thrust23THRUST_200600_302600_NS6detail15normal_iteratorINSC_10device_ptrIKxEEEESI_EEEEESK_NSA_INS5_IJNSC_16discard_iteratorINSC_11use_defaultEEESN_EEEEEPS7_SQ_SQ_NSC_11hip_rocprim7__merge17predicate_wrapperIxxNSC_4lessIxEEEEEE10hipError_tPvRmT0_T1_T2_T3_T4_T5_mmT6_P12ihipStream_tbEUlT_E_NS1_11comp_targetILNS1_3genE5ELNS1_11target_archE942ELNS1_3gpuE9ELNS1_3repE0EEENS1_30default_config_static_selectorELNS0_4arch9wavefront6targetE0EEEvS11_
                                        ; -- End function
	.set _ZN7rocprim17ROCPRIM_400000_NS6detail17trampoline_kernelINS0_14default_configENS1_21merge_config_selectorINS0_5tupleIJxxEEENS0_10empty_typeEEEZNS1_10merge_implIS3_NS0_12zip_iteratorINS5_IJN6thrust23THRUST_200600_302600_NS6detail15normal_iteratorINSC_10device_ptrIKxEEEESI_EEEEESK_NSA_INS5_IJNSC_16discard_iteratorINSC_11use_defaultEEESN_EEEEEPS7_SQ_SQ_NSC_11hip_rocprim7__merge17predicate_wrapperIxxNSC_4lessIxEEEEEE10hipError_tPvRmT0_T1_T2_T3_T4_T5_mmT6_P12ihipStream_tbEUlT_E_NS1_11comp_targetILNS1_3genE5ELNS1_11target_archE942ELNS1_3gpuE9ELNS1_3repE0EEENS1_30default_config_static_selectorELNS0_4arch9wavefront6targetE0EEEvS11_.num_vgpr, 0
	.set _ZN7rocprim17ROCPRIM_400000_NS6detail17trampoline_kernelINS0_14default_configENS1_21merge_config_selectorINS0_5tupleIJxxEEENS0_10empty_typeEEEZNS1_10merge_implIS3_NS0_12zip_iteratorINS5_IJN6thrust23THRUST_200600_302600_NS6detail15normal_iteratorINSC_10device_ptrIKxEEEESI_EEEEESK_NSA_INS5_IJNSC_16discard_iteratorINSC_11use_defaultEEESN_EEEEEPS7_SQ_SQ_NSC_11hip_rocprim7__merge17predicate_wrapperIxxNSC_4lessIxEEEEEE10hipError_tPvRmT0_T1_T2_T3_T4_T5_mmT6_P12ihipStream_tbEUlT_E_NS1_11comp_targetILNS1_3genE5ELNS1_11target_archE942ELNS1_3gpuE9ELNS1_3repE0EEENS1_30default_config_static_selectorELNS0_4arch9wavefront6targetE0EEEvS11_.num_agpr, 0
	.set _ZN7rocprim17ROCPRIM_400000_NS6detail17trampoline_kernelINS0_14default_configENS1_21merge_config_selectorINS0_5tupleIJxxEEENS0_10empty_typeEEEZNS1_10merge_implIS3_NS0_12zip_iteratorINS5_IJN6thrust23THRUST_200600_302600_NS6detail15normal_iteratorINSC_10device_ptrIKxEEEESI_EEEEESK_NSA_INS5_IJNSC_16discard_iteratorINSC_11use_defaultEEESN_EEEEEPS7_SQ_SQ_NSC_11hip_rocprim7__merge17predicate_wrapperIxxNSC_4lessIxEEEEEE10hipError_tPvRmT0_T1_T2_T3_T4_T5_mmT6_P12ihipStream_tbEUlT_E_NS1_11comp_targetILNS1_3genE5ELNS1_11target_archE942ELNS1_3gpuE9ELNS1_3repE0EEENS1_30default_config_static_selectorELNS0_4arch9wavefront6targetE0EEEvS11_.numbered_sgpr, 0
	.set _ZN7rocprim17ROCPRIM_400000_NS6detail17trampoline_kernelINS0_14default_configENS1_21merge_config_selectorINS0_5tupleIJxxEEENS0_10empty_typeEEEZNS1_10merge_implIS3_NS0_12zip_iteratorINS5_IJN6thrust23THRUST_200600_302600_NS6detail15normal_iteratorINSC_10device_ptrIKxEEEESI_EEEEESK_NSA_INS5_IJNSC_16discard_iteratorINSC_11use_defaultEEESN_EEEEEPS7_SQ_SQ_NSC_11hip_rocprim7__merge17predicate_wrapperIxxNSC_4lessIxEEEEEE10hipError_tPvRmT0_T1_T2_T3_T4_T5_mmT6_P12ihipStream_tbEUlT_E_NS1_11comp_targetILNS1_3genE5ELNS1_11target_archE942ELNS1_3gpuE9ELNS1_3repE0EEENS1_30default_config_static_selectorELNS0_4arch9wavefront6targetE0EEEvS11_.num_named_barrier, 0
	.set _ZN7rocprim17ROCPRIM_400000_NS6detail17trampoline_kernelINS0_14default_configENS1_21merge_config_selectorINS0_5tupleIJxxEEENS0_10empty_typeEEEZNS1_10merge_implIS3_NS0_12zip_iteratorINS5_IJN6thrust23THRUST_200600_302600_NS6detail15normal_iteratorINSC_10device_ptrIKxEEEESI_EEEEESK_NSA_INS5_IJNSC_16discard_iteratorINSC_11use_defaultEEESN_EEEEEPS7_SQ_SQ_NSC_11hip_rocprim7__merge17predicate_wrapperIxxNSC_4lessIxEEEEEE10hipError_tPvRmT0_T1_T2_T3_T4_T5_mmT6_P12ihipStream_tbEUlT_E_NS1_11comp_targetILNS1_3genE5ELNS1_11target_archE942ELNS1_3gpuE9ELNS1_3repE0EEENS1_30default_config_static_selectorELNS0_4arch9wavefront6targetE0EEEvS11_.private_seg_size, 0
	.set _ZN7rocprim17ROCPRIM_400000_NS6detail17trampoline_kernelINS0_14default_configENS1_21merge_config_selectorINS0_5tupleIJxxEEENS0_10empty_typeEEEZNS1_10merge_implIS3_NS0_12zip_iteratorINS5_IJN6thrust23THRUST_200600_302600_NS6detail15normal_iteratorINSC_10device_ptrIKxEEEESI_EEEEESK_NSA_INS5_IJNSC_16discard_iteratorINSC_11use_defaultEEESN_EEEEEPS7_SQ_SQ_NSC_11hip_rocprim7__merge17predicate_wrapperIxxNSC_4lessIxEEEEEE10hipError_tPvRmT0_T1_T2_T3_T4_T5_mmT6_P12ihipStream_tbEUlT_E_NS1_11comp_targetILNS1_3genE5ELNS1_11target_archE942ELNS1_3gpuE9ELNS1_3repE0EEENS1_30default_config_static_selectorELNS0_4arch9wavefront6targetE0EEEvS11_.uses_vcc, 0
	.set _ZN7rocprim17ROCPRIM_400000_NS6detail17trampoline_kernelINS0_14default_configENS1_21merge_config_selectorINS0_5tupleIJxxEEENS0_10empty_typeEEEZNS1_10merge_implIS3_NS0_12zip_iteratorINS5_IJN6thrust23THRUST_200600_302600_NS6detail15normal_iteratorINSC_10device_ptrIKxEEEESI_EEEEESK_NSA_INS5_IJNSC_16discard_iteratorINSC_11use_defaultEEESN_EEEEEPS7_SQ_SQ_NSC_11hip_rocprim7__merge17predicate_wrapperIxxNSC_4lessIxEEEEEE10hipError_tPvRmT0_T1_T2_T3_T4_T5_mmT6_P12ihipStream_tbEUlT_E_NS1_11comp_targetILNS1_3genE5ELNS1_11target_archE942ELNS1_3gpuE9ELNS1_3repE0EEENS1_30default_config_static_selectorELNS0_4arch9wavefront6targetE0EEEvS11_.uses_flat_scratch, 0
	.set _ZN7rocprim17ROCPRIM_400000_NS6detail17trampoline_kernelINS0_14default_configENS1_21merge_config_selectorINS0_5tupleIJxxEEENS0_10empty_typeEEEZNS1_10merge_implIS3_NS0_12zip_iteratorINS5_IJN6thrust23THRUST_200600_302600_NS6detail15normal_iteratorINSC_10device_ptrIKxEEEESI_EEEEESK_NSA_INS5_IJNSC_16discard_iteratorINSC_11use_defaultEEESN_EEEEEPS7_SQ_SQ_NSC_11hip_rocprim7__merge17predicate_wrapperIxxNSC_4lessIxEEEEEE10hipError_tPvRmT0_T1_T2_T3_T4_T5_mmT6_P12ihipStream_tbEUlT_E_NS1_11comp_targetILNS1_3genE5ELNS1_11target_archE942ELNS1_3gpuE9ELNS1_3repE0EEENS1_30default_config_static_selectorELNS0_4arch9wavefront6targetE0EEEvS11_.has_dyn_sized_stack, 0
	.set _ZN7rocprim17ROCPRIM_400000_NS6detail17trampoline_kernelINS0_14default_configENS1_21merge_config_selectorINS0_5tupleIJxxEEENS0_10empty_typeEEEZNS1_10merge_implIS3_NS0_12zip_iteratorINS5_IJN6thrust23THRUST_200600_302600_NS6detail15normal_iteratorINSC_10device_ptrIKxEEEESI_EEEEESK_NSA_INS5_IJNSC_16discard_iteratorINSC_11use_defaultEEESN_EEEEEPS7_SQ_SQ_NSC_11hip_rocprim7__merge17predicate_wrapperIxxNSC_4lessIxEEEEEE10hipError_tPvRmT0_T1_T2_T3_T4_T5_mmT6_P12ihipStream_tbEUlT_E_NS1_11comp_targetILNS1_3genE5ELNS1_11target_archE942ELNS1_3gpuE9ELNS1_3repE0EEENS1_30default_config_static_selectorELNS0_4arch9wavefront6targetE0EEEvS11_.has_recursion, 0
	.set _ZN7rocprim17ROCPRIM_400000_NS6detail17trampoline_kernelINS0_14default_configENS1_21merge_config_selectorINS0_5tupleIJxxEEENS0_10empty_typeEEEZNS1_10merge_implIS3_NS0_12zip_iteratorINS5_IJN6thrust23THRUST_200600_302600_NS6detail15normal_iteratorINSC_10device_ptrIKxEEEESI_EEEEESK_NSA_INS5_IJNSC_16discard_iteratorINSC_11use_defaultEEESN_EEEEEPS7_SQ_SQ_NSC_11hip_rocprim7__merge17predicate_wrapperIxxNSC_4lessIxEEEEEE10hipError_tPvRmT0_T1_T2_T3_T4_T5_mmT6_P12ihipStream_tbEUlT_E_NS1_11comp_targetILNS1_3genE5ELNS1_11target_archE942ELNS1_3gpuE9ELNS1_3repE0EEENS1_30default_config_static_selectorELNS0_4arch9wavefront6targetE0EEEvS11_.has_indirect_call, 0
	.section	.AMDGPU.csdata,"",@progbits
; Kernel info:
; codeLenInByte = 0
; TotalNumSgprs: 0
; NumVgprs: 0
; ScratchSize: 0
; MemoryBound: 0
; FloatMode: 240
; IeeeMode: 1
; LDSByteSize: 0 bytes/workgroup (compile time only)
; SGPRBlocks: 0
; VGPRBlocks: 0
; NumSGPRsForWavesPerEU: 1
; NumVGPRsForWavesPerEU: 1
; NamedBarCnt: 0
; Occupancy: 16
; WaveLimiterHint : 0
; COMPUTE_PGM_RSRC2:SCRATCH_EN: 0
; COMPUTE_PGM_RSRC2:USER_SGPR: 2
; COMPUTE_PGM_RSRC2:TRAP_HANDLER: 0
; COMPUTE_PGM_RSRC2:TGID_X_EN: 1
; COMPUTE_PGM_RSRC2:TGID_Y_EN: 0
; COMPUTE_PGM_RSRC2:TGID_Z_EN: 0
; COMPUTE_PGM_RSRC2:TIDIG_COMP_CNT: 0
	.section	.text._ZN7rocprim17ROCPRIM_400000_NS6detail17trampoline_kernelINS0_14default_configENS1_21merge_config_selectorINS0_5tupleIJxxEEENS0_10empty_typeEEEZNS1_10merge_implIS3_NS0_12zip_iteratorINS5_IJN6thrust23THRUST_200600_302600_NS6detail15normal_iteratorINSC_10device_ptrIKxEEEESI_EEEEESK_NSA_INS5_IJNSC_16discard_iteratorINSC_11use_defaultEEESN_EEEEEPS7_SQ_SQ_NSC_11hip_rocprim7__merge17predicate_wrapperIxxNSC_4lessIxEEEEEE10hipError_tPvRmT0_T1_T2_T3_T4_T5_mmT6_P12ihipStream_tbEUlT_E_NS1_11comp_targetILNS1_3genE4ELNS1_11target_archE910ELNS1_3gpuE8ELNS1_3repE0EEENS1_30default_config_static_selectorELNS0_4arch9wavefront6targetE0EEEvS11_,"axG",@progbits,_ZN7rocprim17ROCPRIM_400000_NS6detail17trampoline_kernelINS0_14default_configENS1_21merge_config_selectorINS0_5tupleIJxxEEENS0_10empty_typeEEEZNS1_10merge_implIS3_NS0_12zip_iteratorINS5_IJN6thrust23THRUST_200600_302600_NS6detail15normal_iteratorINSC_10device_ptrIKxEEEESI_EEEEESK_NSA_INS5_IJNSC_16discard_iteratorINSC_11use_defaultEEESN_EEEEEPS7_SQ_SQ_NSC_11hip_rocprim7__merge17predicate_wrapperIxxNSC_4lessIxEEEEEE10hipError_tPvRmT0_T1_T2_T3_T4_T5_mmT6_P12ihipStream_tbEUlT_E_NS1_11comp_targetILNS1_3genE4ELNS1_11target_archE910ELNS1_3gpuE8ELNS1_3repE0EEENS1_30default_config_static_selectorELNS0_4arch9wavefront6targetE0EEEvS11_,comdat
	.protected	_ZN7rocprim17ROCPRIM_400000_NS6detail17trampoline_kernelINS0_14default_configENS1_21merge_config_selectorINS0_5tupleIJxxEEENS0_10empty_typeEEEZNS1_10merge_implIS3_NS0_12zip_iteratorINS5_IJN6thrust23THRUST_200600_302600_NS6detail15normal_iteratorINSC_10device_ptrIKxEEEESI_EEEEESK_NSA_INS5_IJNSC_16discard_iteratorINSC_11use_defaultEEESN_EEEEEPS7_SQ_SQ_NSC_11hip_rocprim7__merge17predicate_wrapperIxxNSC_4lessIxEEEEEE10hipError_tPvRmT0_T1_T2_T3_T4_T5_mmT6_P12ihipStream_tbEUlT_E_NS1_11comp_targetILNS1_3genE4ELNS1_11target_archE910ELNS1_3gpuE8ELNS1_3repE0EEENS1_30default_config_static_selectorELNS0_4arch9wavefront6targetE0EEEvS11_ ; -- Begin function _ZN7rocprim17ROCPRIM_400000_NS6detail17trampoline_kernelINS0_14default_configENS1_21merge_config_selectorINS0_5tupleIJxxEEENS0_10empty_typeEEEZNS1_10merge_implIS3_NS0_12zip_iteratorINS5_IJN6thrust23THRUST_200600_302600_NS6detail15normal_iteratorINSC_10device_ptrIKxEEEESI_EEEEESK_NSA_INS5_IJNSC_16discard_iteratorINSC_11use_defaultEEESN_EEEEEPS7_SQ_SQ_NSC_11hip_rocprim7__merge17predicate_wrapperIxxNSC_4lessIxEEEEEE10hipError_tPvRmT0_T1_T2_T3_T4_T5_mmT6_P12ihipStream_tbEUlT_E_NS1_11comp_targetILNS1_3genE4ELNS1_11target_archE910ELNS1_3gpuE8ELNS1_3repE0EEENS1_30default_config_static_selectorELNS0_4arch9wavefront6targetE0EEEvS11_
	.globl	_ZN7rocprim17ROCPRIM_400000_NS6detail17trampoline_kernelINS0_14default_configENS1_21merge_config_selectorINS0_5tupleIJxxEEENS0_10empty_typeEEEZNS1_10merge_implIS3_NS0_12zip_iteratorINS5_IJN6thrust23THRUST_200600_302600_NS6detail15normal_iteratorINSC_10device_ptrIKxEEEESI_EEEEESK_NSA_INS5_IJNSC_16discard_iteratorINSC_11use_defaultEEESN_EEEEEPS7_SQ_SQ_NSC_11hip_rocprim7__merge17predicate_wrapperIxxNSC_4lessIxEEEEEE10hipError_tPvRmT0_T1_T2_T3_T4_T5_mmT6_P12ihipStream_tbEUlT_E_NS1_11comp_targetILNS1_3genE4ELNS1_11target_archE910ELNS1_3gpuE8ELNS1_3repE0EEENS1_30default_config_static_selectorELNS0_4arch9wavefront6targetE0EEEvS11_
	.p2align	8
	.type	_ZN7rocprim17ROCPRIM_400000_NS6detail17trampoline_kernelINS0_14default_configENS1_21merge_config_selectorINS0_5tupleIJxxEEENS0_10empty_typeEEEZNS1_10merge_implIS3_NS0_12zip_iteratorINS5_IJN6thrust23THRUST_200600_302600_NS6detail15normal_iteratorINSC_10device_ptrIKxEEEESI_EEEEESK_NSA_INS5_IJNSC_16discard_iteratorINSC_11use_defaultEEESN_EEEEEPS7_SQ_SQ_NSC_11hip_rocprim7__merge17predicate_wrapperIxxNSC_4lessIxEEEEEE10hipError_tPvRmT0_T1_T2_T3_T4_T5_mmT6_P12ihipStream_tbEUlT_E_NS1_11comp_targetILNS1_3genE4ELNS1_11target_archE910ELNS1_3gpuE8ELNS1_3repE0EEENS1_30default_config_static_selectorELNS0_4arch9wavefront6targetE0EEEvS11_,@function
_ZN7rocprim17ROCPRIM_400000_NS6detail17trampoline_kernelINS0_14default_configENS1_21merge_config_selectorINS0_5tupleIJxxEEENS0_10empty_typeEEEZNS1_10merge_implIS3_NS0_12zip_iteratorINS5_IJN6thrust23THRUST_200600_302600_NS6detail15normal_iteratorINSC_10device_ptrIKxEEEESI_EEEEESK_NSA_INS5_IJNSC_16discard_iteratorINSC_11use_defaultEEESN_EEEEEPS7_SQ_SQ_NSC_11hip_rocprim7__merge17predicate_wrapperIxxNSC_4lessIxEEEEEE10hipError_tPvRmT0_T1_T2_T3_T4_T5_mmT6_P12ihipStream_tbEUlT_E_NS1_11comp_targetILNS1_3genE4ELNS1_11target_archE910ELNS1_3gpuE8ELNS1_3repE0EEENS1_30default_config_static_selectorELNS0_4arch9wavefront6targetE0EEEvS11_: ; @_ZN7rocprim17ROCPRIM_400000_NS6detail17trampoline_kernelINS0_14default_configENS1_21merge_config_selectorINS0_5tupleIJxxEEENS0_10empty_typeEEEZNS1_10merge_implIS3_NS0_12zip_iteratorINS5_IJN6thrust23THRUST_200600_302600_NS6detail15normal_iteratorINSC_10device_ptrIKxEEEESI_EEEEESK_NSA_INS5_IJNSC_16discard_iteratorINSC_11use_defaultEEESN_EEEEEPS7_SQ_SQ_NSC_11hip_rocprim7__merge17predicate_wrapperIxxNSC_4lessIxEEEEEE10hipError_tPvRmT0_T1_T2_T3_T4_T5_mmT6_P12ihipStream_tbEUlT_E_NS1_11comp_targetILNS1_3genE4ELNS1_11target_archE910ELNS1_3gpuE8ELNS1_3repE0EEENS1_30default_config_static_selectorELNS0_4arch9wavefront6targetE0EEEvS11_
; %bb.0:
	.section	.rodata,"a",@progbits
	.p2align	6, 0x0
	.amdhsa_kernel _ZN7rocprim17ROCPRIM_400000_NS6detail17trampoline_kernelINS0_14default_configENS1_21merge_config_selectorINS0_5tupleIJxxEEENS0_10empty_typeEEEZNS1_10merge_implIS3_NS0_12zip_iteratorINS5_IJN6thrust23THRUST_200600_302600_NS6detail15normal_iteratorINSC_10device_ptrIKxEEEESI_EEEEESK_NSA_INS5_IJNSC_16discard_iteratorINSC_11use_defaultEEESN_EEEEEPS7_SQ_SQ_NSC_11hip_rocprim7__merge17predicate_wrapperIxxNSC_4lessIxEEEEEE10hipError_tPvRmT0_T1_T2_T3_T4_T5_mmT6_P12ihipStream_tbEUlT_E_NS1_11comp_targetILNS1_3genE4ELNS1_11target_archE910ELNS1_3gpuE8ELNS1_3repE0EEENS1_30default_config_static_selectorELNS0_4arch9wavefront6targetE0EEEvS11_
		.amdhsa_group_segment_fixed_size 0
		.amdhsa_private_segment_fixed_size 0
		.amdhsa_kernarg_size 64
		.amdhsa_user_sgpr_count 2
		.amdhsa_user_sgpr_dispatch_ptr 0
		.amdhsa_user_sgpr_queue_ptr 0
		.amdhsa_user_sgpr_kernarg_segment_ptr 1
		.amdhsa_user_sgpr_dispatch_id 0
		.amdhsa_user_sgpr_kernarg_preload_length 0
		.amdhsa_user_sgpr_kernarg_preload_offset 0
		.amdhsa_user_sgpr_private_segment_size 0
		.amdhsa_wavefront_size32 1
		.amdhsa_uses_dynamic_stack 0
		.amdhsa_enable_private_segment 0
		.amdhsa_system_sgpr_workgroup_id_x 1
		.amdhsa_system_sgpr_workgroup_id_y 0
		.amdhsa_system_sgpr_workgroup_id_z 0
		.amdhsa_system_sgpr_workgroup_info 0
		.amdhsa_system_vgpr_workitem_id 0
		.amdhsa_next_free_vgpr 1
		.amdhsa_next_free_sgpr 1
		.amdhsa_named_barrier_count 0
		.amdhsa_reserve_vcc 0
		.amdhsa_float_round_mode_32 0
		.amdhsa_float_round_mode_16_64 0
		.amdhsa_float_denorm_mode_32 3
		.amdhsa_float_denorm_mode_16_64 3
		.amdhsa_fp16_overflow 0
		.amdhsa_memory_ordered 1
		.amdhsa_forward_progress 1
		.amdhsa_inst_pref_size 0
		.amdhsa_round_robin_scheduling 0
		.amdhsa_exception_fp_ieee_invalid_op 0
		.amdhsa_exception_fp_denorm_src 0
		.amdhsa_exception_fp_ieee_div_zero 0
		.amdhsa_exception_fp_ieee_overflow 0
		.amdhsa_exception_fp_ieee_underflow 0
		.amdhsa_exception_fp_ieee_inexact 0
		.amdhsa_exception_int_div_zero 0
	.end_amdhsa_kernel
	.section	.text._ZN7rocprim17ROCPRIM_400000_NS6detail17trampoline_kernelINS0_14default_configENS1_21merge_config_selectorINS0_5tupleIJxxEEENS0_10empty_typeEEEZNS1_10merge_implIS3_NS0_12zip_iteratorINS5_IJN6thrust23THRUST_200600_302600_NS6detail15normal_iteratorINSC_10device_ptrIKxEEEESI_EEEEESK_NSA_INS5_IJNSC_16discard_iteratorINSC_11use_defaultEEESN_EEEEEPS7_SQ_SQ_NSC_11hip_rocprim7__merge17predicate_wrapperIxxNSC_4lessIxEEEEEE10hipError_tPvRmT0_T1_T2_T3_T4_T5_mmT6_P12ihipStream_tbEUlT_E_NS1_11comp_targetILNS1_3genE4ELNS1_11target_archE910ELNS1_3gpuE8ELNS1_3repE0EEENS1_30default_config_static_selectorELNS0_4arch9wavefront6targetE0EEEvS11_,"axG",@progbits,_ZN7rocprim17ROCPRIM_400000_NS6detail17trampoline_kernelINS0_14default_configENS1_21merge_config_selectorINS0_5tupleIJxxEEENS0_10empty_typeEEEZNS1_10merge_implIS3_NS0_12zip_iteratorINS5_IJN6thrust23THRUST_200600_302600_NS6detail15normal_iteratorINSC_10device_ptrIKxEEEESI_EEEEESK_NSA_INS5_IJNSC_16discard_iteratorINSC_11use_defaultEEESN_EEEEEPS7_SQ_SQ_NSC_11hip_rocprim7__merge17predicate_wrapperIxxNSC_4lessIxEEEEEE10hipError_tPvRmT0_T1_T2_T3_T4_T5_mmT6_P12ihipStream_tbEUlT_E_NS1_11comp_targetILNS1_3genE4ELNS1_11target_archE910ELNS1_3gpuE8ELNS1_3repE0EEENS1_30default_config_static_selectorELNS0_4arch9wavefront6targetE0EEEvS11_,comdat
.Lfunc_end571:
	.size	_ZN7rocprim17ROCPRIM_400000_NS6detail17trampoline_kernelINS0_14default_configENS1_21merge_config_selectorINS0_5tupleIJxxEEENS0_10empty_typeEEEZNS1_10merge_implIS3_NS0_12zip_iteratorINS5_IJN6thrust23THRUST_200600_302600_NS6detail15normal_iteratorINSC_10device_ptrIKxEEEESI_EEEEESK_NSA_INS5_IJNSC_16discard_iteratorINSC_11use_defaultEEESN_EEEEEPS7_SQ_SQ_NSC_11hip_rocprim7__merge17predicate_wrapperIxxNSC_4lessIxEEEEEE10hipError_tPvRmT0_T1_T2_T3_T4_T5_mmT6_P12ihipStream_tbEUlT_E_NS1_11comp_targetILNS1_3genE4ELNS1_11target_archE910ELNS1_3gpuE8ELNS1_3repE0EEENS1_30default_config_static_selectorELNS0_4arch9wavefront6targetE0EEEvS11_, .Lfunc_end571-_ZN7rocprim17ROCPRIM_400000_NS6detail17trampoline_kernelINS0_14default_configENS1_21merge_config_selectorINS0_5tupleIJxxEEENS0_10empty_typeEEEZNS1_10merge_implIS3_NS0_12zip_iteratorINS5_IJN6thrust23THRUST_200600_302600_NS6detail15normal_iteratorINSC_10device_ptrIKxEEEESI_EEEEESK_NSA_INS5_IJNSC_16discard_iteratorINSC_11use_defaultEEESN_EEEEEPS7_SQ_SQ_NSC_11hip_rocprim7__merge17predicate_wrapperIxxNSC_4lessIxEEEEEE10hipError_tPvRmT0_T1_T2_T3_T4_T5_mmT6_P12ihipStream_tbEUlT_E_NS1_11comp_targetILNS1_3genE4ELNS1_11target_archE910ELNS1_3gpuE8ELNS1_3repE0EEENS1_30default_config_static_selectorELNS0_4arch9wavefront6targetE0EEEvS11_
                                        ; -- End function
	.set _ZN7rocprim17ROCPRIM_400000_NS6detail17trampoline_kernelINS0_14default_configENS1_21merge_config_selectorINS0_5tupleIJxxEEENS0_10empty_typeEEEZNS1_10merge_implIS3_NS0_12zip_iteratorINS5_IJN6thrust23THRUST_200600_302600_NS6detail15normal_iteratorINSC_10device_ptrIKxEEEESI_EEEEESK_NSA_INS5_IJNSC_16discard_iteratorINSC_11use_defaultEEESN_EEEEEPS7_SQ_SQ_NSC_11hip_rocprim7__merge17predicate_wrapperIxxNSC_4lessIxEEEEEE10hipError_tPvRmT0_T1_T2_T3_T4_T5_mmT6_P12ihipStream_tbEUlT_E_NS1_11comp_targetILNS1_3genE4ELNS1_11target_archE910ELNS1_3gpuE8ELNS1_3repE0EEENS1_30default_config_static_selectorELNS0_4arch9wavefront6targetE0EEEvS11_.num_vgpr, 0
	.set _ZN7rocprim17ROCPRIM_400000_NS6detail17trampoline_kernelINS0_14default_configENS1_21merge_config_selectorINS0_5tupleIJxxEEENS0_10empty_typeEEEZNS1_10merge_implIS3_NS0_12zip_iteratorINS5_IJN6thrust23THRUST_200600_302600_NS6detail15normal_iteratorINSC_10device_ptrIKxEEEESI_EEEEESK_NSA_INS5_IJNSC_16discard_iteratorINSC_11use_defaultEEESN_EEEEEPS7_SQ_SQ_NSC_11hip_rocprim7__merge17predicate_wrapperIxxNSC_4lessIxEEEEEE10hipError_tPvRmT0_T1_T2_T3_T4_T5_mmT6_P12ihipStream_tbEUlT_E_NS1_11comp_targetILNS1_3genE4ELNS1_11target_archE910ELNS1_3gpuE8ELNS1_3repE0EEENS1_30default_config_static_selectorELNS0_4arch9wavefront6targetE0EEEvS11_.num_agpr, 0
	.set _ZN7rocprim17ROCPRIM_400000_NS6detail17trampoline_kernelINS0_14default_configENS1_21merge_config_selectorINS0_5tupleIJxxEEENS0_10empty_typeEEEZNS1_10merge_implIS3_NS0_12zip_iteratorINS5_IJN6thrust23THRUST_200600_302600_NS6detail15normal_iteratorINSC_10device_ptrIKxEEEESI_EEEEESK_NSA_INS5_IJNSC_16discard_iteratorINSC_11use_defaultEEESN_EEEEEPS7_SQ_SQ_NSC_11hip_rocprim7__merge17predicate_wrapperIxxNSC_4lessIxEEEEEE10hipError_tPvRmT0_T1_T2_T3_T4_T5_mmT6_P12ihipStream_tbEUlT_E_NS1_11comp_targetILNS1_3genE4ELNS1_11target_archE910ELNS1_3gpuE8ELNS1_3repE0EEENS1_30default_config_static_selectorELNS0_4arch9wavefront6targetE0EEEvS11_.numbered_sgpr, 0
	.set _ZN7rocprim17ROCPRIM_400000_NS6detail17trampoline_kernelINS0_14default_configENS1_21merge_config_selectorINS0_5tupleIJxxEEENS0_10empty_typeEEEZNS1_10merge_implIS3_NS0_12zip_iteratorINS5_IJN6thrust23THRUST_200600_302600_NS6detail15normal_iteratorINSC_10device_ptrIKxEEEESI_EEEEESK_NSA_INS5_IJNSC_16discard_iteratorINSC_11use_defaultEEESN_EEEEEPS7_SQ_SQ_NSC_11hip_rocprim7__merge17predicate_wrapperIxxNSC_4lessIxEEEEEE10hipError_tPvRmT0_T1_T2_T3_T4_T5_mmT6_P12ihipStream_tbEUlT_E_NS1_11comp_targetILNS1_3genE4ELNS1_11target_archE910ELNS1_3gpuE8ELNS1_3repE0EEENS1_30default_config_static_selectorELNS0_4arch9wavefront6targetE0EEEvS11_.num_named_barrier, 0
	.set _ZN7rocprim17ROCPRIM_400000_NS6detail17trampoline_kernelINS0_14default_configENS1_21merge_config_selectorINS0_5tupleIJxxEEENS0_10empty_typeEEEZNS1_10merge_implIS3_NS0_12zip_iteratorINS5_IJN6thrust23THRUST_200600_302600_NS6detail15normal_iteratorINSC_10device_ptrIKxEEEESI_EEEEESK_NSA_INS5_IJNSC_16discard_iteratorINSC_11use_defaultEEESN_EEEEEPS7_SQ_SQ_NSC_11hip_rocprim7__merge17predicate_wrapperIxxNSC_4lessIxEEEEEE10hipError_tPvRmT0_T1_T2_T3_T4_T5_mmT6_P12ihipStream_tbEUlT_E_NS1_11comp_targetILNS1_3genE4ELNS1_11target_archE910ELNS1_3gpuE8ELNS1_3repE0EEENS1_30default_config_static_selectorELNS0_4arch9wavefront6targetE0EEEvS11_.private_seg_size, 0
	.set _ZN7rocprim17ROCPRIM_400000_NS6detail17trampoline_kernelINS0_14default_configENS1_21merge_config_selectorINS0_5tupleIJxxEEENS0_10empty_typeEEEZNS1_10merge_implIS3_NS0_12zip_iteratorINS5_IJN6thrust23THRUST_200600_302600_NS6detail15normal_iteratorINSC_10device_ptrIKxEEEESI_EEEEESK_NSA_INS5_IJNSC_16discard_iteratorINSC_11use_defaultEEESN_EEEEEPS7_SQ_SQ_NSC_11hip_rocprim7__merge17predicate_wrapperIxxNSC_4lessIxEEEEEE10hipError_tPvRmT0_T1_T2_T3_T4_T5_mmT6_P12ihipStream_tbEUlT_E_NS1_11comp_targetILNS1_3genE4ELNS1_11target_archE910ELNS1_3gpuE8ELNS1_3repE0EEENS1_30default_config_static_selectorELNS0_4arch9wavefront6targetE0EEEvS11_.uses_vcc, 0
	.set _ZN7rocprim17ROCPRIM_400000_NS6detail17trampoline_kernelINS0_14default_configENS1_21merge_config_selectorINS0_5tupleIJxxEEENS0_10empty_typeEEEZNS1_10merge_implIS3_NS0_12zip_iteratorINS5_IJN6thrust23THRUST_200600_302600_NS6detail15normal_iteratorINSC_10device_ptrIKxEEEESI_EEEEESK_NSA_INS5_IJNSC_16discard_iteratorINSC_11use_defaultEEESN_EEEEEPS7_SQ_SQ_NSC_11hip_rocprim7__merge17predicate_wrapperIxxNSC_4lessIxEEEEEE10hipError_tPvRmT0_T1_T2_T3_T4_T5_mmT6_P12ihipStream_tbEUlT_E_NS1_11comp_targetILNS1_3genE4ELNS1_11target_archE910ELNS1_3gpuE8ELNS1_3repE0EEENS1_30default_config_static_selectorELNS0_4arch9wavefront6targetE0EEEvS11_.uses_flat_scratch, 0
	.set _ZN7rocprim17ROCPRIM_400000_NS6detail17trampoline_kernelINS0_14default_configENS1_21merge_config_selectorINS0_5tupleIJxxEEENS0_10empty_typeEEEZNS1_10merge_implIS3_NS0_12zip_iteratorINS5_IJN6thrust23THRUST_200600_302600_NS6detail15normal_iteratorINSC_10device_ptrIKxEEEESI_EEEEESK_NSA_INS5_IJNSC_16discard_iteratorINSC_11use_defaultEEESN_EEEEEPS7_SQ_SQ_NSC_11hip_rocprim7__merge17predicate_wrapperIxxNSC_4lessIxEEEEEE10hipError_tPvRmT0_T1_T2_T3_T4_T5_mmT6_P12ihipStream_tbEUlT_E_NS1_11comp_targetILNS1_3genE4ELNS1_11target_archE910ELNS1_3gpuE8ELNS1_3repE0EEENS1_30default_config_static_selectorELNS0_4arch9wavefront6targetE0EEEvS11_.has_dyn_sized_stack, 0
	.set _ZN7rocprim17ROCPRIM_400000_NS6detail17trampoline_kernelINS0_14default_configENS1_21merge_config_selectorINS0_5tupleIJxxEEENS0_10empty_typeEEEZNS1_10merge_implIS3_NS0_12zip_iteratorINS5_IJN6thrust23THRUST_200600_302600_NS6detail15normal_iteratorINSC_10device_ptrIKxEEEESI_EEEEESK_NSA_INS5_IJNSC_16discard_iteratorINSC_11use_defaultEEESN_EEEEEPS7_SQ_SQ_NSC_11hip_rocprim7__merge17predicate_wrapperIxxNSC_4lessIxEEEEEE10hipError_tPvRmT0_T1_T2_T3_T4_T5_mmT6_P12ihipStream_tbEUlT_E_NS1_11comp_targetILNS1_3genE4ELNS1_11target_archE910ELNS1_3gpuE8ELNS1_3repE0EEENS1_30default_config_static_selectorELNS0_4arch9wavefront6targetE0EEEvS11_.has_recursion, 0
	.set _ZN7rocprim17ROCPRIM_400000_NS6detail17trampoline_kernelINS0_14default_configENS1_21merge_config_selectorINS0_5tupleIJxxEEENS0_10empty_typeEEEZNS1_10merge_implIS3_NS0_12zip_iteratorINS5_IJN6thrust23THRUST_200600_302600_NS6detail15normal_iteratorINSC_10device_ptrIKxEEEESI_EEEEESK_NSA_INS5_IJNSC_16discard_iteratorINSC_11use_defaultEEESN_EEEEEPS7_SQ_SQ_NSC_11hip_rocprim7__merge17predicate_wrapperIxxNSC_4lessIxEEEEEE10hipError_tPvRmT0_T1_T2_T3_T4_T5_mmT6_P12ihipStream_tbEUlT_E_NS1_11comp_targetILNS1_3genE4ELNS1_11target_archE910ELNS1_3gpuE8ELNS1_3repE0EEENS1_30default_config_static_selectorELNS0_4arch9wavefront6targetE0EEEvS11_.has_indirect_call, 0
	.section	.AMDGPU.csdata,"",@progbits
; Kernel info:
; codeLenInByte = 0
; TotalNumSgprs: 0
; NumVgprs: 0
; ScratchSize: 0
; MemoryBound: 0
; FloatMode: 240
; IeeeMode: 1
; LDSByteSize: 0 bytes/workgroup (compile time only)
; SGPRBlocks: 0
; VGPRBlocks: 0
; NumSGPRsForWavesPerEU: 1
; NumVGPRsForWavesPerEU: 1
; NamedBarCnt: 0
; Occupancy: 16
; WaveLimiterHint : 0
; COMPUTE_PGM_RSRC2:SCRATCH_EN: 0
; COMPUTE_PGM_RSRC2:USER_SGPR: 2
; COMPUTE_PGM_RSRC2:TRAP_HANDLER: 0
; COMPUTE_PGM_RSRC2:TGID_X_EN: 1
; COMPUTE_PGM_RSRC2:TGID_Y_EN: 0
; COMPUTE_PGM_RSRC2:TGID_Z_EN: 0
; COMPUTE_PGM_RSRC2:TIDIG_COMP_CNT: 0
	.section	.text._ZN7rocprim17ROCPRIM_400000_NS6detail17trampoline_kernelINS0_14default_configENS1_21merge_config_selectorINS0_5tupleIJxxEEENS0_10empty_typeEEEZNS1_10merge_implIS3_NS0_12zip_iteratorINS5_IJN6thrust23THRUST_200600_302600_NS6detail15normal_iteratorINSC_10device_ptrIKxEEEESI_EEEEESK_NSA_INS5_IJNSC_16discard_iteratorINSC_11use_defaultEEESN_EEEEEPS7_SQ_SQ_NSC_11hip_rocprim7__merge17predicate_wrapperIxxNSC_4lessIxEEEEEE10hipError_tPvRmT0_T1_T2_T3_T4_T5_mmT6_P12ihipStream_tbEUlT_E_NS1_11comp_targetILNS1_3genE3ELNS1_11target_archE908ELNS1_3gpuE7ELNS1_3repE0EEENS1_30default_config_static_selectorELNS0_4arch9wavefront6targetE0EEEvS11_,"axG",@progbits,_ZN7rocprim17ROCPRIM_400000_NS6detail17trampoline_kernelINS0_14default_configENS1_21merge_config_selectorINS0_5tupleIJxxEEENS0_10empty_typeEEEZNS1_10merge_implIS3_NS0_12zip_iteratorINS5_IJN6thrust23THRUST_200600_302600_NS6detail15normal_iteratorINSC_10device_ptrIKxEEEESI_EEEEESK_NSA_INS5_IJNSC_16discard_iteratorINSC_11use_defaultEEESN_EEEEEPS7_SQ_SQ_NSC_11hip_rocprim7__merge17predicate_wrapperIxxNSC_4lessIxEEEEEE10hipError_tPvRmT0_T1_T2_T3_T4_T5_mmT6_P12ihipStream_tbEUlT_E_NS1_11comp_targetILNS1_3genE3ELNS1_11target_archE908ELNS1_3gpuE7ELNS1_3repE0EEENS1_30default_config_static_selectorELNS0_4arch9wavefront6targetE0EEEvS11_,comdat
	.protected	_ZN7rocprim17ROCPRIM_400000_NS6detail17trampoline_kernelINS0_14default_configENS1_21merge_config_selectorINS0_5tupleIJxxEEENS0_10empty_typeEEEZNS1_10merge_implIS3_NS0_12zip_iteratorINS5_IJN6thrust23THRUST_200600_302600_NS6detail15normal_iteratorINSC_10device_ptrIKxEEEESI_EEEEESK_NSA_INS5_IJNSC_16discard_iteratorINSC_11use_defaultEEESN_EEEEEPS7_SQ_SQ_NSC_11hip_rocprim7__merge17predicate_wrapperIxxNSC_4lessIxEEEEEE10hipError_tPvRmT0_T1_T2_T3_T4_T5_mmT6_P12ihipStream_tbEUlT_E_NS1_11comp_targetILNS1_3genE3ELNS1_11target_archE908ELNS1_3gpuE7ELNS1_3repE0EEENS1_30default_config_static_selectorELNS0_4arch9wavefront6targetE0EEEvS11_ ; -- Begin function _ZN7rocprim17ROCPRIM_400000_NS6detail17trampoline_kernelINS0_14default_configENS1_21merge_config_selectorINS0_5tupleIJxxEEENS0_10empty_typeEEEZNS1_10merge_implIS3_NS0_12zip_iteratorINS5_IJN6thrust23THRUST_200600_302600_NS6detail15normal_iteratorINSC_10device_ptrIKxEEEESI_EEEEESK_NSA_INS5_IJNSC_16discard_iteratorINSC_11use_defaultEEESN_EEEEEPS7_SQ_SQ_NSC_11hip_rocprim7__merge17predicate_wrapperIxxNSC_4lessIxEEEEEE10hipError_tPvRmT0_T1_T2_T3_T4_T5_mmT6_P12ihipStream_tbEUlT_E_NS1_11comp_targetILNS1_3genE3ELNS1_11target_archE908ELNS1_3gpuE7ELNS1_3repE0EEENS1_30default_config_static_selectorELNS0_4arch9wavefront6targetE0EEEvS11_
	.globl	_ZN7rocprim17ROCPRIM_400000_NS6detail17trampoline_kernelINS0_14default_configENS1_21merge_config_selectorINS0_5tupleIJxxEEENS0_10empty_typeEEEZNS1_10merge_implIS3_NS0_12zip_iteratorINS5_IJN6thrust23THRUST_200600_302600_NS6detail15normal_iteratorINSC_10device_ptrIKxEEEESI_EEEEESK_NSA_INS5_IJNSC_16discard_iteratorINSC_11use_defaultEEESN_EEEEEPS7_SQ_SQ_NSC_11hip_rocprim7__merge17predicate_wrapperIxxNSC_4lessIxEEEEEE10hipError_tPvRmT0_T1_T2_T3_T4_T5_mmT6_P12ihipStream_tbEUlT_E_NS1_11comp_targetILNS1_3genE3ELNS1_11target_archE908ELNS1_3gpuE7ELNS1_3repE0EEENS1_30default_config_static_selectorELNS0_4arch9wavefront6targetE0EEEvS11_
	.p2align	8
	.type	_ZN7rocprim17ROCPRIM_400000_NS6detail17trampoline_kernelINS0_14default_configENS1_21merge_config_selectorINS0_5tupleIJxxEEENS0_10empty_typeEEEZNS1_10merge_implIS3_NS0_12zip_iteratorINS5_IJN6thrust23THRUST_200600_302600_NS6detail15normal_iteratorINSC_10device_ptrIKxEEEESI_EEEEESK_NSA_INS5_IJNSC_16discard_iteratorINSC_11use_defaultEEESN_EEEEEPS7_SQ_SQ_NSC_11hip_rocprim7__merge17predicate_wrapperIxxNSC_4lessIxEEEEEE10hipError_tPvRmT0_T1_T2_T3_T4_T5_mmT6_P12ihipStream_tbEUlT_E_NS1_11comp_targetILNS1_3genE3ELNS1_11target_archE908ELNS1_3gpuE7ELNS1_3repE0EEENS1_30default_config_static_selectorELNS0_4arch9wavefront6targetE0EEEvS11_,@function
_ZN7rocprim17ROCPRIM_400000_NS6detail17trampoline_kernelINS0_14default_configENS1_21merge_config_selectorINS0_5tupleIJxxEEENS0_10empty_typeEEEZNS1_10merge_implIS3_NS0_12zip_iteratorINS5_IJN6thrust23THRUST_200600_302600_NS6detail15normal_iteratorINSC_10device_ptrIKxEEEESI_EEEEESK_NSA_INS5_IJNSC_16discard_iteratorINSC_11use_defaultEEESN_EEEEEPS7_SQ_SQ_NSC_11hip_rocprim7__merge17predicate_wrapperIxxNSC_4lessIxEEEEEE10hipError_tPvRmT0_T1_T2_T3_T4_T5_mmT6_P12ihipStream_tbEUlT_E_NS1_11comp_targetILNS1_3genE3ELNS1_11target_archE908ELNS1_3gpuE7ELNS1_3repE0EEENS1_30default_config_static_selectorELNS0_4arch9wavefront6targetE0EEEvS11_: ; @_ZN7rocprim17ROCPRIM_400000_NS6detail17trampoline_kernelINS0_14default_configENS1_21merge_config_selectorINS0_5tupleIJxxEEENS0_10empty_typeEEEZNS1_10merge_implIS3_NS0_12zip_iteratorINS5_IJN6thrust23THRUST_200600_302600_NS6detail15normal_iteratorINSC_10device_ptrIKxEEEESI_EEEEESK_NSA_INS5_IJNSC_16discard_iteratorINSC_11use_defaultEEESN_EEEEEPS7_SQ_SQ_NSC_11hip_rocprim7__merge17predicate_wrapperIxxNSC_4lessIxEEEEEE10hipError_tPvRmT0_T1_T2_T3_T4_T5_mmT6_P12ihipStream_tbEUlT_E_NS1_11comp_targetILNS1_3genE3ELNS1_11target_archE908ELNS1_3gpuE7ELNS1_3repE0EEENS1_30default_config_static_selectorELNS0_4arch9wavefront6targetE0EEEvS11_
; %bb.0:
	.section	.rodata,"a",@progbits
	.p2align	6, 0x0
	.amdhsa_kernel _ZN7rocprim17ROCPRIM_400000_NS6detail17trampoline_kernelINS0_14default_configENS1_21merge_config_selectorINS0_5tupleIJxxEEENS0_10empty_typeEEEZNS1_10merge_implIS3_NS0_12zip_iteratorINS5_IJN6thrust23THRUST_200600_302600_NS6detail15normal_iteratorINSC_10device_ptrIKxEEEESI_EEEEESK_NSA_INS5_IJNSC_16discard_iteratorINSC_11use_defaultEEESN_EEEEEPS7_SQ_SQ_NSC_11hip_rocprim7__merge17predicate_wrapperIxxNSC_4lessIxEEEEEE10hipError_tPvRmT0_T1_T2_T3_T4_T5_mmT6_P12ihipStream_tbEUlT_E_NS1_11comp_targetILNS1_3genE3ELNS1_11target_archE908ELNS1_3gpuE7ELNS1_3repE0EEENS1_30default_config_static_selectorELNS0_4arch9wavefront6targetE0EEEvS11_
		.amdhsa_group_segment_fixed_size 0
		.amdhsa_private_segment_fixed_size 0
		.amdhsa_kernarg_size 64
		.amdhsa_user_sgpr_count 2
		.amdhsa_user_sgpr_dispatch_ptr 0
		.amdhsa_user_sgpr_queue_ptr 0
		.amdhsa_user_sgpr_kernarg_segment_ptr 1
		.amdhsa_user_sgpr_dispatch_id 0
		.amdhsa_user_sgpr_kernarg_preload_length 0
		.amdhsa_user_sgpr_kernarg_preload_offset 0
		.amdhsa_user_sgpr_private_segment_size 0
		.amdhsa_wavefront_size32 1
		.amdhsa_uses_dynamic_stack 0
		.amdhsa_enable_private_segment 0
		.amdhsa_system_sgpr_workgroup_id_x 1
		.amdhsa_system_sgpr_workgroup_id_y 0
		.amdhsa_system_sgpr_workgroup_id_z 0
		.amdhsa_system_sgpr_workgroup_info 0
		.amdhsa_system_vgpr_workitem_id 0
		.amdhsa_next_free_vgpr 1
		.amdhsa_next_free_sgpr 1
		.amdhsa_named_barrier_count 0
		.amdhsa_reserve_vcc 0
		.amdhsa_float_round_mode_32 0
		.amdhsa_float_round_mode_16_64 0
		.amdhsa_float_denorm_mode_32 3
		.amdhsa_float_denorm_mode_16_64 3
		.amdhsa_fp16_overflow 0
		.amdhsa_memory_ordered 1
		.amdhsa_forward_progress 1
		.amdhsa_inst_pref_size 0
		.amdhsa_round_robin_scheduling 0
		.amdhsa_exception_fp_ieee_invalid_op 0
		.amdhsa_exception_fp_denorm_src 0
		.amdhsa_exception_fp_ieee_div_zero 0
		.amdhsa_exception_fp_ieee_overflow 0
		.amdhsa_exception_fp_ieee_underflow 0
		.amdhsa_exception_fp_ieee_inexact 0
		.amdhsa_exception_int_div_zero 0
	.end_amdhsa_kernel
	.section	.text._ZN7rocprim17ROCPRIM_400000_NS6detail17trampoline_kernelINS0_14default_configENS1_21merge_config_selectorINS0_5tupleIJxxEEENS0_10empty_typeEEEZNS1_10merge_implIS3_NS0_12zip_iteratorINS5_IJN6thrust23THRUST_200600_302600_NS6detail15normal_iteratorINSC_10device_ptrIKxEEEESI_EEEEESK_NSA_INS5_IJNSC_16discard_iteratorINSC_11use_defaultEEESN_EEEEEPS7_SQ_SQ_NSC_11hip_rocprim7__merge17predicate_wrapperIxxNSC_4lessIxEEEEEE10hipError_tPvRmT0_T1_T2_T3_T4_T5_mmT6_P12ihipStream_tbEUlT_E_NS1_11comp_targetILNS1_3genE3ELNS1_11target_archE908ELNS1_3gpuE7ELNS1_3repE0EEENS1_30default_config_static_selectorELNS0_4arch9wavefront6targetE0EEEvS11_,"axG",@progbits,_ZN7rocprim17ROCPRIM_400000_NS6detail17trampoline_kernelINS0_14default_configENS1_21merge_config_selectorINS0_5tupleIJxxEEENS0_10empty_typeEEEZNS1_10merge_implIS3_NS0_12zip_iteratorINS5_IJN6thrust23THRUST_200600_302600_NS6detail15normal_iteratorINSC_10device_ptrIKxEEEESI_EEEEESK_NSA_INS5_IJNSC_16discard_iteratorINSC_11use_defaultEEESN_EEEEEPS7_SQ_SQ_NSC_11hip_rocprim7__merge17predicate_wrapperIxxNSC_4lessIxEEEEEE10hipError_tPvRmT0_T1_T2_T3_T4_T5_mmT6_P12ihipStream_tbEUlT_E_NS1_11comp_targetILNS1_3genE3ELNS1_11target_archE908ELNS1_3gpuE7ELNS1_3repE0EEENS1_30default_config_static_selectorELNS0_4arch9wavefront6targetE0EEEvS11_,comdat
.Lfunc_end572:
	.size	_ZN7rocprim17ROCPRIM_400000_NS6detail17trampoline_kernelINS0_14default_configENS1_21merge_config_selectorINS0_5tupleIJxxEEENS0_10empty_typeEEEZNS1_10merge_implIS3_NS0_12zip_iteratorINS5_IJN6thrust23THRUST_200600_302600_NS6detail15normal_iteratorINSC_10device_ptrIKxEEEESI_EEEEESK_NSA_INS5_IJNSC_16discard_iteratorINSC_11use_defaultEEESN_EEEEEPS7_SQ_SQ_NSC_11hip_rocprim7__merge17predicate_wrapperIxxNSC_4lessIxEEEEEE10hipError_tPvRmT0_T1_T2_T3_T4_T5_mmT6_P12ihipStream_tbEUlT_E_NS1_11comp_targetILNS1_3genE3ELNS1_11target_archE908ELNS1_3gpuE7ELNS1_3repE0EEENS1_30default_config_static_selectorELNS0_4arch9wavefront6targetE0EEEvS11_, .Lfunc_end572-_ZN7rocprim17ROCPRIM_400000_NS6detail17trampoline_kernelINS0_14default_configENS1_21merge_config_selectorINS0_5tupleIJxxEEENS0_10empty_typeEEEZNS1_10merge_implIS3_NS0_12zip_iteratorINS5_IJN6thrust23THRUST_200600_302600_NS6detail15normal_iteratorINSC_10device_ptrIKxEEEESI_EEEEESK_NSA_INS5_IJNSC_16discard_iteratorINSC_11use_defaultEEESN_EEEEEPS7_SQ_SQ_NSC_11hip_rocprim7__merge17predicate_wrapperIxxNSC_4lessIxEEEEEE10hipError_tPvRmT0_T1_T2_T3_T4_T5_mmT6_P12ihipStream_tbEUlT_E_NS1_11comp_targetILNS1_3genE3ELNS1_11target_archE908ELNS1_3gpuE7ELNS1_3repE0EEENS1_30default_config_static_selectorELNS0_4arch9wavefront6targetE0EEEvS11_
                                        ; -- End function
	.set _ZN7rocprim17ROCPRIM_400000_NS6detail17trampoline_kernelINS0_14default_configENS1_21merge_config_selectorINS0_5tupleIJxxEEENS0_10empty_typeEEEZNS1_10merge_implIS3_NS0_12zip_iteratorINS5_IJN6thrust23THRUST_200600_302600_NS6detail15normal_iteratorINSC_10device_ptrIKxEEEESI_EEEEESK_NSA_INS5_IJNSC_16discard_iteratorINSC_11use_defaultEEESN_EEEEEPS7_SQ_SQ_NSC_11hip_rocprim7__merge17predicate_wrapperIxxNSC_4lessIxEEEEEE10hipError_tPvRmT0_T1_T2_T3_T4_T5_mmT6_P12ihipStream_tbEUlT_E_NS1_11comp_targetILNS1_3genE3ELNS1_11target_archE908ELNS1_3gpuE7ELNS1_3repE0EEENS1_30default_config_static_selectorELNS0_4arch9wavefront6targetE0EEEvS11_.num_vgpr, 0
	.set _ZN7rocprim17ROCPRIM_400000_NS6detail17trampoline_kernelINS0_14default_configENS1_21merge_config_selectorINS0_5tupleIJxxEEENS0_10empty_typeEEEZNS1_10merge_implIS3_NS0_12zip_iteratorINS5_IJN6thrust23THRUST_200600_302600_NS6detail15normal_iteratorINSC_10device_ptrIKxEEEESI_EEEEESK_NSA_INS5_IJNSC_16discard_iteratorINSC_11use_defaultEEESN_EEEEEPS7_SQ_SQ_NSC_11hip_rocprim7__merge17predicate_wrapperIxxNSC_4lessIxEEEEEE10hipError_tPvRmT0_T1_T2_T3_T4_T5_mmT6_P12ihipStream_tbEUlT_E_NS1_11comp_targetILNS1_3genE3ELNS1_11target_archE908ELNS1_3gpuE7ELNS1_3repE0EEENS1_30default_config_static_selectorELNS0_4arch9wavefront6targetE0EEEvS11_.num_agpr, 0
	.set _ZN7rocprim17ROCPRIM_400000_NS6detail17trampoline_kernelINS0_14default_configENS1_21merge_config_selectorINS0_5tupleIJxxEEENS0_10empty_typeEEEZNS1_10merge_implIS3_NS0_12zip_iteratorINS5_IJN6thrust23THRUST_200600_302600_NS6detail15normal_iteratorINSC_10device_ptrIKxEEEESI_EEEEESK_NSA_INS5_IJNSC_16discard_iteratorINSC_11use_defaultEEESN_EEEEEPS7_SQ_SQ_NSC_11hip_rocprim7__merge17predicate_wrapperIxxNSC_4lessIxEEEEEE10hipError_tPvRmT0_T1_T2_T3_T4_T5_mmT6_P12ihipStream_tbEUlT_E_NS1_11comp_targetILNS1_3genE3ELNS1_11target_archE908ELNS1_3gpuE7ELNS1_3repE0EEENS1_30default_config_static_selectorELNS0_4arch9wavefront6targetE0EEEvS11_.numbered_sgpr, 0
	.set _ZN7rocprim17ROCPRIM_400000_NS6detail17trampoline_kernelINS0_14default_configENS1_21merge_config_selectorINS0_5tupleIJxxEEENS0_10empty_typeEEEZNS1_10merge_implIS3_NS0_12zip_iteratorINS5_IJN6thrust23THRUST_200600_302600_NS6detail15normal_iteratorINSC_10device_ptrIKxEEEESI_EEEEESK_NSA_INS5_IJNSC_16discard_iteratorINSC_11use_defaultEEESN_EEEEEPS7_SQ_SQ_NSC_11hip_rocprim7__merge17predicate_wrapperIxxNSC_4lessIxEEEEEE10hipError_tPvRmT0_T1_T2_T3_T4_T5_mmT6_P12ihipStream_tbEUlT_E_NS1_11comp_targetILNS1_3genE3ELNS1_11target_archE908ELNS1_3gpuE7ELNS1_3repE0EEENS1_30default_config_static_selectorELNS0_4arch9wavefront6targetE0EEEvS11_.num_named_barrier, 0
	.set _ZN7rocprim17ROCPRIM_400000_NS6detail17trampoline_kernelINS0_14default_configENS1_21merge_config_selectorINS0_5tupleIJxxEEENS0_10empty_typeEEEZNS1_10merge_implIS3_NS0_12zip_iteratorINS5_IJN6thrust23THRUST_200600_302600_NS6detail15normal_iteratorINSC_10device_ptrIKxEEEESI_EEEEESK_NSA_INS5_IJNSC_16discard_iteratorINSC_11use_defaultEEESN_EEEEEPS7_SQ_SQ_NSC_11hip_rocprim7__merge17predicate_wrapperIxxNSC_4lessIxEEEEEE10hipError_tPvRmT0_T1_T2_T3_T4_T5_mmT6_P12ihipStream_tbEUlT_E_NS1_11comp_targetILNS1_3genE3ELNS1_11target_archE908ELNS1_3gpuE7ELNS1_3repE0EEENS1_30default_config_static_selectorELNS0_4arch9wavefront6targetE0EEEvS11_.private_seg_size, 0
	.set _ZN7rocprim17ROCPRIM_400000_NS6detail17trampoline_kernelINS0_14default_configENS1_21merge_config_selectorINS0_5tupleIJxxEEENS0_10empty_typeEEEZNS1_10merge_implIS3_NS0_12zip_iteratorINS5_IJN6thrust23THRUST_200600_302600_NS6detail15normal_iteratorINSC_10device_ptrIKxEEEESI_EEEEESK_NSA_INS5_IJNSC_16discard_iteratorINSC_11use_defaultEEESN_EEEEEPS7_SQ_SQ_NSC_11hip_rocprim7__merge17predicate_wrapperIxxNSC_4lessIxEEEEEE10hipError_tPvRmT0_T1_T2_T3_T4_T5_mmT6_P12ihipStream_tbEUlT_E_NS1_11comp_targetILNS1_3genE3ELNS1_11target_archE908ELNS1_3gpuE7ELNS1_3repE0EEENS1_30default_config_static_selectorELNS0_4arch9wavefront6targetE0EEEvS11_.uses_vcc, 0
	.set _ZN7rocprim17ROCPRIM_400000_NS6detail17trampoline_kernelINS0_14default_configENS1_21merge_config_selectorINS0_5tupleIJxxEEENS0_10empty_typeEEEZNS1_10merge_implIS3_NS0_12zip_iteratorINS5_IJN6thrust23THRUST_200600_302600_NS6detail15normal_iteratorINSC_10device_ptrIKxEEEESI_EEEEESK_NSA_INS5_IJNSC_16discard_iteratorINSC_11use_defaultEEESN_EEEEEPS7_SQ_SQ_NSC_11hip_rocprim7__merge17predicate_wrapperIxxNSC_4lessIxEEEEEE10hipError_tPvRmT0_T1_T2_T3_T4_T5_mmT6_P12ihipStream_tbEUlT_E_NS1_11comp_targetILNS1_3genE3ELNS1_11target_archE908ELNS1_3gpuE7ELNS1_3repE0EEENS1_30default_config_static_selectorELNS0_4arch9wavefront6targetE0EEEvS11_.uses_flat_scratch, 0
	.set _ZN7rocprim17ROCPRIM_400000_NS6detail17trampoline_kernelINS0_14default_configENS1_21merge_config_selectorINS0_5tupleIJxxEEENS0_10empty_typeEEEZNS1_10merge_implIS3_NS0_12zip_iteratorINS5_IJN6thrust23THRUST_200600_302600_NS6detail15normal_iteratorINSC_10device_ptrIKxEEEESI_EEEEESK_NSA_INS5_IJNSC_16discard_iteratorINSC_11use_defaultEEESN_EEEEEPS7_SQ_SQ_NSC_11hip_rocprim7__merge17predicate_wrapperIxxNSC_4lessIxEEEEEE10hipError_tPvRmT0_T1_T2_T3_T4_T5_mmT6_P12ihipStream_tbEUlT_E_NS1_11comp_targetILNS1_3genE3ELNS1_11target_archE908ELNS1_3gpuE7ELNS1_3repE0EEENS1_30default_config_static_selectorELNS0_4arch9wavefront6targetE0EEEvS11_.has_dyn_sized_stack, 0
	.set _ZN7rocprim17ROCPRIM_400000_NS6detail17trampoline_kernelINS0_14default_configENS1_21merge_config_selectorINS0_5tupleIJxxEEENS0_10empty_typeEEEZNS1_10merge_implIS3_NS0_12zip_iteratorINS5_IJN6thrust23THRUST_200600_302600_NS6detail15normal_iteratorINSC_10device_ptrIKxEEEESI_EEEEESK_NSA_INS5_IJNSC_16discard_iteratorINSC_11use_defaultEEESN_EEEEEPS7_SQ_SQ_NSC_11hip_rocprim7__merge17predicate_wrapperIxxNSC_4lessIxEEEEEE10hipError_tPvRmT0_T1_T2_T3_T4_T5_mmT6_P12ihipStream_tbEUlT_E_NS1_11comp_targetILNS1_3genE3ELNS1_11target_archE908ELNS1_3gpuE7ELNS1_3repE0EEENS1_30default_config_static_selectorELNS0_4arch9wavefront6targetE0EEEvS11_.has_recursion, 0
	.set _ZN7rocprim17ROCPRIM_400000_NS6detail17trampoline_kernelINS0_14default_configENS1_21merge_config_selectorINS0_5tupleIJxxEEENS0_10empty_typeEEEZNS1_10merge_implIS3_NS0_12zip_iteratorINS5_IJN6thrust23THRUST_200600_302600_NS6detail15normal_iteratorINSC_10device_ptrIKxEEEESI_EEEEESK_NSA_INS5_IJNSC_16discard_iteratorINSC_11use_defaultEEESN_EEEEEPS7_SQ_SQ_NSC_11hip_rocprim7__merge17predicate_wrapperIxxNSC_4lessIxEEEEEE10hipError_tPvRmT0_T1_T2_T3_T4_T5_mmT6_P12ihipStream_tbEUlT_E_NS1_11comp_targetILNS1_3genE3ELNS1_11target_archE908ELNS1_3gpuE7ELNS1_3repE0EEENS1_30default_config_static_selectorELNS0_4arch9wavefront6targetE0EEEvS11_.has_indirect_call, 0
	.section	.AMDGPU.csdata,"",@progbits
; Kernel info:
; codeLenInByte = 0
; TotalNumSgprs: 0
; NumVgprs: 0
; ScratchSize: 0
; MemoryBound: 0
; FloatMode: 240
; IeeeMode: 1
; LDSByteSize: 0 bytes/workgroup (compile time only)
; SGPRBlocks: 0
; VGPRBlocks: 0
; NumSGPRsForWavesPerEU: 1
; NumVGPRsForWavesPerEU: 1
; NamedBarCnt: 0
; Occupancy: 16
; WaveLimiterHint : 0
; COMPUTE_PGM_RSRC2:SCRATCH_EN: 0
; COMPUTE_PGM_RSRC2:USER_SGPR: 2
; COMPUTE_PGM_RSRC2:TRAP_HANDLER: 0
; COMPUTE_PGM_RSRC2:TGID_X_EN: 1
; COMPUTE_PGM_RSRC2:TGID_Y_EN: 0
; COMPUTE_PGM_RSRC2:TGID_Z_EN: 0
; COMPUTE_PGM_RSRC2:TIDIG_COMP_CNT: 0
	.section	.text._ZN7rocprim17ROCPRIM_400000_NS6detail17trampoline_kernelINS0_14default_configENS1_21merge_config_selectorINS0_5tupleIJxxEEENS0_10empty_typeEEEZNS1_10merge_implIS3_NS0_12zip_iteratorINS5_IJN6thrust23THRUST_200600_302600_NS6detail15normal_iteratorINSC_10device_ptrIKxEEEESI_EEEEESK_NSA_INS5_IJNSC_16discard_iteratorINSC_11use_defaultEEESN_EEEEEPS7_SQ_SQ_NSC_11hip_rocprim7__merge17predicate_wrapperIxxNSC_4lessIxEEEEEE10hipError_tPvRmT0_T1_T2_T3_T4_T5_mmT6_P12ihipStream_tbEUlT_E_NS1_11comp_targetILNS1_3genE2ELNS1_11target_archE906ELNS1_3gpuE6ELNS1_3repE0EEENS1_30default_config_static_selectorELNS0_4arch9wavefront6targetE0EEEvS11_,"axG",@progbits,_ZN7rocprim17ROCPRIM_400000_NS6detail17trampoline_kernelINS0_14default_configENS1_21merge_config_selectorINS0_5tupleIJxxEEENS0_10empty_typeEEEZNS1_10merge_implIS3_NS0_12zip_iteratorINS5_IJN6thrust23THRUST_200600_302600_NS6detail15normal_iteratorINSC_10device_ptrIKxEEEESI_EEEEESK_NSA_INS5_IJNSC_16discard_iteratorINSC_11use_defaultEEESN_EEEEEPS7_SQ_SQ_NSC_11hip_rocprim7__merge17predicate_wrapperIxxNSC_4lessIxEEEEEE10hipError_tPvRmT0_T1_T2_T3_T4_T5_mmT6_P12ihipStream_tbEUlT_E_NS1_11comp_targetILNS1_3genE2ELNS1_11target_archE906ELNS1_3gpuE6ELNS1_3repE0EEENS1_30default_config_static_selectorELNS0_4arch9wavefront6targetE0EEEvS11_,comdat
	.protected	_ZN7rocprim17ROCPRIM_400000_NS6detail17trampoline_kernelINS0_14default_configENS1_21merge_config_selectorINS0_5tupleIJxxEEENS0_10empty_typeEEEZNS1_10merge_implIS3_NS0_12zip_iteratorINS5_IJN6thrust23THRUST_200600_302600_NS6detail15normal_iteratorINSC_10device_ptrIKxEEEESI_EEEEESK_NSA_INS5_IJNSC_16discard_iteratorINSC_11use_defaultEEESN_EEEEEPS7_SQ_SQ_NSC_11hip_rocprim7__merge17predicate_wrapperIxxNSC_4lessIxEEEEEE10hipError_tPvRmT0_T1_T2_T3_T4_T5_mmT6_P12ihipStream_tbEUlT_E_NS1_11comp_targetILNS1_3genE2ELNS1_11target_archE906ELNS1_3gpuE6ELNS1_3repE0EEENS1_30default_config_static_selectorELNS0_4arch9wavefront6targetE0EEEvS11_ ; -- Begin function _ZN7rocprim17ROCPRIM_400000_NS6detail17trampoline_kernelINS0_14default_configENS1_21merge_config_selectorINS0_5tupleIJxxEEENS0_10empty_typeEEEZNS1_10merge_implIS3_NS0_12zip_iteratorINS5_IJN6thrust23THRUST_200600_302600_NS6detail15normal_iteratorINSC_10device_ptrIKxEEEESI_EEEEESK_NSA_INS5_IJNSC_16discard_iteratorINSC_11use_defaultEEESN_EEEEEPS7_SQ_SQ_NSC_11hip_rocprim7__merge17predicate_wrapperIxxNSC_4lessIxEEEEEE10hipError_tPvRmT0_T1_T2_T3_T4_T5_mmT6_P12ihipStream_tbEUlT_E_NS1_11comp_targetILNS1_3genE2ELNS1_11target_archE906ELNS1_3gpuE6ELNS1_3repE0EEENS1_30default_config_static_selectorELNS0_4arch9wavefront6targetE0EEEvS11_
	.globl	_ZN7rocprim17ROCPRIM_400000_NS6detail17trampoline_kernelINS0_14default_configENS1_21merge_config_selectorINS0_5tupleIJxxEEENS0_10empty_typeEEEZNS1_10merge_implIS3_NS0_12zip_iteratorINS5_IJN6thrust23THRUST_200600_302600_NS6detail15normal_iteratorINSC_10device_ptrIKxEEEESI_EEEEESK_NSA_INS5_IJNSC_16discard_iteratorINSC_11use_defaultEEESN_EEEEEPS7_SQ_SQ_NSC_11hip_rocprim7__merge17predicate_wrapperIxxNSC_4lessIxEEEEEE10hipError_tPvRmT0_T1_T2_T3_T4_T5_mmT6_P12ihipStream_tbEUlT_E_NS1_11comp_targetILNS1_3genE2ELNS1_11target_archE906ELNS1_3gpuE6ELNS1_3repE0EEENS1_30default_config_static_selectorELNS0_4arch9wavefront6targetE0EEEvS11_
	.p2align	8
	.type	_ZN7rocprim17ROCPRIM_400000_NS6detail17trampoline_kernelINS0_14default_configENS1_21merge_config_selectorINS0_5tupleIJxxEEENS0_10empty_typeEEEZNS1_10merge_implIS3_NS0_12zip_iteratorINS5_IJN6thrust23THRUST_200600_302600_NS6detail15normal_iteratorINSC_10device_ptrIKxEEEESI_EEEEESK_NSA_INS5_IJNSC_16discard_iteratorINSC_11use_defaultEEESN_EEEEEPS7_SQ_SQ_NSC_11hip_rocprim7__merge17predicate_wrapperIxxNSC_4lessIxEEEEEE10hipError_tPvRmT0_T1_T2_T3_T4_T5_mmT6_P12ihipStream_tbEUlT_E_NS1_11comp_targetILNS1_3genE2ELNS1_11target_archE906ELNS1_3gpuE6ELNS1_3repE0EEENS1_30default_config_static_selectorELNS0_4arch9wavefront6targetE0EEEvS11_,@function
_ZN7rocprim17ROCPRIM_400000_NS6detail17trampoline_kernelINS0_14default_configENS1_21merge_config_selectorINS0_5tupleIJxxEEENS0_10empty_typeEEEZNS1_10merge_implIS3_NS0_12zip_iteratorINS5_IJN6thrust23THRUST_200600_302600_NS6detail15normal_iteratorINSC_10device_ptrIKxEEEESI_EEEEESK_NSA_INS5_IJNSC_16discard_iteratorINSC_11use_defaultEEESN_EEEEEPS7_SQ_SQ_NSC_11hip_rocprim7__merge17predicate_wrapperIxxNSC_4lessIxEEEEEE10hipError_tPvRmT0_T1_T2_T3_T4_T5_mmT6_P12ihipStream_tbEUlT_E_NS1_11comp_targetILNS1_3genE2ELNS1_11target_archE906ELNS1_3gpuE6ELNS1_3repE0EEENS1_30default_config_static_selectorELNS0_4arch9wavefront6targetE0EEEvS11_: ; @_ZN7rocprim17ROCPRIM_400000_NS6detail17trampoline_kernelINS0_14default_configENS1_21merge_config_selectorINS0_5tupleIJxxEEENS0_10empty_typeEEEZNS1_10merge_implIS3_NS0_12zip_iteratorINS5_IJN6thrust23THRUST_200600_302600_NS6detail15normal_iteratorINSC_10device_ptrIKxEEEESI_EEEEESK_NSA_INS5_IJNSC_16discard_iteratorINSC_11use_defaultEEESN_EEEEEPS7_SQ_SQ_NSC_11hip_rocprim7__merge17predicate_wrapperIxxNSC_4lessIxEEEEEE10hipError_tPvRmT0_T1_T2_T3_T4_T5_mmT6_P12ihipStream_tbEUlT_E_NS1_11comp_targetILNS1_3genE2ELNS1_11target_archE906ELNS1_3gpuE6ELNS1_3repE0EEENS1_30default_config_static_selectorELNS0_4arch9wavefront6targetE0EEEvS11_
; %bb.0:
	.section	.rodata,"a",@progbits
	.p2align	6, 0x0
	.amdhsa_kernel _ZN7rocprim17ROCPRIM_400000_NS6detail17trampoline_kernelINS0_14default_configENS1_21merge_config_selectorINS0_5tupleIJxxEEENS0_10empty_typeEEEZNS1_10merge_implIS3_NS0_12zip_iteratorINS5_IJN6thrust23THRUST_200600_302600_NS6detail15normal_iteratorINSC_10device_ptrIKxEEEESI_EEEEESK_NSA_INS5_IJNSC_16discard_iteratorINSC_11use_defaultEEESN_EEEEEPS7_SQ_SQ_NSC_11hip_rocprim7__merge17predicate_wrapperIxxNSC_4lessIxEEEEEE10hipError_tPvRmT0_T1_T2_T3_T4_T5_mmT6_P12ihipStream_tbEUlT_E_NS1_11comp_targetILNS1_3genE2ELNS1_11target_archE906ELNS1_3gpuE6ELNS1_3repE0EEENS1_30default_config_static_selectorELNS0_4arch9wavefront6targetE0EEEvS11_
		.amdhsa_group_segment_fixed_size 0
		.amdhsa_private_segment_fixed_size 0
		.amdhsa_kernarg_size 64
		.amdhsa_user_sgpr_count 2
		.amdhsa_user_sgpr_dispatch_ptr 0
		.amdhsa_user_sgpr_queue_ptr 0
		.amdhsa_user_sgpr_kernarg_segment_ptr 1
		.amdhsa_user_sgpr_dispatch_id 0
		.amdhsa_user_sgpr_kernarg_preload_length 0
		.amdhsa_user_sgpr_kernarg_preload_offset 0
		.amdhsa_user_sgpr_private_segment_size 0
		.amdhsa_wavefront_size32 1
		.amdhsa_uses_dynamic_stack 0
		.amdhsa_enable_private_segment 0
		.amdhsa_system_sgpr_workgroup_id_x 1
		.amdhsa_system_sgpr_workgroup_id_y 0
		.amdhsa_system_sgpr_workgroup_id_z 0
		.amdhsa_system_sgpr_workgroup_info 0
		.amdhsa_system_vgpr_workitem_id 0
		.amdhsa_next_free_vgpr 1
		.amdhsa_next_free_sgpr 1
		.amdhsa_named_barrier_count 0
		.amdhsa_reserve_vcc 0
		.amdhsa_float_round_mode_32 0
		.amdhsa_float_round_mode_16_64 0
		.amdhsa_float_denorm_mode_32 3
		.amdhsa_float_denorm_mode_16_64 3
		.amdhsa_fp16_overflow 0
		.amdhsa_memory_ordered 1
		.amdhsa_forward_progress 1
		.amdhsa_inst_pref_size 0
		.amdhsa_round_robin_scheduling 0
		.amdhsa_exception_fp_ieee_invalid_op 0
		.amdhsa_exception_fp_denorm_src 0
		.amdhsa_exception_fp_ieee_div_zero 0
		.amdhsa_exception_fp_ieee_overflow 0
		.amdhsa_exception_fp_ieee_underflow 0
		.amdhsa_exception_fp_ieee_inexact 0
		.amdhsa_exception_int_div_zero 0
	.end_amdhsa_kernel
	.section	.text._ZN7rocprim17ROCPRIM_400000_NS6detail17trampoline_kernelINS0_14default_configENS1_21merge_config_selectorINS0_5tupleIJxxEEENS0_10empty_typeEEEZNS1_10merge_implIS3_NS0_12zip_iteratorINS5_IJN6thrust23THRUST_200600_302600_NS6detail15normal_iteratorINSC_10device_ptrIKxEEEESI_EEEEESK_NSA_INS5_IJNSC_16discard_iteratorINSC_11use_defaultEEESN_EEEEEPS7_SQ_SQ_NSC_11hip_rocprim7__merge17predicate_wrapperIxxNSC_4lessIxEEEEEE10hipError_tPvRmT0_T1_T2_T3_T4_T5_mmT6_P12ihipStream_tbEUlT_E_NS1_11comp_targetILNS1_3genE2ELNS1_11target_archE906ELNS1_3gpuE6ELNS1_3repE0EEENS1_30default_config_static_selectorELNS0_4arch9wavefront6targetE0EEEvS11_,"axG",@progbits,_ZN7rocprim17ROCPRIM_400000_NS6detail17trampoline_kernelINS0_14default_configENS1_21merge_config_selectorINS0_5tupleIJxxEEENS0_10empty_typeEEEZNS1_10merge_implIS3_NS0_12zip_iteratorINS5_IJN6thrust23THRUST_200600_302600_NS6detail15normal_iteratorINSC_10device_ptrIKxEEEESI_EEEEESK_NSA_INS5_IJNSC_16discard_iteratorINSC_11use_defaultEEESN_EEEEEPS7_SQ_SQ_NSC_11hip_rocprim7__merge17predicate_wrapperIxxNSC_4lessIxEEEEEE10hipError_tPvRmT0_T1_T2_T3_T4_T5_mmT6_P12ihipStream_tbEUlT_E_NS1_11comp_targetILNS1_3genE2ELNS1_11target_archE906ELNS1_3gpuE6ELNS1_3repE0EEENS1_30default_config_static_selectorELNS0_4arch9wavefront6targetE0EEEvS11_,comdat
.Lfunc_end573:
	.size	_ZN7rocprim17ROCPRIM_400000_NS6detail17trampoline_kernelINS0_14default_configENS1_21merge_config_selectorINS0_5tupleIJxxEEENS0_10empty_typeEEEZNS1_10merge_implIS3_NS0_12zip_iteratorINS5_IJN6thrust23THRUST_200600_302600_NS6detail15normal_iteratorINSC_10device_ptrIKxEEEESI_EEEEESK_NSA_INS5_IJNSC_16discard_iteratorINSC_11use_defaultEEESN_EEEEEPS7_SQ_SQ_NSC_11hip_rocprim7__merge17predicate_wrapperIxxNSC_4lessIxEEEEEE10hipError_tPvRmT0_T1_T2_T3_T4_T5_mmT6_P12ihipStream_tbEUlT_E_NS1_11comp_targetILNS1_3genE2ELNS1_11target_archE906ELNS1_3gpuE6ELNS1_3repE0EEENS1_30default_config_static_selectorELNS0_4arch9wavefront6targetE0EEEvS11_, .Lfunc_end573-_ZN7rocprim17ROCPRIM_400000_NS6detail17trampoline_kernelINS0_14default_configENS1_21merge_config_selectorINS0_5tupleIJxxEEENS0_10empty_typeEEEZNS1_10merge_implIS3_NS0_12zip_iteratorINS5_IJN6thrust23THRUST_200600_302600_NS6detail15normal_iteratorINSC_10device_ptrIKxEEEESI_EEEEESK_NSA_INS5_IJNSC_16discard_iteratorINSC_11use_defaultEEESN_EEEEEPS7_SQ_SQ_NSC_11hip_rocprim7__merge17predicate_wrapperIxxNSC_4lessIxEEEEEE10hipError_tPvRmT0_T1_T2_T3_T4_T5_mmT6_P12ihipStream_tbEUlT_E_NS1_11comp_targetILNS1_3genE2ELNS1_11target_archE906ELNS1_3gpuE6ELNS1_3repE0EEENS1_30default_config_static_selectorELNS0_4arch9wavefront6targetE0EEEvS11_
                                        ; -- End function
	.set _ZN7rocprim17ROCPRIM_400000_NS6detail17trampoline_kernelINS0_14default_configENS1_21merge_config_selectorINS0_5tupleIJxxEEENS0_10empty_typeEEEZNS1_10merge_implIS3_NS0_12zip_iteratorINS5_IJN6thrust23THRUST_200600_302600_NS6detail15normal_iteratorINSC_10device_ptrIKxEEEESI_EEEEESK_NSA_INS5_IJNSC_16discard_iteratorINSC_11use_defaultEEESN_EEEEEPS7_SQ_SQ_NSC_11hip_rocprim7__merge17predicate_wrapperIxxNSC_4lessIxEEEEEE10hipError_tPvRmT0_T1_T2_T3_T4_T5_mmT6_P12ihipStream_tbEUlT_E_NS1_11comp_targetILNS1_3genE2ELNS1_11target_archE906ELNS1_3gpuE6ELNS1_3repE0EEENS1_30default_config_static_selectorELNS0_4arch9wavefront6targetE0EEEvS11_.num_vgpr, 0
	.set _ZN7rocprim17ROCPRIM_400000_NS6detail17trampoline_kernelINS0_14default_configENS1_21merge_config_selectorINS0_5tupleIJxxEEENS0_10empty_typeEEEZNS1_10merge_implIS3_NS0_12zip_iteratorINS5_IJN6thrust23THRUST_200600_302600_NS6detail15normal_iteratorINSC_10device_ptrIKxEEEESI_EEEEESK_NSA_INS5_IJNSC_16discard_iteratorINSC_11use_defaultEEESN_EEEEEPS7_SQ_SQ_NSC_11hip_rocprim7__merge17predicate_wrapperIxxNSC_4lessIxEEEEEE10hipError_tPvRmT0_T1_T2_T3_T4_T5_mmT6_P12ihipStream_tbEUlT_E_NS1_11comp_targetILNS1_3genE2ELNS1_11target_archE906ELNS1_3gpuE6ELNS1_3repE0EEENS1_30default_config_static_selectorELNS0_4arch9wavefront6targetE0EEEvS11_.num_agpr, 0
	.set _ZN7rocprim17ROCPRIM_400000_NS6detail17trampoline_kernelINS0_14default_configENS1_21merge_config_selectorINS0_5tupleIJxxEEENS0_10empty_typeEEEZNS1_10merge_implIS3_NS0_12zip_iteratorINS5_IJN6thrust23THRUST_200600_302600_NS6detail15normal_iteratorINSC_10device_ptrIKxEEEESI_EEEEESK_NSA_INS5_IJNSC_16discard_iteratorINSC_11use_defaultEEESN_EEEEEPS7_SQ_SQ_NSC_11hip_rocprim7__merge17predicate_wrapperIxxNSC_4lessIxEEEEEE10hipError_tPvRmT0_T1_T2_T3_T4_T5_mmT6_P12ihipStream_tbEUlT_E_NS1_11comp_targetILNS1_3genE2ELNS1_11target_archE906ELNS1_3gpuE6ELNS1_3repE0EEENS1_30default_config_static_selectorELNS0_4arch9wavefront6targetE0EEEvS11_.numbered_sgpr, 0
	.set _ZN7rocprim17ROCPRIM_400000_NS6detail17trampoline_kernelINS0_14default_configENS1_21merge_config_selectorINS0_5tupleIJxxEEENS0_10empty_typeEEEZNS1_10merge_implIS3_NS0_12zip_iteratorINS5_IJN6thrust23THRUST_200600_302600_NS6detail15normal_iteratorINSC_10device_ptrIKxEEEESI_EEEEESK_NSA_INS5_IJNSC_16discard_iteratorINSC_11use_defaultEEESN_EEEEEPS7_SQ_SQ_NSC_11hip_rocprim7__merge17predicate_wrapperIxxNSC_4lessIxEEEEEE10hipError_tPvRmT0_T1_T2_T3_T4_T5_mmT6_P12ihipStream_tbEUlT_E_NS1_11comp_targetILNS1_3genE2ELNS1_11target_archE906ELNS1_3gpuE6ELNS1_3repE0EEENS1_30default_config_static_selectorELNS0_4arch9wavefront6targetE0EEEvS11_.num_named_barrier, 0
	.set _ZN7rocprim17ROCPRIM_400000_NS6detail17trampoline_kernelINS0_14default_configENS1_21merge_config_selectorINS0_5tupleIJxxEEENS0_10empty_typeEEEZNS1_10merge_implIS3_NS0_12zip_iteratorINS5_IJN6thrust23THRUST_200600_302600_NS6detail15normal_iteratorINSC_10device_ptrIKxEEEESI_EEEEESK_NSA_INS5_IJNSC_16discard_iteratorINSC_11use_defaultEEESN_EEEEEPS7_SQ_SQ_NSC_11hip_rocprim7__merge17predicate_wrapperIxxNSC_4lessIxEEEEEE10hipError_tPvRmT0_T1_T2_T3_T4_T5_mmT6_P12ihipStream_tbEUlT_E_NS1_11comp_targetILNS1_3genE2ELNS1_11target_archE906ELNS1_3gpuE6ELNS1_3repE0EEENS1_30default_config_static_selectorELNS0_4arch9wavefront6targetE0EEEvS11_.private_seg_size, 0
	.set _ZN7rocprim17ROCPRIM_400000_NS6detail17trampoline_kernelINS0_14default_configENS1_21merge_config_selectorINS0_5tupleIJxxEEENS0_10empty_typeEEEZNS1_10merge_implIS3_NS0_12zip_iteratorINS5_IJN6thrust23THRUST_200600_302600_NS6detail15normal_iteratorINSC_10device_ptrIKxEEEESI_EEEEESK_NSA_INS5_IJNSC_16discard_iteratorINSC_11use_defaultEEESN_EEEEEPS7_SQ_SQ_NSC_11hip_rocprim7__merge17predicate_wrapperIxxNSC_4lessIxEEEEEE10hipError_tPvRmT0_T1_T2_T3_T4_T5_mmT6_P12ihipStream_tbEUlT_E_NS1_11comp_targetILNS1_3genE2ELNS1_11target_archE906ELNS1_3gpuE6ELNS1_3repE0EEENS1_30default_config_static_selectorELNS0_4arch9wavefront6targetE0EEEvS11_.uses_vcc, 0
	.set _ZN7rocprim17ROCPRIM_400000_NS6detail17trampoline_kernelINS0_14default_configENS1_21merge_config_selectorINS0_5tupleIJxxEEENS0_10empty_typeEEEZNS1_10merge_implIS3_NS0_12zip_iteratorINS5_IJN6thrust23THRUST_200600_302600_NS6detail15normal_iteratorINSC_10device_ptrIKxEEEESI_EEEEESK_NSA_INS5_IJNSC_16discard_iteratorINSC_11use_defaultEEESN_EEEEEPS7_SQ_SQ_NSC_11hip_rocprim7__merge17predicate_wrapperIxxNSC_4lessIxEEEEEE10hipError_tPvRmT0_T1_T2_T3_T4_T5_mmT6_P12ihipStream_tbEUlT_E_NS1_11comp_targetILNS1_3genE2ELNS1_11target_archE906ELNS1_3gpuE6ELNS1_3repE0EEENS1_30default_config_static_selectorELNS0_4arch9wavefront6targetE0EEEvS11_.uses_flat_scratch, 0
	.set _ZN7rocprim17ROCPRIM_400000_NS6detail17trampoline_kernelINS0_14default_configENS1_21merge_config_selectorINS0_5tupleIJxxEEENS0_10empty_typeEEEZNS1_10merge_implIS3_NS0_12zip_iteratorINS5_IJN6thrust23THRUST_200600_302600_NS6detail15normal_iteratorINSC_10device_ptrIKxEEEESI_EEEEESK_NSA_INS5_IJNSC_16discard_iteratorINSC_11use_defaultEEESN_EEEEEPS7_SQ_SQ_NSC_11hip_rocprim7__merge17predicate_wrapperIxxNSC_4lessIxEEEEEE10hipError_tPvRmT0_T1_T2_T3_T4_T5_mmT6_P12ihipStream_tbEUlT_E_NS1_11comp_targetILNS1_3genE2ELNS1_11target_archE906ELNS1_3gpuE6ELNS1_3repE0EEENS1_30default_config_static_selectorELNS0_4arch9wavefront6targetE0EEEvS11_.has_dyn_sized_stack, 0
	.set _ZN7rocprim17ROCPRIM_400000_NS6detail17trampoline_kernelINS0_14default_configENS1_21merge_config_selectorINS0_5tupleIJxxEEENS0_10empty_typeEEEZNS1_10merge_implIS3_NS0_12zip_iteratorINS5_IJN6thrust23THRUST_200600_302600_NS6detail15normal_iteratorINSC_10device_ptrIKxEEEESI_EEEEESK_NSA_INS5_IJNSC_16discard_iteratorINSC_11use_defaultEEESN_EEEEEPS7_SQ_SQ_NSC_11hip_rocprim7__merge17predicate_wrapperIxxNSC_4lessIxEEEEEE10hipError_tPvRmT0_T1_T2_T3_T4_T5_mmT6_P12ihipStream_tbEUlT_E_NS1_11comp_targetILNS1_3genE2ELNS1_11target_archE906ELNS1_3gpuE6ELNS1_3repE0EEENS1_30default_config_static_selectorELNS0_4arch9wavefront6targetE0EEEvS11_.has_recursion, 0
	.set _ZN7rocprim17ROCPRIM_400000_NS6detail17trampoline_kernelINS0_14default_configENS1_21merge_config_selectorINS0_5tupleIJxxEEENS0_10empty_typeEEEZNS1_10merge_implIS3_NS0_12zip_iteratorINS5_IJN6thrust23THRUST_200600_302600_NS6detail15normal_iteratorINSC_10device_ptrIKxEEEESI_EEEEESK_NSA_INS5_IJNSC_16discard_iteratorINSC_11use_defaultEEESN_EEEEEPS7_SQ_SQ_NSC_11hip_rocprim7__merge17predicate_wrapperIxxNSC_4lessIxEEEEEE10hipError_tPvRmT0_T1_T2_T3_T4_T5_mmT6_P12ihipStream_tbEUlT_E_NS1_11comp_targetILNS1_3genE2ELNS1_11target_archE906ELNS1_3gpuE6ELNS1_3repE0EEENS1_30default_config_static_selectorELNS0_4arch9wavefront6targetE0EEEvS11_.has_indirect_call, 0
	.section	.AMDGPU.csdata,"",@progbits
; Kernel info:
; codeLenInByte = 0
; TotalNumSgprs: 0
; NumVgprs: 0
; ScratchSize: 0
; MemoryBound: 0
; FloatMode: 240
; IeeeMode: 1
; LDSByteSize: 0 bytes/workgroup (compile time only)
; SGPRBlocks: 0
; VGPRBlocks: 0
; NumSGPRsForWavesPerEU: 1
; NumVGPRsForWavesPerEU: 1
; NamedBarCnt: 0
; Occupancy: 16
; WaveLimiterHint : 0
; COMPUTE_PGM_RSRC2:SCRATCH_EN: 0
; COMPUTE_PGM_RSRC2:USER_SGPR: 2
; COMPUTE_PGM_RSRC2:TRAP_HANDLER: 0
; COMPUTE_PGM_RSRC2:TGID_X_EN: 1
; COMPUTE_PGM_RSRC2:TGID_Y_EN: 0
; COMPUTE_PGM_RSRC2:TGID_Z_EN: 0
; COMPUTE_PGM_RSRC2:TIDIG_COMP_CNT: 0
	.section	.text._ZN7rocprim17ROCPRIM_400000_NS6detail17trampoline_kernelINS0_14default_configENS1_21merge_config_selectorINS0_5tupleIJxxEEENS0_10empty_typeEEEZNS1_10merge_implIS3_NS0_12zip_iteratorINS5_IJN6thrust23THRUST_200600_302600_NS6detail15normal_iteratorINSC_10device_ptrIKxEEEESI_EEEEESK_NSA_INS5_IJNSC_16discard_iteratorINSC_11use_defaultEEESN_EEEEEPS7_SQ_SQ_NSC_11hip_rocprim7__merge17predicate_wrapperIxxNSC_4lessIxEEEEEE10hipError_tPvRmT0_T1_T2_T3_T4_T5_mmT6_P12ihipStream_tbEUlT_E_NS1_11comp_targetILNS1_3genE10ELNS1_11target_archE1201ELNS1_3gpuE5ELNS1_3repE0EEENS1_30default_config_static_selectorELNS0_4arch9wavefront6targetE0EEEvS11_,"axG",@progbits,_ZN7rocprim17ROCPRIM_400000_NS6detail17trampoline_kernelINS0_14default_configENS1_21merge_config_selectorINS0_5tupleIJxxEEENS0_10empty_typeEEEZNS1_10merge_implIS3_NS0_12zip_iteratorINS5_IJN6thrust23THRUST_200600_302600_NS6detail15normal_iteratorINSC_10device_ptrIKxEEEESI_EEEEESK_NSA_INS5_IJNSC_16discard_iteratorINSC_11use_defaultEEESN_EEEEEPS7_SQ_SQ_NSC_11hip_rocprim7__merge17predicate_wrapperIxxNSC_4lessIxEEEEEE10hipError_tPvRmT0_T1_T2_T3_T4_T5_mmT6_P12ihipStream_tbEUlT_E_NS1_11comp_targetILNS1_3genE10ELNS1_11target_archE1201ELNS1_3gpuE5ELNS1_3repE0EEENS1_30default_config_static_selectorELNS0_4arch9wavefront6targetE0EEEvS11_,comdat
	.protected	_ZN7rocprim17ROCPRIM_400000_NS6detail17trampoline_kernelINS0_14default_configENS1_21merge_config_selectorINS0_5tupleIJxxEEENS0_10empty_typeEEEZNS1_10merge_implIS3_NS0_12zip_iteratorINS5_IJN6thrust23THRUST_200600_302600_NS6detail15normal_iteratorINSC_10device_ptrIKxEEEESI_EEEEESK_NSA_INS5_IJNSC_16discard_iteratorINSC_11use_defaultEEESN_EEEEEPS7_SQ_SQ_NSC_11hip_rocprim7__merge17predicate_wrapperIxxNSC_4lessIxEEEEEE10hipError_tPvRmT0_T1_T2_T3_T4_T5_mmT6_P12ihipStream_tbEUlT_E_NS1_11comp_targetILNS1_3genE10ELNS1_11target_archE1201ELNS1_3gpuE5ELNS1_3repE0EEENS1_30default_config_static_selectorELNS0_4arch9wavefront6targetE0EEEvS11_ ; -- Begin function _ZN7rocprim17ROCPRIM_400000_NS6detail17trampoline_kernelINS0_14default_configENS1_21merge_config_selectorINS0_5tupleIJxxEEENS0_10empty_typeEEEZNS1_10merge_implIS3_NS0_12zip_iteratorINS5_IJN6thrust23THRUST_200600_302600_NS6detail15normal_iteratorINSC_10device_ptrIKxEEEESI_EEEEESK_NSA_INS5_IJNSC_16discard_iteratorINSC_11use_defaultEEESN_EEEEEPS7_SQ_SQ_NSC_11hip_rocprim7__merge17predicate_wrapperIxxNSC_4lessIxEEEEEE10hipError_tPvRmT0_T1_T2_T3_T4_T5_mmT6_P12ihipStream_tbEUlT_E_NS1_11comp_targetILNS1_3genE10ELNS1_11target_archE1201ELNS1_3gpuE5ELNS1_3repE0EEENS1_30default_config_static_selectorELNS0_4arch9wavefront6targetE0EEEvS11_
	.globl	_ZN7rocprim17ROCPRIM_400000_NS6detail17trampoline_kernelINS0_14default_configENS1_21merge_config_selectorINS0_5tupleIJxxEEENS0_10empty_typeEEEZNS1_10merge_implIS3_NS0_12zip_iteratorINS5_IJN6thrust23THRUST_200600_302600_NS6detail15normal_iteratorINSC_10device_ptrIKxEEEESI_EEEEESK_NSA_INS5_IJNSC_16discard_iteratorINSC_11use_defaultEEESN_EEEEEPS7_SQ_SQ_NSC_11hip_rocprim7__merge17predicate_wrapperIxxNSC_4lessIxEEEEEE10hipError_tPvRmT0_T1_T2_T3_T4_T5_mmT6_P12ihipStream_tbEUlT_E_NS1_11comp_targetILNS1_3genE10ELNS1_11target_archE1201ELNS1_3gpuE5ELNS1_3repE0EEENS1_30default_config_static_selectorELNS0_4arch9wavefront6targetE0EEEvS11_
	.p2align	8
	.type	_ZN7rocprim17ROCPRIM_400000_NS6detail17trampoline_kernelINS0_14default_configENS1_21merge_config_selectorINS0_5tupleIJxxEEENS0_10empty_typeEEEZNS1_10merge_implIS3_NS0_12zip_iteratorINS5_IJN6thrust23THRUST_200600_302600_NS6detail15normal_iteratorINSC_10device_ptrIKxEEEESI_EEEEESK_NSA_INS5_IJNSC_16discard_iteratorINSC_11use_defaultEEESN_EEEEEPS7_SQ_SQ_NSC_11hip_rocprim7__merge17predicate_wrapperIxxNSC_4lessIxEEEEEE10hipError_tPvRmT0_T1_T2_T3_T4_T5_mmT6_P12ihipStream_tbEUlT_E_NS1_11comp_targetILNS1_3genE10ELNS1_11target_archE1201ELNS1_3gpuE5ELNS1_3repE0EEENS1_30default_config_static_selectorELNS0_4arch9wavefront6targetE0EEEvS11_,@function
_ZN7rocprim17ROCPRIM_400000_NS6detail17trampoline_kernelINS0_14default_configENS1_21merge_config_selectorINS0_5tupleIJxxEEENS0_10empty_typeEEEZNS1_10merge_implIS3_NS0_12zip_iteratorINS5_IJN6thrust23THRUST_200600_302600_NS6detail15normal_iteratorINSC_10device_ptrIKxEEEESI_EEEEESK_NSA_INS5_IJNSC_16discard_iteratorINSC_11use_defaultEEESN_EEEEEPS7_SQ_SQ_NSC_11hip_rocprim7__merge17predicate_wrapperIxxNSC_4lessIxEEEEEE10hipError_tPvRmT0_T1_T2_T3_T4_T5_mmT6_P12ihipStream_tbEUlT_E_NS1_11comp_targetILNS1_3genE10ELNS1_11target_archE1201ELNS1_3gpuE5ELNS1_3repE0EEENS1_30default_config_static_selectorELNS0_4arch9wavefront6targetE0EEEvS11_: ; @_ZN7rocprim17ROCPRIM_400000_NS6detail17trampoline_kernelINS0_14default_configENS1_21merge_config_selectorINS0_5tupleIJxxEEENS0_10empty_typeEEEZNS1_10merge_implIS3_NS0_12zip_iteratorINS5_IJN6thrust23THRUST_200600_302600_NS6detail15normal_iteratorINSC_10device_ptrIKxEEEESI_EEEEESK_NSA_INS5_IJNSC_16discard_iteratorINSC_11use_defaultEEESN_EEEEEPS7_SQ_SQ_NSC_11hip_rocprim7__merge17predicate_wrapperIxxNSC_4lessIxEEEEEE10hipError_tPvRmT0_T1_T2_T3_T4_T5_mmT6_P12ihipStream_tbEUlT_E_NS1_11comp_targetILNS1_3genE10ELNS1_11target_archE1201ELNS1_3gpuE5ELNS1_3repE0EEENS1_30default_config_static_selectorELNS0_4arch9wavefront6targetE0EEEvS11_
; %bb.0:
	.section	.rodata,"a",@progbits
	.p2align	6, 0x0
	.amdhsa_kernel _ZN7rocprim17ROCPRIM_400000_NS6detail17trampoline_kernelINS0_14default_configENS1_21merge_config_selectorINS0_5tupleIJxxEEENS0_10empty_typeEEEZNS1_10merge_implIS3_NS0_12zip_iteratorINS5_IJN6thrust23THRUST_200600_302600_NS6detail15normal_iteratorINSC_10device_ptrIKxEEEESI_EEEEESK_NSA_INS5_IJNSC_16discard_iteratorINSC_11use_defaultEEESN_EEEEEPS7_SQ_SQ_NSC_11hip_rocprim7__merge17predicate_wrapperIxxNSC_4lessIxEEEEEE10hipError_tPvRmT0_T1_T2_T3_T4_T5_mmT6_P12ihipStream_tbEUlT_E_NS1_11comp_targetILNS1_3genE10ELNS1_11target_archE1201ELNS1_3gpuE5ELNS1_3repE0EEENS1_30default_config_static_selectorELNS0_4arch9wavefront6targetE0EEEvS11_
		.amdhsa_group_segment_fixed_size 0
		.amdhsa_private_segment_fixed_size 0
		.amdhsa_kernarg_size 64
		.amdhsa_user_sgpr_count 2
		.amdhsa_user_sgpr_dispatch_ptr 0
		.amdhsa_user_sgpr_queue_ptr 0
		.amdhsa_user_sgpr_kernarg_segment_ptr 1
		.amdhsa_user_sgpr_dispatch_id 0
		.amdhsa_user_sgpr_kernarg_preload_length 0
		.amdhsa_user_sgpr_kernarg_preload_offset 0
		.amdhsa_user_sgpr_private_segment_size 0
		.amdhsa_wavefront_size32 1
		.amdhsa_uses_dynamic_stack 0
		.amdhsa_enable_private_segment 0
		.amdhsa_system_sgpr_workgroup_id_x 1
		.amdhsa_system_sgpr_workgroup_id_y 0
		.amdhsa_system_sgpr_workgroup_id_z 0
		.amdhsa_system_sgpr_workgroup_info 0
		.amdhsa_system_vgpr_workitem_id 0
		.amdhsa_next_free_vgpr 1
		.amdhsa_next_free_sgpr 1
		.amdhsa_named_barrier_count 0
		.amdhsa_reserve_vcc 0
		.amdhsa_float_round_mode_32 0
		.amdhsa_float_round_mode_16_64 0
		.amdhsa_float_denorm_mode_32 3
		.amdhsa_float_denorm_mode_16_64 3
		.amdhsa_fp16_overflow 0
		.amdhsa_memory_ordered 1
		.amdhsa_forward_progress 1
		.amdhsa_inst_pref_size 0
		.amdhsa_round_robin_scheduling 0
		.amdhsa_exception_fp_ieee_invalid_op 0
		.amdhsa_exception_fp_denorm_src 0
		.amdhsa_exception_fp_ieee_div_zero 0
		.amdhsa_exception_fp_ieee_overflow 0
		.amdhsa_exception_fp_ieee_underflow 0
		.amdhsa_exception_fp_ieee_inexact 0
		.amdhsa_exception_int_div_zero 0
	.end_amdhsa_kernel
	.section	.text._ZN7rocprim17ROCPRIM_400000_NS6detail17trampoline_kernelINS0_14default_configENS1_21merge_config_selectorINS0_5tupleIJxxEEENS0_10empty_typeEEEZNS1_10merge_implIS3_NS0_12zip_iteratorINS5_IJN6thrust23THRUST_200600_302600_NS6detail15normal_iteratorINSC_10device_ptrIKxEEEESI_EEEEESK_NSA_INS5_IJNSC_16discard_iteratorINSC_11use_defaultEEESN_EEEEEPS7_SQ_SQ_NSC_11hip_rocprim7__merge17predicate_wrapperIxxNSC_4lessIxEEEEEE10hipError_tPvRmT0_T1_T2_T3_T4_T5_mmT6_P12ihipStream_tbEUlT_E_NS1_11comp_targetILNS1_3genE10ELNS1_11target_archE1201ELNS1_3gpuE5ELNS1_3repE0EEENS1_30default_config_static_selectorELNS0_4arch9wavefront6targetE0EEEvS11_,"axG",@progbits,_ZN7rocprim17ROCPRIM_400000_NS6detail17trampoline_kernelINS0_14default_configENS1_21merge_config_selectorINS0_5tupleIJxxEEENS0_10empty_typeEEEZNS1_10merge_implIS3_NS0_12zip_iteratorINS5_IJN6thrust23THRUST_200600_302600_NS6detail15normal_iteratorINSC_10device_ptrIKxEEEESI_EEEEESK_NSA_INS5_IJNSC_16discard_iteratorINSC_11use_defaultEEESN_EEEEEPS7_SQ_SQ_NSC_11hip_rocprim7__merge17predicate_wrapperIxxNSC_4lessIxEEEEEE10hipError_tPvRmT0_T1_T2_T3_T4_T5_mmT6_P12ihipStream_tbEUlT_E_NS1_11comp_targetILNS1_3genE10ELNS1_11target_archE1201ELNS1_3gpuE5ELNS1_3repE0EEENS1_30default_config_static_selectorELNS0_4arch9wavefront6targetE0EEEvS11_,comdat
.Lfunc_end574:
	.size	_ZN7rocprim17ROCPRIM_400000_NS6detail17trampoline_kernelINS0_14default_configENS1_21merge_config_selectorINS0_5tupleIJxxEEENS0_10empty_typeEEEZNS1_10merge_implIS3_NS0_12zip_iteratorINS5_IJN6thrust23THRUST_200600_302600_NS6detail15normal_iteratorINSC_10device_ptrIKxEEEESI_EEEEESK_NSA_INS5_IJNSC_16discard_iteratorINSC_11use_defaultEEESN_EEEEEPS7_SQ_SQ_NSC_11hip_rocprim7__merge17predicate_wrapperIxxNSC_4lessIxEEEEEE10hipError_tPvRmT0_T1_T2_T3_T4_T5_mmT6_P12ihipStream_tbEUlT_E_NS1_11comp_targetILNS1_3genE10ELNS1_11target_archE1201ELNS1_3gpuE5ELNS1_3repE0EEENS1_30default_config_static_selectorELNS0_4arch9wavefront6targetE0EEEvS11_, .Lfunc_end574-_ZN7rocprim17ROCPRIM_400000_NS6detail17trampoline_kernelINS0_14default_configENS1_21merge_config_selectorINS0_5tupleIJxxEEENS0_10empty_typeEEEZNS1_10merge_implIS3_NS0_12zip_iteratorINS5_IJN6thrust23THRUST_200600_302600_NS6detail15normal_iteratorINSC_10device_ptrIKxEEEESI_EEEEESK_NSA_INS5_IJNSC_16discard_iteratorINSC_11use_defaultEEESN_EEEEEPS7_SQ_SQ_NSC_11hip_rocprim7__merge17predicate_wrapperIxxNSC_4lessIxEEEEEE10hipError_tPvRmT0_T1_T2_T3_T4_T5_mmT6_P12ihipStream_tbEUlT_E_NS1_11comp_targetILNS1_3genE10ELNS1_11target_archE1201ELNS1_3gpuE5ELNS1_3repE0EEENS1_30default_config_static_selectorELNS0_4arch9wavefront6targetE0EEEvS11_
                                        ; -- End function
	.set _ZN7rocprim17ROCPRIM_400000_NS6detail17trampoline_kernelINS0_14default_configENS1_21merge_config_selectorINS0_5tupleIJxxEEENS0_10empty_typeEEEZNS1_10merge_implIS3_NS0_12zip_iteratorINS5_IJN6thrust23THRUST_200600_302600_NS6detail15normal_iteratorINSC_10device_ptrIKxEEEESI_EEEEESK_NSA_INS5_IJNSC_16discard_iteratorINSC_11use_defaultEEESN_EEEEEPS7_SQ_SQ_NSC_11hip_rocprim7__merge17predicate_wrapperIxxNSC_4lessIxEEEEEE10hipError_tPvRmT0_T1_T2_T3_T4_T5_mmT6_P12ihipStream_tbEUlT_E_NS1_11comp_targetILNS1_3genE10ELNS1_11target_archE1201ELNS1_3gpuE5ELNS1_3repE0EEENS1_30default_config_static_selectorELNS0_4arch9wavefront6targetE0EEEvS11_.num_vgpr, 0
	.set _ZN7rocprim17ROCPRIM_400000_NS6detail17trampoline_kernelINS0_14default_configENS1_21merge_config_selectorINS0_5tupleIJxxEEENS0_10empty_typeEEEZNS1_10merge_implIS3_NS0_12zip_iteratorINS5_IJN6thrust23THRUST_200600_302600_NS6detail15normal_iteratorINSC_10device_ptrIKxEEEESI_EEEEESK_NSA_INS5_IJNSC_16discard_iteratorINSC_11use_defaultEEESN_EEEEEPS7_SQ_SQ_NSC_11hip_rocprim7__merge17predicate_wrapperIxxNSC_4lessIxEEEEEE10hipError_tPvRmT0_T1_T2_T3_T4_T5_mmT6_P12ihipStream_tbEUlT_E_NS1_11comp_targetILNS1_3genE10ELNS1_11target_archE1201ELNS1_3gpuE5ELNS1_3repE0EEENS1_30default_config_static_selectorELNS0_4arch9wavefront6targetE0EEEvS11_.num_agpr, 0
	.set _ZN7rocprim17ROCPRIM_400000_NS6detail17trampoline_kernelINS0_14default_configENS1_21merge_config_selectorINS0_5tupleIJxxEEENS0_10empty_typeEEEZNS1_10merge_implIS3_NS0_12zip_iteratorINS5_IJN6thrust23THRUST_200600_302600_NS6detail15normal_iteratorINSC_10device_ptrIKxEEEESI_EEEEESK_NSA_INS5_IJNSC_16discard_iteratorINSC_11use_defaultEEESN_EEEEEPS7_SQ_SQ_NSC_11hip_rocprim7__merge17predicate_wrapperIxxNSC_4lessIxEEEEEE10hipError_tPvRmT0_T1_T2_T3_T4_T5_mmT6_P12ihipStream_tbEUlT_E_NS1_11comp_targetILNS1_3genE10ELNS1_11target_archE1201ELNS1_3gpuE5ELNS1_3repE0EEENS1_30default_config_static_selectorELNS0_4arch9wavefront6targetE0EEEvS11_.numbered_sgpr, 0
	.set _ZN7rocprim17ROCPRIM_400000_NS6detail17trampoline_kernelINS0_14default_configENS1_21merge_config_selectorINS0_5tupleIJxxEEENS0_10empty_typeEEEZNS1_10merge_implIS3_NS0_12zip_iteratorINS5_IJN6thrust23THRUST_200600_302600_NS6detail15normal_iteratorINSC_10device_ptrIKxEEEESI_EEEEESK_NSA_INS5_IJNSC_16discard_iteratorINSC_11use_defaultEEESN_EEEEEPS7_SQ_SQ_NSC_11hip_rocprim7__merge17predicate_wrapperIxxNSC_4lessIxEEEEEE10hipError_tPvRmT0_T1_T2_T3_T4_T5_mmT6_P12ihipStream_tbEUlT_E_NS1_11comp_targetILNS1_3genE10ELNS1_11target_archE1201ELNS1_3gpuE5ELNS1_3repE0EEENS1_30default_config_static_selectorELNS0_4arch9wavefront6targetE0EEEvS11_.num_named_barrier, 0
	.set _ZN7rocprim17ROCPRIM_400000_NS6detail17trampoline_kernelINS0_14default_configENS1_21merge_config_selectorINS0_5tupleIJxxEEENS0_10empty_typeEEEZNS1_10merge_implIS3_NS0_12zip_iteratorINS5_IJN6thrust23THRUST_200600_302600_NS6detail15normal_iteratorINSC_10device_ptrIKxEEEESI_EEEEESK_NSA_INS5_IJNSC_16discard_iteratorINSC_11use_defaultEEESN_EEEEEPS7_SQ_SQ_NSC_11hip_rocprim7__merge17predicate_wrapperIxxNSC_4lessIxEEEEEE10hipError_tPvRmT0_T1_T2_T3_T4_T5_mmT6_P12ihipStream_tbEUlT_E_NS1_11comp_targetILNS1_3genE10ELNS1_11target_archE1201ELNS1_3gpuE5ELNS1_3repE0EEENS1_30default_config_static_selectorELNS0_4arch9wavefront6targetE0EEEvS11_.private_seg_size, 0
	.set _ZN7rocprim17ROCPRIM_400000_NS6detail17trampoline_kernelINS0_14default_configENS1_21merge_config_selectorINS0_5tupleIJxxEEENS0_10empty_typeEEEZNS1_10merge_implIS3_NS0_12zip_iteratorINS5_IJN6thrust23THRUST_200600_302600_NS6detail15normal_iteratorINSC_10device_ptrIKxEEEESI_EEEEESK_NSA_INS5_IJNSC_16discard_iteratorINSC_11use_defaultEEESN_EEEEEPS7_SQ_SQ_NSC_11hip_rocprim7__merge17predicate_wrapperIxxNSC_4lessIxEEEEEE10hipError_tPvRmT0_T1_T2_T3_T4_T5_mmT6_P12ihipStream_tbEUlT_E_NS1_11comp_targetILNS1_3genE10ELNS1_11target_archE1201ELNS1_3gpuE5ELNS1_3repE0EEENS1_30default_config_static_selectorELNS0_4arch9wavefront6targetE0EEEvS11_.uses_vcc, 0
	.set _ZN7rocprim17ROCPRIM_400000_NS6detail17trampoline_kernelINS0_14default_configENS1_21merge_config_selectorINS0_5tupleIJxxEEENS0_10empty_typeEEEZNS1_10merge_implIS3_NS0_12zip_iteratorINS5_IJN6thrust23THRUST_200600_302600_NS6detail15normal_iteratorINSC_10device_ptrIKxEEEESI_EEEEESK_NSA_INS5_IJNSC_16discard_iteratorINSC_11use_defaultEEESN_EEEEEPS7_SQ_SQ_NSC_11hip_rocprim7__merge17predicate_wrapperIxxNSC_4lessIxEEEEEE10hipError_tPvRmT0_T1_T2_T3_T4_T5_mmT6_P12ihipStream_tbEUlT_E_NS1_11comp_targetILNS1_3genE10ELNS1_11target_archE1201ELNS1_3gpuE5ELNS1_3repE0EEENS1_30default_config_static_selectorELNS0_4arch9wavefront6targetE0EEEvS11_.uses_flat_scratch, 0
	.set _ZN7rocprim17ROCPRIM_400000_NS6detail17trampoline_kernelINS0_14default_configENS1_21merge_config_selectorINS0_5tupleIJxxEEENS0_10empty_typeEEEZNS1_10merge_implIS3_NS0_12zip_iteratorINS5_IJN6thrust23THRUST_200600_302600_NS6detail15normal_iteratorINSC_10device_ptrIKxEEEESI_EEEEESK_NSA_INS5_IJNSC_16discard_iteratorINSC_11use_defaultEEESN_EEEEEPS7_SQ_SQ_NSC_11hip_rocprim7__merge17predicate_wrapperIxxNSC_4lessIxEEEEEE10hipError_tPvRmT0_T1_T2_T3_T4_T5_mmT6_P12ihipStream_tbEUlT_E_NS1_11comp_targetILNS1_3genE10ELNS1_11target_archE1201ELNS1_3gpuE5ELNS1_3repE0EEENS1_30default_config_static_selectorELNS0_4arch9wavefront6targetE0EEEvS11_.has_dyn_sized_stack, 0
	.set _ZN7rocprim17ROCPRIM_400000_NS6detail17trampoline_kernelINS0_14default_configENS1_21merge_config_selectorINS0_5tupleIJxxEEENS0_10empty_typeEEEZNS1_10merge_implIS3_NS0_12zip_iteratorINS5_IJN6thrust23THRUST_200600_302600_NS6detail15normal_iteratorINSC_10device_ptrIKxEEEESI_EEEEESK_NSA_INS5_IJNSC_16discard_iteratorINSC_11use_defaultEEESN_EEEEEPS7_SQ_SQ_NSC_11hip_rocprim7__merge17predicate_wrapperIxxNSC_4lessIxEEEEEE10hipError_tPvRmT0_T1_T2_T3_T4_T5_mmT6_P12ihipStream_tbEUlT_E_NS1_11comp_targetILNS1_3genE10ELNS1_11target_archE1201ELNS1_3gpuE5ELNS1_3repE0EEENS1_30default_config_static_selectorELNS0_4arch9wavefront6targetE0EEEvS11_.has_recursion, 0
	.set _ZN7rocprim17ROCPRIM_400000_NS6detail17trampoline_kernelINS0_14default_configENS1_21merge_config_selectorINS0_5tupleIJxxEEENS0_10empty_typeEEEZNS1_10merge_implIS3_NS0_12zip_iteratorINS5_IJN6thrust23THRUST_200600_302600_NS6detail15normal_iteratorINSC_10device_ptrIKxEEEESI_EEEEESK_NSA_INS5_IJNSC_16discard_iteratorINSC_11use_defaultEEESN_EEEEEPS7_SQ_SQ_NSC_11hip_rocprim7__merge17predicate_wrapperIxxNSC_4lessIxEEEEEE10hipError_tPvRmT0_T1_T2_T3_T4_T5_mmT6_P12ihipStream_tbEUlT_E_NS1_11comp_targetILNS1_3genE10ELNS1_11target_archE1201ELNS1_3gpuE5ELNS1_3repE0EEENS1_30default_config_static_selectorELNS0_4arch9wavefront6targetE0EEEvS11_.has_indirect_call, 0
	.section	.AMDGPU.csdata,"",@progbits
; Kernel info:
; codeLenInByte = 0
; TotalNumSgprs: 0
; NumVgprs: 0
; ScratchSize: 0
; MemoryBound: 0
; FloatMode: 240
; IeeeMode: 1
; LDSByteSize: 0 bytes/workgroup (compile time only)
; SGPRBlocks: 0
; VGPRBlocks: 0
; NumSGPRsForWavesPerEU: 1
; NumVGPRsForWavesPerEU: 1
; NamedBarCnt: 0
; Occupancy: 16
; WaveLimiterHint : 0
; COMPUTE_PGM_RSRC2:SCRATCH_EN: 0
; COMPUTE_PGM_RSRC2:USER_SGPR: 2
; COMPUTE_PGM_RSRC2:TRAP_HANDLER: 0
; COMPUTE_PGM_RSRC2:TGID_X_EN: 1
; COMPUTE_PGM_RSRC2:TGID_Y_EN: 0
; COMPUTE_PGM_RSRC2:TGID_Z_EN: 0
; COMPUTE_PGM_RSRC2:TIDIG_COMP_CNT: 0
	.section	.text._ZN7rocprim17ROCPRIM_400000_NS6detail17trampoline_kernelINS0_14default_configENS1_21merge_config_selectorINS0_5tupleIJxxEEENS0_10empty_typeEEEZNS1_10merge_implIS3_NS0_12zip_iteratorINS5_IJN6thrust23THRUST_200600_302600_NS6detail15normal_iteratorINSC_10device_ptrIKxEEEESI_EEEEESK_NSA_INS5_IJNSC_16discard_iteratorINSC_11use_defaultEEESN_EEEEEPS7_SQ_SQ_NSC_11hip_rocprim7__merge17predicate_wrapperIxxNSC_4lessIxEEEEEE10hipError_tPvRmT0_T1_T2_T3_T4_T5_mmT6_P12ihipStream_tbEUlT_E_NS1_11comp_targetILNS1_3genE10ELNS1_11target_archE1200ELNS1_3gpuE4ELNS1_3repE0EEENS1_30default_config_static_selectorELNS0_4arch9wavefront6targetE0EEEvS11_,"axG",@progbits,_ZN7rocprim17ROCPRIM_400000_NS6detail17trampoline_kernelINS0_14default_configENS1_21merge_config_selectorINS0_5tupleIJxxEEENS0_10empty_typeEEEZNS1_10merge_implIS3_NS0_12zip_iteratorINS5_IJN6thrust23THRUST_200600_302600_NS6detail15normal_iteratorINSC_10device_ptrIKxEEEESI_EEEEESK_NSA_INS5_IJNSC_16discard_iteratorINSC_11use_defaultEEESN_EEEEEPS7_SQ_SQ_NSC_11hip_rocprim7__merge17predicate_wrapperIxxNSC_4lessIxEEEEEE10hipError_tPvRmT0_T1_T2_T3_T4_T5_mmT6_P12ihipStream_tbEUlT_E_NS1_11comp_targetILNS1_3genE10ELNS1_11target_archE1200ELNS1_3gpuE4ELNS1_3repE0EEENS1_30default_config_static_selectorELNS0_4arch9wavefront6targetE0EEEvS11_,comdat
	.protected	_ZN7rocprim17ROCPRIM_400000_NS6detail17trampoline_kernelINS0_14default_configENS1_21merge_config_selectorINS0_5tupleIJxxEEENS0_10empty_typeEEEZNS1_10merge_implIS3_NS0_12zip_iteratorINS5_IJN6thrust23THRUST_200600_302600_NS6detail15normal_iteratorINSC_10device_ptrIKxEEEESI_EEEEESK_NSA_INS5_IJNSC_16discard_iteratorINSC_11use_defaultEEESN_EEEEEPS7_SQ_SQ_NSC_11hip_rocprim7__merge17predicate_wrapperIxxNSC_4lessIxEEEEEE10hipError_tPvRmT0_T1_T2_T3_T4_T5_mmT6_P12ihipStream_tbEUlT_E_NS1_11comp_targetILNS1_3genE10ELNS1_11target_archE1200ELNS1_3gpuE4ELNS1_3repE0EEENS1_30default_config_static_selectorELNS0_4arch9wavefront6targetE0EEEvS11_ ; -- Begin function _ZN7rocprim17ROCPRIM_400000_NS6detail17trampoline_kernelINS0_14default_configENS1_21merge_config_selectorINS0_5tupleIJxxEEENS0_10empty_typeEEEZNS1_10merge_implIS3_NS0_12zip_iteratorINS5_IJN6thrust23THRUST_200600_302600_NS6detail15normal_iteratorINSC_10device_ptrIKxEEEESI_EEEEESK_NSA_INS5_IJNSC_16discard_iteratorINSC_11use_defaultEEESN_EEEEEPS7_SQ_SQ_NSC_11hip_rocprim7__merge17predicate_wrapperIxxNSC_4lessIxEEEEEE10hipError_tPvRmT0_T1_T2_T3_T4_T5_mmT6_P12ihipStream_tbEUlT_E_NS1_11comp_targetILNS1_3genE10ELNS1_11target_archE1200ELNS1_3gpuE4ELNS1_3repE0EEENS1_30default_config_static_selectorELNS0_4arch9wavefront6targetE0EEEvS11_
	.globl	_ZN7rocprim17ROCPRIM_400000_NS6detail17trampoline_kernelINS0_14default_configENS1_21merge_config_selectorINS0_5tupleIJxxEEENS0_10empty_typeEEEZNS1_10merge_implIS3_NS0_12zip_iteratorINS5_IJN6thrust23THRUST_200600_302600_NS6detail15normal_iteratorINSC_10device_ptrIKxEEEESI_EEEEESK_NSA_INS5_IJNSC_16discard_iteratorINSC_11use_defaultEEESN_EEEEEPS7_SQ_SQ_NSC_11hip_rocprim7__merge17predicate_wrapperIxxNSC_4lessIxEEEEEE10hipError_tPvRmT0_T1_T2_T3_T4_T5_mmT6_P12ihipStream_tbEUlT_E_NS1_11comp_targetILNS1_3genE10ELNS1_11target_archE1200ELNS1_3gpuE4ELNS1_3repE0EEENS1_30default_config_static_selectorELNS0_4arch9wavefront6targetE0EEEvS11_
	.p2align	8
	.type	_ZN7rocprim17ROCPRIM_400000_NS6detail17trampoline_kernelINS0_14default_configENS1_21merge_config_selectorINS0_5tupleIJxxEEENS0_10empty_typeEEEZNS1_10merge_implIS3_NS0_12zip_iteratorINS5_IJN6thrust23THRUST_200600_302600_NS6detail15normal_iteratorINSC_10device_ptrIKxEEEESI_EEEEESK_NSA_INS5_IJNSC_16discard_iteratorINSC_11use_defaultEEESN_EEEEEPS7_SQ_SQ_NSC_11hip_rocprim7__merge17predicate_wrapperIxxNSC_4lessIxEEEEEE10hipError_tPvRmT0_T1_T2_T3_T4_T5_mmT6_P12ihipStream_tbEUlT_E_NS1_11comp_targetILNS1_3genE10ELNS1_11target_archE1200ELNS1_3gpuE4ELNS1_3repE0EEENS1_30default_config_static_selectorELNS0_4arch9wavefront6targetE0EEEvS11_,@function
_ZN7rocprim17ROCPRIM_400000_NS6detail17trampoline_kernelINS0_14default_configENS1_21merge_config_selectorINS0_5tupleIJxxEEENS0_10empty_typeEEEZNS1_10merge_implIS3_NS0_12zip_iteratorINS5_IJN6thrust23THRUST_200600_302600_NS6detail15normal_iteratorINSC_10device_ptrIKxEEEESI_EEEEESK_NSA_INS5_IJNSC_16discard_iteratorINSC_11use_defaultEEESN_EEEEEPS7_SQ_SQ_NSC_11hip_rocprim7__merge17predicate_wrapperIxxNSC_4lessIxEEEEEE10hipError_tPvRmT0_T1_T2_T3_T4_T5_mmT6_P12ihipStream_tbEUlT_E_NS1_11comp_targetILNS1_3genE10ELNS1_11target_archE1200ELNS1_3gpuE4ELNS1_3repE0EEENS1_30default_config_static_selectorELNS0_4arch9wavefront6targetE0EEEvS11_: ; @_ZN7rocprim17ROCPRIM_400000_NS6detail17trampoline_kernelINS0_14default_configENS1_21merge_config_selectorINS0_5tupleIJxxEEENS0_10empty_typeEEEZNS1_10merge_implIS3_NS0_12zip_iteratorINS5_IJN6thrust23THRUST_200600_302600_NS6detail15normal_iteratorINSC_10device_ptrIKxEEEESI_EEEEESK_NSA_INS5_IJNSC_16discard_iteratorINSC_11use_defaultEEESN_EEEEEPS7_SQ_SQ_NSC_11hip_rocprim7__merge17predicate_wrapperIxxNSC_4lessIxEEEEEE10hipError_tPvRmT0_T1_T2_T3_T4_T5_mmT6_P12ihipStream_tbEUlT_E_NS1_11comp_targetILNS1_3genE10ELNS1_11target_archE1200ELNS1_3gpuE4ELNS1_3repE0EEENS1_30default_config_static_selectorELNS0_4arch9wavefront6targetE0EEEvS11_
; %bb.0:
	.section	.rodata,"a",@progbits
	.p2align	6, 0x0
	.amdhsa_kernel _ZN7rocprim17ROCPRIM_400000_NS6detail17trampoline_kernelINS0_14default_configENS1_21merge_config_selectorINS0_5tupleIJxxEEENS0_10empty_typeEEEZNS1_10merge_implIS3_NS0_12zip_iteratorINS5_IJN6thrust23THRUST_200600_302600_NS6detail15normal_iteratorINSC_10device_ptrIKxEEEESI_EEEEESK_NSA_INS5_IJNSC_16discard_iteratorINSC_11use_defaultEEESN_EEEEEPS7_SQ_SQ_NSC_11hip_rocprim7__merge17predicate_wrapperIxxNSC_4lessIxEEEEEE10hipError_tPvRmT0_T1_T2_T3_T4_T5_mmT6_P12ihipStream_tbEUlT_E_NS1_11comp_targetILNS1_3genE10ELNS1_11target_archE1200ELNS1_3gpuE4ELNS1_3repE0EEENS1_30default_config_static_selectorELNS0_4arch9wavefront6targetE0EEEvS11_
		.amdhsa_group_segment_fixed_size 0
		.amdhsa_private_segment_fixed_size 0
		.amdhsa_kernarg_size 64
		.amdhsa_user_sgpr_count 2
		.amdhsa_user_sgpr_dispatch_ptr 0
		.amdhsa_user_sgpr_queue_ptr 0
		.amdhsa_user_sgpr_kernarg_segment_ptr 1
		.amdhsa_user_sgpr_dispatch_id 0
		.amdhsa_user_sgpr_kernarg_preload_length 0
		.amdhsa_user_sgpr_kernarg_preload_offset 0
		.amdhsa_user_sgpr_private_segment_size 0
		.amdhsa_wavefront_size32 1
		.amdhsa_uses_dynamic_stack 0
		.amdhsa_enable_private_segment 0
		.amdhsa_system_sgpr_workgroup_id_x 1
		.amdhsa_system_sgpr_workgroup_id_y 0
		.amdhsa_system_sgpr_workgroup_id_z 0
		.amdhsa_system_sgpr_workgroup_info 0
		.amdhsa_system_vgpr_workitem_id 0
		.amdhsa_next_free_vgpr 1
		.amdhsa_next_free_sgpr 1
		.amdhsa_named_barrier_count 0
		.amdhsa_reserve_vcc 0
		.amdhsa_float_round_mode_32 0
		.amdhsa_float_round_mode_16_64 0
		.amdhsa_float_denorm_mode_32 3
		.amdhsa_float_denorm_mode_16_64 3
		.amdhsa_fp16_overflow 0
		.amdhsa_memory_ordered 1
		.amdhsa_forward_progress 1
		.amdhsa_inst_pref_size 0
		.amdhsa_round_robin_scheduling 0
		.amdhsa_exception_fp_ieee_invalid_op 0
		.amdhsa_exception_fp_denorm_src 0
		.amdhsa_exception_fp_ieee_div_zero 0
		.amdhsa_exception_fp_ieee_overflow 0
		.amdhsa_exception_fp_ieee_underflow 0
		.amdhsa_exception_fp_ieee_inexact 0
		.amdhsa_exception_int_div_zero 0
	.end_amdhsa_kernel
	.section	.text._ZN7rocprim17ROCPRIM_400000_NS6detail17trampoline_kernelINS0_14default_configENS1_21merge_config_selectorINS0_5tupleIJxxEEENS0_10empty_typeEEEZNS1_10merge_implIS3_NS0_12zip_iteratorINS5_IJN6thrust23THRUST_200600_302600_NS6detail15normal_iteratorINSC_10device_ptrIKxEEEESI_EEEEESK_NSA_INS5_IJNSC_16discard_iteratorINSC_11use_defaultEEESN_EEEEEPS7_SQ_SQ_NSC_11hip_rocprim7__merge17predicate_wrapperIxxNSC_4lessIxEEEEEE10hipError_tPvRmT0_T1_T2_T3_T4_T5_mmT6_P12ihipStream_tbEUlT_E_NS1_11comp_targetILNS1_3genE10ELNS1_11target_archE1200ELNS1_3gpuE4ELNS1_3repE0EEENS1_30default_config_static_selectorELNS0_4arch9wavefront6targetE0EEEvS11_,"axG",@progbits,_ZN7rocprim17ROCPRIM_400000_NS6detail17trampoline_kernelINS0_14default_configENS1_21merge_config_selectorINS0_5tupleIJxxEEENS0_10empty_typeEEEZNS1_10merge_implIS3_NS0_12zip_iteratorINS5_IJN6thrust23THRUST_200600_302600_NS6detail15normal_iteratorINSC_10device_ptrIKxEEEESI_EEEEESK_NSA_INS5_IJNSC_16discard_iteratorINSC_11use_defaultEEESN_EEEEEPS7_SQ_SQ_NSC_11hip_rocprim7__merge17predicate_wrapperIxxNSC_4lessIxEEEEEE10hipError_tPvRmT0_T1_T2_T3_T4_T5_mmT6_P12ihipStream_tbEUlT_E_NS1_11comp_targetILNS1_3genE10ELNS1_11target_archE1200ELNS1_3gpuE4ELNS1_3repE0EEENS1_30default_config_static_selectorELNS0_4arch9wavefront6targetE0EEEvS11_,comdat
.Lfunc_end575:
	.size	_ZN7rocprim17ROCPRIM_400000_NS6detail17trampoline_kernelINS0_14default_configENS1_21merge_config_selectorINS0_5tupleIJxxEEENS0_10empty_typeEEEZNS1_10merge_implIS3_NS0_12zip_iteratorINS5_IJN6thrust23THRUST_200600_302600_NS6detail15normal_iteratorINSC_10device_ptrIKxEEEESI_EEEEESK_NSA_INS5_IJNSC_16discard_iteratorINSC_11use_defaultEEESN_EEEEEPS7_SQ_SQ_NSC_11hip_rocprim7__merge17predicate_wrapperIxxNSC_4lessIxEEEEEE10hipError_tPvRmT0_T1_T2_T3_T4_T5_mmT6_P12ihipStream_tbEUlT_E_NS1_11comp_targetILNS1_3genE10ELNS1_11target_archE1200ELNS1_3gpuE4ELNS1_3repE0EEENS1_30default_config_static_selectorELNS0_4arch9wavefront6targetE0EEEvS11_, .Lfunc_end575-_ZN7rocprim17ROCPRIM_400000_NS6detail17trampoline_kernelINS0_14default_configENS1_21merge_config_selectorINS0_5tupleIJxxEEENS0_10empty_typeEEEZNS1_10merge_implIS3_NS0_12zip_iteratorINS5_IJN6thrust23THRUST_200600_302600_NS6detail15normal_iteratorINSC_10device_ptrIKxEEEESI_EEEEESK_NSA_INS5_IJNSC_16discard_iteratorINSC_11use_defaultEEESN_EEEEEPS7_SQ_SQ_NSC_11hip_rocprim7__merge17predicate_wrapperIxxNSC_4lessIxEEEEEE10hipError_tPvRmT0_T1_T2_T3_T4_T5_mmT6_P12ihipStream_tbEUlT_E_NS1_11comp_targetILNS1_3genE10ELNS1_11target_archE1200ELNS1_3gpuE4ELNS1_3repE0EEENS1_30default_config_static_selectorELNS0_4arch9wavefront6targetE0EEEvS11_
                                        ; -- End function
	.set _ZN7rocprim17ROCPRIM_400000_NS6detail17trampoline_kernelINS0_14default_configENS1_21merge_config_selectorINS0_5tupleIJxxEEENS0_10empty_typeEEEZNS1_10merge_implIS3_NS0_12zip_iteratorINS5_IJN6thrust23THRUST_200600_302600_NS6detail15normal_iteratorINSC_10device_ptrIKxEEEESI_EEEEESK_NSA_INS5_IJNSC_16discard_iteratorINSC_11use_defaultEEESN_EEEEEPS7_SQ_SQ_NSC_11hip_rocprim7__merge17predicate_wrapperIxxNSC_4lessIxEEEEEE10hipError_tPvRmT0_T1_T2_T3_T4_T5_mmT6_P12ihipStream_tbEUlT_E_NS1_11comp_targetILNS1_3genE10ELNS1_11target_archE1200ELNS1_3gpuE4ELNS1_3repE0EEENS1_30default_config_static_selectorELNS0_4arch9wavefront6targetE0EEEvS11_.num_vgpr, 0
	.set _ZN7rocprim17ROCPRIM_400000_NS6detail17trampoline_kernelINS0_14default_configENS1_21merge_config_selectorINS0_5tupleIJxxEEENS0_10empty_typeEEEZNS1_10merge_implIS3_NS0_12zip_iteratorINS5_IJN6thrust23THRUST_200600_302600_NS6detail15normal_iteratorINSC_10device_ptrIKxEEEESI_EEEEESK_NSA_INS5_IJNSC_16discard_iteratorINSC_11use_defaultEEESN_EEEEEPS7_SQ_SQ_NSC_11hip_rocprim7__merge17predicate_wrapperIxxNSC_4lessIxEEEEEE10hipError_tPvRmT0_T1_T2_T3_T4_T5_mmT6_P12ihipStream_tbEUlT_E_NS1_11comp_targetILNS1_3genE10ELNS1_11target_archE1200ELNS1_3gpuE4ELNS1_3repE0EEENS1_30default_config_static_selectorELNS0_4arch9wavefront6targetE0EEEvS11_.num_agpr, 0
	.set _ZN7rocprim17ROCPRIM_400000_NS6detail17trampoline_kernelINS0_14default_configENS1_21merge_config_selectorINS0_5tupleIJxxEEENS0_10empty_typeEEEZNS1_10merge_implIS3_NS0_12zip_iteratorINS5_IJN6thrust23THRUST_200600_302600_NS6detail15normal_iteratorINSC_10device_ptrIKxEEEESI_EEEEESK_NSA_INS5_IJNSC_16discard_iteratorINSC_11use_defaultEEESN_EEEEEPS7_SQ_SQ_NSC_11hip_rocprim7__merge17predicate_wrapperIxxNSC_4lessIxEEEEEE10hipError_tPvRmT0_T1_T2_T3_T4_T5_mmT6_P12ihipStream_tbEUlT_E_NS1_11comp_targetILNS1_3genE10ELNS1_11target_archE1200ELNS1_3gpuE4ELNS1_3repE0EEENS1_30default_config_static_selectorELNS0_4arch9wavefront6targetE0EEEvS11_.numbered_sgpr, 0
	.set _ZN7rocprim17ROCPRIM_400000_NS6detail17trampoline_kernelINS0_14default_configENS1_21merge_config_selectorINS0_5tupleIJxxEEENS0_10empty_typeEEEZNS1_10merge_implIS3_NS0_12zip_iteratorINS5_IJN6thrust23THRUST_200600_302600_NS6detail15normal_iteratorINSC_10device_ptrIKxEEEESI_EEEEESK_NSA_INS5_IJNSC_16discard_iteratorINSC_11use_defaultEEESN_EEEEEPS7_SQ_SQ_NSC_11hip_rocprim7__merge17predicate_wrapperIxxNSC_4lessIxEEEEEE10hipError_tPvRmT0_T1_T2_T3_T4_T5_mmT6_P12ihipStream_tbEUlT_E_NS1_11comp_targetILNS1_3genE10ELNS1_11target_archE1200ELNS1_3gpuE4ELNS1_3repE0EEENS1_30default_config_static_selectorELNS0_4arch9wavefront6targetE0EEEvS11_.num_named_barrier, 0
	.set _ZN7rocprim17ROCPRIM_400000_NS6detail17trampoline_kernelINS0_14default_configENS1_21merge_config_selectorINS0_5tupleIJxxEEENS0_10empty_typeEEEZNS1_10merge_implIS3_NS0_12zip_iteratorINS5_IJN6thrust23THRUST_200600_302600_NS6detail15normal_iteratorINSC_10device_ptrIKxEEEESI_EEEEESK_NSA_INS5_IJNSC_16discard_iteratorINSC_11use_defaultEEESN_EEEEEPS7_SQ_SQ_NSC_11hip_rocprim7__merge17predicate_wrapperIxxNSC_4lessIxEEEEEE10hipError_tPvRmT0_T1_T2_T3_T4_T5_mmT6_P12ihipStream_tbEUlT_E_NS1_11comp_targetILNS1_3genE10ELNS1_11target_archE1200ELNS1_3gpuE4ELNS1_3repE0EEENS1_30default_config_static_selectorELNS0_4arch9wavefront6targetE0EEEvS11_.private_seg_size, 0
	.set _ZN7rocprim17ROCPRIM_400000_NS6detail17trampoline_kernelINS0_14default_configENS1_21merge_config_selectorINS0_5tupleIJxxEEENS0_10empty_typeEEEZNS1_10merge_implIS3_NS0_12zip_iteratorINS5_IJN6thrust23THRUST_200600_302600_NS6detail15normal_iteratorINSC_10device_ptrIKxEEEESI_EEEEESK_NSA_INS5_IJNSC_16discard_iteratorINSC_11use_defaultEEESN_EEEEEPS7_SQ_SQ_NSC_11hip_rocprim7__merge17predicate_wrapperIxxNSC_4lessIxEEEEEE10hipError_tPvRmT0_T1_T2_T3_T4_T5_mmT6_P12ihipStream_tbEUlT_E_NS1_11comp_targetILNS1_3genE10ELNS1_11target_archE1200ELNS1_3gpuE4ELNS1_3repE0EEENS1_30default_config_static_selectorELNS0_4arch9wavefront6targetE0EEEvS11_.uses_vcc, 0
	.set _ZN7rocprim17ROCPRIM_400000_NS6detail17trampoline_kernelINS0_14default_configENS1_21merge_config_selectorINS0_5tupleIJxxEEENS0_10empty_typeEEEZNS1_10merge_implIS3_NS0_12zip_iteratorINS5_IJN6thrust23THRUST_200600_302600_NS6detail15normal_iteratorINSC_10device_ptrIKxEEEESI_EEEEESK_NSA_INS5_IJNSC_16discard_iteratorINSC_11use_defaultEEESN_EEEEEPS7_SQ_SQ_NSC_11hip_rocprim7__merge17predicate_wrapperIxxNSC_4lessIxEEEEEE10hipError_tPvRmT0_T1_T2_T3_T4_T5_mmT6_P12ihipStream_tbEUlT_E_NS1_11comp_targetILNS1_3genE10ELNS1_11target_archE1200ELNS1_3gpuE4ELNS1_3repE0EEENS1_30default_config_static_selectorELNS0_4arch9wavefront6targetE0EEEvS11_.uses_flat_scratch, 0
	.set _ZN7rocprim17ROCPRIM_400000_NS6detail17trampoline_kernelINS0_14default_configENS1_21merge_config_selectorINS0_5tupleIJxxEEENS0_10empty_typeEEEZNS1_10merge_implIS3_NS0_12zip_iteratorINS5_IJN6thrust23THRUST_200600_302600_NS6detail15normal_iteratorINSC_10device_ptrIKxEEEESI_EEEEESK_NSA_INS5_IJNSC_16discard_iteratorINSC_11use_defaultEEESN_EEEEEPS7_SQ_SQ_NSC_11hip_rocprim7__merge17predicate_wrapperIxxNSC_4lessIxEEEEEE10hipError_tPvRmT0_T1_T2_T3_T4_T5_mmT6_P12ihipStream_tbEUlT_E_NS1_11comp_targetILNS1_3genE10ELNS1_11target_archE1200ELNS1_3gpuE4ELNS1_3repE0EEENS1_30default_config_static_selectorELNS0_4arch9wavefront6targetE0EEEvS11_.has_dyn_sized_stack, 0
	.set _ZN7rocprim17ROCPRIM_400000_NS6detail17trampoline_kernelINS0_14default_configENS1_21merge_config_selectorINS0_5tupleIJxxEEENS0_10empty_typeEEEZNS1_10merge_implIS3_NS0_12zip_iteratorINS5_IJN6thrust23THRUST_200600_302600_NS6detail15normal_iteratorINSC_10device_ptrIKxEEEESI_EEEEESK_NSA_INS5_IJNSC_16discard_iteratorINSC_11use_defaultEEESN_EEEEEPS7_SQ_SQ_NSC_11hip_rocprim7__merge17predicate_wrapperIxxNSC_4lessIxEEEEEE10hipError_tPvRmT0_T1_T2_T3_T4_T5_mmT6_P12ihipStream_tbEUlT_E_NS1_11comp_targetILNS1_3genE10ELNS1_11target_archE1200ELNS1_3gpuE4ELNS1_3repE0EEENS1_30default_config_static_selectorELNS0_4arch9wavefront6targetE0EEEvS11_.has_recursion, 0
	.set _ZN7rocprim17ROCPRIM_400000_NS6detail17trampoline_kernelINS0_14default_configENS1_21merge_config_selectorINS0_5tupleIJxxEEENS0_10empty_typeEEEZNS1_10merge_implIS3_NS0_12zip_iteratorINS5_IJN6thrust23THRUST_200600_302600_NS6detail15normal_iteratorINSC_10device_ptrIKxEEEESI_EEEEESK_NSA_INS5_IJNSC_16discard_iteratorINSC_11use_defaultEEESN_EEEEEPS7_SQ_SQ_NSC_11hip_rocprim7__merge17predicate_wrapperIxxNSC_4lessIxEEEEEE10hipError_tPvRmT0_T1_T2_T3_T4_T5_mmT6_P12ihipStream_tbEUlT_E_NS1_11comp_targetILNS1_3genE10ELNS1_11target_archE1200ELNS1_3gpuE4ELNS1_3repE0EEENS1_30default_config_static_selectorELNS0_4arch9wavefront6targetE0EEEvS11_.has_indirect_call, 0
	.section	.AMDGPU.csdata,"",@progbits
; Kernel info:
; codeLenInByte = 0
; TotalNumSgprs: 0
; NumVgprs: 0
; ScratchSize: 0
; MemoryBound: 0
; FloatMode: 240
; IeeeMode: 1
; LDSByteSize: 0 bytes/workgroup (compile time only)
; SGPRBlocks: 0
; VGPRBlocks: 0
; NumSGPRsForWavesPerEU: 1
; NumVGPRsForWavesPerEU: 1
; NamedBarCnt: 0
; Occupancy: 16
; WaveLimiterHint : 0
; COMPUTE_PGM_RSRC2:SCRATCH_EN: 0
; COMPUTE_PGM_RSRC2:USER_SGPR: 2
; COMPUTE_PGM_RSRC2:TRAP_HANDLER: 0
; COMPUTE_PGM_RSRC2:TGID_X_EN: 1
; COMPUTE_PGM_RSRC2:TGID_Y_EN: 0
; COMPUTE_PGM_RSRC2:TGID_Z_EN: 0
; COMPUTE_PGM_RSRC2:TIDIG_COMP_CNT: 0
	.section	.text._ZN7rocprim17ROCPRIM_400000_NS6detail17trampoline_kernelINS0_14default_configENS1_21merge_config_selectorINS0_5tupleIJxxEEENS0_10empty_typeEEEZNS1_10merge_implIS3_NS0_12zip_iteratorINS5_IJN6thrust23THRUST_200600_302600_NS6detail15normal_iteratorINSC_10device_ptrIKxEEEESI_EEEEESK_NSA_INS5_IJNSC_16discard_iteratorINSC_11use_defaultEEESN_EEEEEPS7_SQ_SQ_NSC_11hip_rocprim7__merge17predicate_wrapperIxxNSC_4lessIxEEEEEE10hipError_tPvRmT0_T1_T2_T3_T4_T5_mmT6_P12ihipStream_tbEUlT_E_NS1_11comp_targetILNS1_3genE9ELNS1_11target_archE1100ELNS1_3gpuE3ELNS1_3repE0EEENS1_30default_config_static_selectorELNS0_4arch9wavefront6targetE0EEEvS11_,"axG",@progbits,_ZN7rocprim17ROCPRIM_400000_NS6detail17trampoline_kernelINS0_14default_configENS1_21merge_config_selectorINS0_5tupleIJxxEEENS0_10empty_typeEEEZNS1_10merge_implIS3_NS0_12zip_iteratorINS5_IJN6thrust23THRUST_200600_302600_NS6detail15normal_iteratorINSC_10device_ptrIKxEEEESI_EEEEESK_NSA_INS5_IJNSC_16discard_iteratorINSC_11use_defaultEEESN_EEEEEPS7_SQ_SQ_NSC_11hip_rocprim7__merge17predicate_wrapperIxxNSC_4lessIxEEEEEE10hipError_tPvRmT0_T1_T2_T3_T4_T5_mmT6_P12ihipStream_tbEUlT_E_NS1_11comp_targetILNS1_3genE9ELNS1_11target_archE1100ELNS1_3gpuE3ELNS1_3repE0EEENS1_30default_config_static_selectorELNS0_4arch9wavefront6targetE0EEEvS11_,comdat
	.protected	_ZN7rocprim17ROCPRIM_400000_NS6detail17trampoline_kernelINS0_14default_configENS1_21merge_config_selectorINS0_5tupleIJxxEEENS0_10empty_typeEEEZNS1_10merge_implIS3_NS0_12zip_iteratorINS5_IJN6thrust23THRUST_200600_302600_NS6detail15normal_iteratorINSC_10device_ptrIKxEEEESI_EEEEESK_NSA_INS5_IJNSC_16discard_iteratorINSC_11use_defaultEEESN_EEEEEPS7_SQ_SQ_NSC_11hip_rocprim7__merge17predicate_wrapperIxxNSC_4lessIxEEEEEE10hipError_tPvRmT0_T1_T2_T3_T4_T5_mmT6_P12ihipStream_tbEUlT_E_NS1_11comp_targetILNS1_3genE9ELNS1_11target_archE1100ELNS1_3gpuE3ELNS1_3repE0EEENS1_30default_config_static_selectorELNS0_4arch9wavefront6targetE0EEEvS11_ ; -- Begin function _ZN7rocprim17ROCPRIM_400000_NS6detail17trampoline_kernelINS0_14default_configENS1_21merge_config_selectorINS0_5tupleIJxxEEENS0_10empty_typeEEEZNS1_10merge_implIS3_NS0_12zip_iteratorINS5_IJN6thrust23THRUST_200600_302600_NS6detail15normal_iteratorINSC_10device_ptrIKxEEEESI_EEEEESK_NSA_INS5_IJNSC_16discard_iteratorINSC_11use_defaultEEESN_EEEEEPS7_SQ_SQ_NSC_11hip_rocprim7__merge17predicate_wrapperIxxNSC_4lessIxEEEEEE10hipError_tPvRmT0_T1_T2_T3_T4_T5_mmT6_P12ihipStream_tbEUlT_E_NS1_11comp_targetILNS1_3genE9ELNS1_11target_archE1100ELNS1_3gpuE3ELNS1_3repE0EEENS1_30default_config_static_selectorELNS0_4arch9wavefront6targetE0EEEvS11_
	.globl	_ZN7rocprim17ROCPRIM_400000_NS6detail17trampoline_kernelINS0_14default_configENS1_21merge_config_selectorINS0_5tupleIJxxEEENS0_10empty_typeEEEZNS1_10merge_implIS3_NS0_12zip_iteratorINS5_IJN6thrust23THRUST_200600_302600_NS6detail15normal_iteratorINSC_10device_ptrIKxEEEESI_EEEEESK_NSA_INS5_IJNSC_16discard_iteratorINSC_11use_defaultEEESN_EEEEEPS7_SQ_SQ_NSC_11hip_rocprim7__merge17predicate_wrapperIxxNSC_4lessIxEEEEEE10hipError_tPvRmT0_T1_T2_T3_T4_T5_mmT6_P12ihipStream_tbEUlT_E_NS1_11comp_targetILNS1_3genE9ELNS1_11target_archE1100ELNS1_3gpuE3ELNS1_3repE0EEENS1_30default_config_static_selectorELNS0_4arch9wavefront6targetE0EEEvS11_
	.p2align	8
	.type	_ZN7rocprim17ROCPRIM_400000_NS6detail17trampoline_kernelINS0_14default_configENS1_21merge_config_selectorINS0_5tupleIJxxEEENS0_10empty_typeEEEZNS1_10merge_implIS3_NS0_12zip_iteratorINS5_IJN6thrust23THRUST_200600_302600_NS6detail15normal_iteratorINSC_10device_ptrIKxEEEESI_EEEEESK_NSA_INS5_IJNSC_16discard_iteratorINSC_11use_defaultEEESN_EEEEEPS7_SQ_SQ_NSC_11hip_rocprim7__merge17predicate_wrapperIxxNSC_4lessIxEEEEEE10hipError_tPvRmT0_T1_T2_T3_T4_T5_mmT6_P12ihipStream_tbEUlT_E_NS1_11comp_targetILNS1_3genE9ELNS1_11target_archE1100ELNS1_3gpuE3ELNS1_3repE0EEENS1_30default_config_static_selectorELNS0_4arch9wavefront6targetE0EEEvS11_,@function
_ZN7rocprim17ROCPRIM_400000_NS6detail17trampoline_kernelINS0_14default_configENS1_21merge_config_selectorINS0_5tupleIJxxEEENS0_10empty_typeEEEZNS1_10merge_implIS3_NS0_12zip_iteratorINS5_IJN6thrust23THRUST_200600_302600_NS6detail15normal_iteratorINSC_10device_ptrIKxEEEESI_EEEEESK_NSA_INS5_IJNSC_16discard_iteratorINSC_11use_defaultEEESN_EEEEEPS7_SQ_SQ_NSC_11hip_rocprim7__merge17predicate_wrapperIxxNSC_4lessIxEEEEEE10hipError_tPvRmT0_T1_T2_T3_T4_T5_mmT6_P12ihipStream_tbEUlT_E_NS1_11comp_targetILNS1_3genE9ELNS1_11target_archE1100ELNS1_3gpuE3ELNS1_3repE0EEENS1_30default_config_static_selectorELNS0_4arch9wavefront6targetE0EEEvS11_: ; @_ZN7rocprim17ROCPRIM_400000_NS6detail17trampoline_kernelINS0_14default_configENS1_21merge_config_selectorINS0_5tupleIJxxEEENS0_10empty_typeEEEZNS1_10merge_implIS3_NS0_12zip_iteratorINS5_IJN6thrust23THRUST_200600_302600_NS6detail15normal_iteratorINSC_10device_ptrIKxEEEESI_EEEEESK_NSA_INS5_IJNSC_16discard_iteratorINSC_11use_defaultEEESN_EEEEEPS7_SQ_SQ_NSC_11hip_rocprim7__merge17predicate_wrapperIxxNSC_4lessIxEEEEEE10hipError_tPvRmT0_T1_T2_T3_T4_T5_mmT6_P12ihipStream_tbEUlT_E_NS1_11comp_targetILNS1_3genE9ELNS1_11target_archE1100ELNS1_3gpuE3ELNS1_3repE0EEENS1_30default_config_static_selectorELNS0_4arch9wavefront6targetE0EEEvS11_
; %bb.0:
	.section	.rodata,"a",@progbits
	.p2align	6, 0x0
	.amdhsa_kernel _ZN7rocprim17ROCPRIM_400000_NS6detail17trampoline_kernelINS0_14default_configENS1_21merge_config_selectorINS0_5tupleIJxxEEENS0_10empty_typeEEEZNS1_10merge_implIS3_NS0_12zip_iteratorINS5_IJN6thrust23THRUST_200600_302600_NS6detail15normal_iteratorINSC_10device_ptrIKxEEEESI_EEEEESK_NSA_INS5_IJNSC_16discard_iteratorINSC_11use_defaultEEESN_EEEEEPS7_SQ_SQ_NSC_11hip_rocprim7__merge17predicate_wrapperIxxNSC_4lessIxEEEEEE10hipError_tPvRmT0_T1_T2_T3_T4_T5_mmT6_P12ihipStream_tbEUlT_E_NS1_11comp_targetILNS1_3genE9ELNS1_11target_archE1100ELNS1_3gpuE3ELNS1_3repE0EEENS1_30default_config_static_selectorELNS0_4arch9wavefront6targetE0EEEvS11_
		.amdhsa_group_segment_fixed_size 0
		.amdhsa_private_segment_fixed_size 0
		.amdhsa_kernarg_size 64
		.amdhsa_user_sgpr_count 2
		.amdhsa_user_sgpr_dispatch_ptr 0
		.amdhsa_user_sgpr_queue_ptr 0
		.amdhsa_user_sgpr_kernarg_segment_ptr 1
		.amdhsa_user_sgpr_dispatch_id 0
		.amdhsa_user_sgpr_kernarg_preload_length 0
		.amdhsa_user_sgpr_kernarg_preload_offset 0
		.amdhsa_user_sgpr_private_segment_size 0
		.amdhsa_wavefront_size32 1
		.amdhsa_uses_dynamic_stack 0
		.amdhsa_enable_private_segment 0
		.amdhsa_system_sgpr_workgroup_id_x 1
		.amdhsa_system_sgpr_workgroup_id_y 0
		.amdhsa_system_sgpr_workgroup_id_z 0
		.amdhsa_system_sgpr_workgroup_info 0
		.amdhsa_system_vgpr_workitem_id 0
		.amdhsa_next_free_vgpr 1
		.amdhsa_next_free_sgpr 1
		.amdhsa_named_barrier_count 0
		.amdhsa_reserve_vcc 0
		.amdhsa_float_round_mode_32 0
		.amdhsa_float_round_mode_16_64 0
		.amdhsa_float_denorm_mode_32 3
		.amdhsa_float_denorm_mode_16_64 3
		.amdhsa_fp16_overflow 0
		.amdhsa_memory_ordered 1
		.amdhsa_forward_progress 1
		.amdhsa_inst_pref_size 0
		.amdhsa_round_robin_scheduling 0
		.amdhsa_exception_fp_ieee_invalid_op 0
		.amdhsa_exception_fp_denorm_src 0
		.amdhsa_exception_fp_ieee_div_zero 0
		.amdhsa_exception_fp_ieee_overflow 0
		.amdhsa_exception_fp_ieee_underflow 0
		.amdhsa_exception_fp_ieee_inexact 0
		.amdhsa_exception_int_div_zero 0
	.end_amdhsa_kernel
	.section	.text._ZN7rocprim17ROCPRIM_400000_NS6detail17trampoline_kernelINS0_14default_configENS1_21merge_config_selectorINS0_5tupleIJxxEEENS0_10empty_typeEEEZNS1_10merge_implIS3_NS0_12zip_iteratorINS5_IJN6thrust23THRUST_200600_302600_NS6detail15normal_iteratorINSC_10device_ptrIKxEEEESI_EEEEESK_NSA_INS5_IJNSC_16discard_iteratorINSC_11use_defaultEEESN_EEEEEPS7_SQ_SQ_NSC_11hip_rocprim7__merge17predicate_wrapperIxxNSC_4lessIxEEEEEE10hipError_tPvRmT0_T1_T2_T3_T4_T5_mmT6_P12ihipStream_tbEUlT_E_NS1_11comp_targetILNS1_3genE9ELNS1_11target_archE1100ELNS1_3gpuE3ELNS1_3repE0EEENS1_30default_config_static_selectorELNS0_4arch9wavefront6targetE0EEEvS11_,"axG",@progbits,_ZN7rocprim17ROCPRIM_400000_NS6detail17trampoline_kernelINS0_14default_configENS1_21merge_config_selectorINS0_5tupleIJxxEEENS0_10empty_typeEEEZNS1_10merge_implIS3_NS0_12zip_iteratorINS5_IJN6thrust23THRUST_200600_302600_NS6detail15normal_iteratorINSC_10device_ptrIKxEEEESI_EEEEESK_NSA_INS5_IJNSC_16discard_iteratorINSC_11use_defaultEEESN_EEEEEPS7_SQ_SQ_NSC_11hip_rocprim7__merge17predicate_wrapperIxxNSC_4lessIxEEEEEE10hipError_tPvRmT0_T1_T2_T3_T4_T5_mmT6_P12ihipStream_tbEUlT_E_NS1_11comp_targetILNS1_3genE9ELNS1_11target_archE1100ELNS1_3gpuE3ELNS1_3repE0EEENS1_30default_config_static_selectorELNS0_4arch9wavefront6targetE0EEEvS11_,comdat
.Lfunc_end576:
	.size	_ZN7rocprim17ROCPRIM_400000_NS6detail17trampoline_kernelINS0_14default_configENS1_21merge_config_selectorINS0_5tupleIJxxEEENS0_10empty_typeEEEZNS1_10merge_implIS3_NS0_12zip_iteratorINS5_IJN6thrust23THRUST_200600_302600_NS6detail15normal_iteratorINSC_10device_ptrIKxEEEESI_EEEEESK_NSA_INS5_IJNSC_16discard_iteratorINSC_11use_defaultEEESN_EEEEEPS7_SQ_SQ_NSC_11hip_rocprim7__merge17predicate_wrapperIxxNSC_4lessIxEEEEEE10hipError_tPvRmT0_T1_T2_T3_T4_T5_mmT6_P12ihipStream_tbEUlT_E_NS1_11comp_targetILNS1_3genE9ELNS1_11target_archE1100ELNS1_3gpuE3ELNS1_3repE0EEENS1_30default_config_static_selectorELNS0_4arch9wavefront6targetE0EEEvS11_, .Lfunc_end576-_ZN7rocprim17ROCPRIM_400000_NS6detail17trampoline_kernelINS0_14default_configENS1_21merge_config_selectorINS0_5tupleIJxxEEENS0_10empty_typeEEEZNS1_10merge_implIS3_NS0_12zip_iteratorINS5_IJN6thrust23THRUST_200600_302600_NS6detail15normal_iteratorINSC_10device_ptrIKxEEEESI_EEEEESK_NSA_INS5_IJNSC_16discard_iteratorINSC_11use_defaultEEESN_EEEEEPS7_SQ_SQ_NSC_11hip_rocprim7__merge17predicate_wrapperIxxNSC_4lessIxEEEEEE10hipError_tPvRmT0_T1_T2_T3_T4_T5_mmT6_P12ihipStream_tbEUlT_E_NS1_11comp_targetILNS1_3genE9ELNS1_11target_archE1100ELNS1_3gpuE3ELNS1_3repE0EEENS1_30default_config_static_selectorELNS0_4arch9wavefront6targetE0EEEvS11_
                                        ; -- End function
	.set _ZN7rocprim17ROCPRIM_400000_NS6detail17trampoline_kernelINS0_14default_configENS1_21merge_config_selectorINS0_5tupleIJxxEEENS0_10empty_typeEEEZNS1_10merge_implIS3_NS0_12zip_iteratorINS5_IJN6thrust23THRUST_200600_302600_NS6detail15normal_iteratorINSC_10device_ptrIKxEEEESI_EEEEESK_NSA_INS5_IJNSC_16discard_iteratorINSC_11use_defaultEEESN_EEEEEPS7_SQ_SQ_NSC_11hip_rocprim7__merge17predicate_wrapperIxxNSC_4lessIxEEEEEE10hipError_tPvRmT0_T1_T2_T3_T4_T5_mmT6_P12ihipStream_tbEUlT_E_NS1_11comp_targetILNS1_3genE9ELNS1_11target_archE1100ELNS1_3gpuE3ELNS1_3repE0EEENS1_30default_config_static_selectorELNS0_4arch9wavefront6targetE0EEEvS11_.num_vgpr, 0
	.set _ZN7rocprim17ROCPRIM_400000_NS6detail17trampoline_kernelINS0_14default_configENS1_21merge_config_selectorINS0_5tupleIJxxEEENS0_10empty_typeEEEZNS1_10merge_implIS3_NS0_12zip_iteratorINS5_IJN6thrust23THRUST_200600_302600_NS6detail15normal_iteratorINSC_10device_ptrIKxEEEESI_EEEEESK_NSA_INS5_IJNSC_16discard_iteratorINSC_11use_defaultEEESN_EEEEEPS7_SQ_SQ_NSC_11hip_rocprim7__merge17predicate_wrapperIxxNSC_4lessIxEEEEEE10hipError_tPvRmT0_T1_T2_T3_T4_T5_mmT6_P12ihipStream_tbEUlT_E_NS1_11comp_targetILNS1_3genE9ELNS1_11target_archE1100ELNS1_3gpuE3ELNS1_3repE0EEENS1_30default_config_static_selectorELNS0_4arch9wavefront6targetE0EEEvS11_.num_agpr, 0
	.set _ZN7rocprim17ROCPRIM_400000_NS6detail17trampoline_kernelINS0_14default_configENS1_21merge_config_selectorINS0_5tupleIJxxEEENS0_10empty_typeEEEZNS1_10merge_implIS3_NS0_12zip_iteratorINS5_IJN6thrust23THRUST_200600_302600_NS6detail15normal_iteratorINSC_10device_ptrIKxEEEESI_EEEEESK_NSA_INS5_IJNSC_16discard_iteratorINSC_11use_defaultEEESN_EEEEEPS7_SQ_SQ_NSC_11hip_rocprim7__merge17predicate_wrapperIxxNSC_4lessIxEEEEEE10hipError_tPvRmT0_T1_T2_T3_T4_T5_mmT6_P12ihipStream_tbEUlT_E_NS1_11comp_targetILNS1_3genE9ELNS1_11target_archE1100ELNS1_3gpuE3ELNS1_3repE0EEENS1_30default_config_static_selectorELNS0_4arch9wavefront6targetE0EEEvS11_.numbered_sgpr, 0
	.set _ZN7rocprim17ROCPRIM_400000_NS6detail17trampoline_kernelINS0_14default_configENS1_21merge_config_selectorINS0_5tupleIJxxEEENS0_10empty_typeEEEZNS1_10merge_implIS3_NS0_12zip_iteratorINS5_IJN6thrust23THRUST_200600_302600_NS6detail15normal_iteratorINSC_10device_ptrIKxEEEESI_EEEEESK_NSA_INS5_IJNSC_16discard_iteratorINSC_11use_defaultEEESN_EEEEEPS7_SQ_SQ_NSC_11hip_rocprim7__merge17predicate_wrapperIxxNSC_4lessIxEEEEEE10hipError_tPvRmT0_T1_T2_T3_T4_T5_mmT6_P12ihipStream_tbEUlT_E_NS1_11comp_targetILNS1_3genE9ELNS1_11target_archE1100ELNS1_3gpuE3ELNS1_3repE0EEENS1_30default_config_static_selectorELNS0_4arch9wavefront6targetE0EEEvS11_.num_named_barrier, 0
	.set _ZN7rocprim17ROCPRIM_400000_NS6detail17trampoline_kernelINS0_14default_configENS1_21merge_config_selectorINS0_5tupleIJxxEEENS0_10empty_typeEEEZNS1_10merge_implIS3_NS0_12zip_iteratorINS5_IJN6thrust23THRUST_200600_302600_NS6detail15normal_iteratorINSC_10device_ptrIKxEEEESI_EEEEESK_NSA_INS5_IJNSC_16discard_iteratorINSC_11use_defaultEEESN_EEEEEPS7_SQ_SQ_NSC_11hip_rocprim7__merge17predicate_wrapperIxxNSC_4lessIxEEEEEE10hipError_tPvRmT0_T1_T2_T3_T4_T5_mmT6_P12ihipStream_tbEUlT_E_NS1_11comp_targetILNS1_3genE9ELNS1_11target_archE1100ELNS1_3gpuE3ELNS1_3repE0EEENS1_30default_config_static_selectorELNS0_4arch9wavefront6targetE0EEEvS11_.private_seg_size, 0
	.set _ZN7rocprim17ROCPRIM_400000_NS6detail17trampoline_kernelINS0_14default_configENS1_21merge_config_selectorINS0_5tupleIJxxEEENS0_10empty_typeEEEZNS1_10merge_implIS3_NS0_12zip_iteratorINS5_IJN6thrust23THRUST_200600_302600_NS6detail15normal_iteratorINSC_10device_ptrIKxEEEESI_EEEEESK_NSA_INS5_IJNSC_16discard_iteratorINSC_11use_defaultEEESN_EEEEEPS7_SQ_SQ_NSC_11hip_rocprim7__merge17predicate_wrapperIxxNSC_4lessIxEEEEEE10hipError_tPvRmT0_T1_T2_T3_T4_T5_mmT6_P12ihipStream_tbEUlT_E_NS1_11comp_targetILNS1_3genE9ELNS1_11target_archE1100ELNS1_3gpuE3ELNS1_3repE0EEENS1_30default_config_static_selectorELNS0_4arch9wavefront6targetE0EEEvS11_.uses_vcc, 0
	.set _ZN7rocprim17ROCPRIM_400000_NS6detail17trampoline_kernelINS0_14default_configENS1_21merge_config_selectorINS0_5tupleIJxxEEENS0_10empty_typeEEEZNS1_10merge_implIS3_NS0_12zip_iteratorINS5_IJN6thrust23THRUST_200600_302600_NS6detail15normal_iteratorINSC_10device_ptrIKxEEEESI_EEEEESK_NSA_INS5_IJNSC_16discard_iteratorINSC_11use_defaultEEESN_EEEEEPS7_SQ_SQ_NSC_11hip_rocprim7__merge17predicate_wrapperIxxNSC_4lessIxEEEEEE10hipError_tPvRmT0_T1_T2_T3_T4_T5_mmT6_P12ihipStream_tbEUlT_E_NS1_11comp_targetILNS1_3genE9ELNS1_11target_archE1100ELNS1_3gpuE3ELNS1_3repE0EEENS1_30default_config_static_selectorELNS0_4arch9wavefront6targetE0EEEvS11_.uses_flat_scratch, 0
	.set _ZN7rocprim17ROCPRIM_400000_NS6detail17trampoline_kernelINS0_14default_configENS1_21merge_config_selectorINS0_5tupleIJxxEEENS0_10empty_typeEEEZNS1_10merge_implIS3_NS0_12zip_iteratorINS5_IJN6thrust23THRUST_200600_302600_NS6detail15normal_iteratorINSC_10device_ptrIKxEEEESI_EEEEESK_NSA_INS5_IJNSC_16discard_iteratorINSC_11use_defaultEEESN_EEEEEPS7_SQ_SQ_NSC_11hip_rocprim7__merge17predicate_wrapperIxxNSC_4lessIxEEEEEE10hipError_tPvRmT0_T1_T2_T3_T4_T5_mmT6_P12ihipStream_tbEUlT_E_NS1_11comp_targetILNS1_3genE9ELNS1_11target_archE1100ELNS1_3gpuE3ELNS1_3repE0EEENS1_30default_config_static_selectorELNS0_4arch9wavefront6targetE0EEEvS11_.has_dyn_sized_stack, 0
	.set _ZN7rocprim17ROCPRIM_400000_NS6detail17trampoline_kernelINS0_14default_configENS1_21merge_config_selectorINS0_5tupleIJxxEEENS0_10empty_typeEEEZNS1_10merge_implIS3_NS0_12zip_iteratorINS5_IJN6thrust23THRUST_200600_302600_NS6detail15normal_iteratorINSC_10device_ptrIKxEEEESI_EEEEESK_NSA_INS5_IJNSC_16discard_iteratorINSC_11use_defaultEEESN_EEEEEPS7_SQ_SQ_NSC_11hip_rocprim7__merge17predicate_wrapperIxxNSC_4lessIxEEEEEE10hipError_tPvRmT0_T1_T2_T3_T4_T5_mmT6_P12ihipStream_tbEUlT_E_NS1_11comp_targetILNS1_3genE9ELNS1_11target_archE1100ELNS1_3gpuE3ELNS1_3repE0EEENS1_30default_config_static_selectorELNS0_4arch9wavefront6targetE0EEEvS11_.has_recursion, 0
	.set _ZN7rocprim17ROCPRIM_400000_NS6detail17trampoline_kernelINS0_14default_configENS1_21merge_config_selectorINS0_5tupleIJxxEEENS0_10empty_typeEEEZNS1_10merge_implIS3_NS0_12zip_iteratorINS5_IJN6thrust23THRUST_200600_302600_NS6detail15normal_iteratorINSC_10device_ptrIKxEEEESI_EEEEESK_NSA_INS5_IJNSC_16discard_iteratorINSC_11use_defaultEEESN_EEEEEPS7_SQ_SQ_NSC_11hip_rocprim7__merge17predicate_wrapperIxxNSC_4lessIxEEEEEE10hipError_tPvRmT0_T1_T2_T3_T4_T5_mmT6_P12ihipStream_tbEUlT_E_NS1_11comp_targetILNS1_3genE9ELNS1_11target_archE1100ELNS1_3gpuE3ELNS1_3repE0EEENS1_30default_config_static_selectorELNS0_4arch9wavefront6targetE0EEEvS11_.has_indirect_call, 0
	.section	.AMDGPU.csdata,"",@progbits
; Kernel info:
; codeLenInByte = 0
; TotalNumSgprs: 0
; NumVgprs: 0
; ScratchSize: 0
; MemoryBound: 0
; FloatMode: 240
; IeeeMode: 1
; LDSByteSize: 0 bytes/workgroup (compile time only)
; SGPRBlocks: 0
; VGPRBlocks: 0
; NumSGPRsForWavesPerEU: 1
; NumVGPRsForWavesPerEU: 1
; NamedBarCnt: 0
; Occupancy: 16
; WaveLimiterHint : 0
; COMPUTE_PGM_RSRC2:SCRATCH_EN: 0
; COMPUTE_PGM_RSRC2:USER_SGPR: 2
; COMPUTE_PGM_RSRC2:TRAP_HANDLER: 0
; COMPUTE_PGM_RSRC2:TGID_X_EN: 1
; COMPUTE_PGM_RSRC2:TGID_Y_EN: 0
; COMPUTE_PGM_RSRC2:TGID_Z_EN: 0
; COMPUTE_PGM_RSRC2:TIDIG_COMP_CNT: 0
	.section	.text._ZN7rocprim17ROCPRIM_400000_NS6detail17trampoline_kernelINS0_14default_configENS1_21merge_config_selectorINS0_5tupleIJxxEEENS0_10empty_typeEEEZNS1_10merge_implIS3_NS0_12zip_iteratorINS5_IJN6thrust23THRUST_200600_302600_NS6detail15normal_iteratorINSC_10device_ptrIKxEEEESI_EEEEESK_NSA_INS5_IJNSC_16discard_iteratorINSC_11use_defaultEEESN_EEEEEPS7_SQ_SQ_NSC_11hip_rocprim7__merge17predicate_wrapperIxxNSC_4lessIxEEEEEE10hipError_tPvRmT0_T1_T2_T3_T4_T5_mmT6_P12ihipStream_tbEUlT_E_NS1_11comp_targetILNS1_3genE8ELNS1_11target_archE1030ELNS1_3gpuE2ELNS1_3repE0EEENS1_30default_config_static_selectorELNS0_4arch9wavefront6targetE0EEEvS11_,"axG",@progbits,_ZN7rocprim17ROCPRIM_400000_NS6detail17trampoline_kernelINS0_14default_configENS1_21merge_config_selectorINS0_5tupleIJxxEEENS0_10empty_typeEEEZNS1_10merge_implIS3_NS0_12zip_iteratorINS5_IJN6thrust23THRUST_200600_302600_NS6detail15normal_iteratorINSC_10device_ptrIKxEEEESI_EEEEESK_NSA_INS5_IJNSC_16discard_iteratorINSC_11use_defaultEEESN_EEEEEPS7_SQ_SQ_NSC_11hip_rocprim7__merge17predicate_wrapperIxxNSC_4lessIxEEEEEE10hipError_tPvRmT0_T1_T2_T3_T4_T5_mmT6_P12ihipStream_tbEUlT_E_NS1_11comp_targetILNS1_3genE8ELNS1_11target_archE1030ELNS1_3gpuE2ELNS1_3repE0EEENS1_30default_config_static_selectorELNS0_4arch9wavefront6targetE0EEEvS11_,comdat
	.protected	_ZN7rocprim17ROCPRIM_400000_NS6detail17trampoline_kernelINS0_14default_configENS1_21merge_config_selectorINS0_5tupleIJxxEEENS0_10empty_typeEEEZNS1_10merge_implIS3_NS0_12zip_iteratorINS5_IJN6thrust23THRUST_200600_302600_NS6detail15normal_iteratorINSC_10device_ptrIKxEEEESI_EEEEESK_NSA_INS5_IJNSC_16discard_iteratorINSC_11use_defaultEEESN_EEEEEPS7_SQ_SQ_NSC_11hip_rocprim7__merge17predicate_wrapperIxxNSC_4lessIxEEEEEE10hipError_tPvRmT0_T1_T2_T3_T4_T5_mmT6_P12ihipStream_tbEUlT_E_NS1_11comp_targetILNS1_3genE8ELNS1_11target_archE1030ELNS1_3gpuE2ELNS1_3repE0EEENS1_30default_config_static_selectorELNS0_4arch9wavefront6targetE0EEEvS11_ ; -- Begin function _ZN7rocprim17ROCPRIM_400000_NS6detail17trampoline_kernelINS0_14default_configENS1_21merge_config_selectorINS0_5tupleIJxxEEENS0_10empty_typeEEEZNS1_10merge_implIS3_NS0_12zip_iteratorINS5_IJN6thrust23THRUST_200600_302600_NS6detail15normal_iteratorINSC_10device_ptrIKxEEEESI_EEEEESK_NSA_INS5_IJNSC_16discard_iteratorINSC_11use_defaultEEESN_EEEEEPS7_SQ_SQ_NSC_11hip_rocprim7__merge17predicate_wrapperIxxNSC_4lessIxEEEEEE10hipError_tPvRmT0_T1_T2_T3_T4_T5_mmT6_P12ihipStream_tbEUlT_E_NS1_11comp_targetILNS1_3genE8ELNS1_11target_archE1030ELNS1_3gpuE2ELNS1_3repE0EEENS1_30default_config_static_selectorELNS0_4arch9wavefront6targetE0EEEvS11_
	.globl	_ZN7rocprim17ROCPRIM_400000_NS6detail17trampoline_kernelINS0_14default_configENS1_21merge_config_selectorINS0_5tupleIJxxEEENS0_10empty_typeEEEZNS1_10merge_implIS3_NS0_12zip_iteratorINS5_IJN6thrust23THRUST_200600_302600_NS6detail15normal_iteratorINSC_10device_ptrIKxEEEESI_EEEEESK_NSA_INS5_IJNSC_16discard_iteratorINSC_11use_defaultEEESN_EEEEEPS7_SQ_SQ_NSC_11hip_rocprim7__merge17predicate_wrapperIxxNSC_4lessIxEEEEEE10hipError_tPvRmT0_T1_T2_T3_T4_T5_mmT6_P12ihipStream_tbEUlT_E_NS1_11comp_targetILNS1_3genE8ELNS1_11target_archE1030ELNS1_3gpuE2ELNS1_3repE0EEENS1_30default_config_static_selectorELNS0_4arch9wavefront6targetE0EEEvS11_
	.p2align	8
	.type	_ZN7rocprim17ROCPRIM_400000_NS6detail17trampoline_kernelINS0_14default_configENS1_21merge_config_selectorINS0_5tupleIJxxEEENS0_10empty_typeEEEZNS1_10merge_implIS3_NS0_12zip_iteratorINS5_IJN6thrust23THRUST_200600_302600_NS6detail15normal_iteratorINSC_10device_ptrIKxEEEESI_EEEEESK_NSA_INS5_IJNSC_16discard_iteratorINSC_11use_defaultEEESN_EEEEEPS7_SQ_SQ_NSC_11hip_rocprim7__merge17predicate_wrapperIxxNSC_4lessIxEEEEEE10hipError_tPvRmT0_T1_T2_T3_T4_T5_mmT6_P12ihipStream_tbEUlT_E_NS1_11comp_targetILNS1_3genE8ELNS1_11target_archE1030ELNS1_3gpuE2ELNS1_3repE0EEENS1_30default_config_static_selectorELNS0_4arch9wavefront6targetE0EEEvS11_,@function
_ZN7rocprim17ROCPRIM_400000_NS6detail17trampoline_kernelINS0_14default_configENS1_21merge_config_selectorINS0_5tupleIJxxEEENS0_10empty_typeEEEZNS1_10merge_implIS3_NS0_12zip_iteratorINS5_IJN6thrust23THRUST_200600_302600_NS6detail15normal_iteratorINSC_10device_ptrIKxEEEESI_EEEEESK_NSA_INS5_IJNSC_16discard_iteratorINSC_11use_defaultEEESN_EEEEEPS7_SQ_SQ_NSC_11hip_rocprim7__merge17predicate_wrapperIxxNSC_4lessIxEEEEEE10hipError_tPvRmT0_T1_T2_T3_T4_T5_mmT6_P12ihipStream_tbEUlT_E_NS1_11comp_targetILNS1_3genE8ELNS1_11target_archE1030ELNS1_3gpuE2ELNS1_3repE0EEENS1_30default_config_static_selectorELNS0_4arch9wavefront6targetE0EEEvS11_: ; @_ZN7rocprim17ROCPRIM_400000_NS6detail17trampoline_kernelINS0_14default_configENS1_21merge_config_selectorINS0_5tupleIJxxEEENS0_10empty_typeEEEZNS1_10merge_implIS3_NS0_12zip_iteratorINS5_IJN6thrust23THRUST_200600_302600_NS6detail15normal_iteratorINSC_10device_ptrIKxEEEESI_EEEEESK_NSA_INS5_IJNSC_16discard_iteratorINSC_11use_defaultEEESN_EEEEEPS7_SQ_SQ_NSC_11hip_rocprim7__merge17predicate_wrapperIxxNSC_4lessIxEEEEEE10hipError_tPvRmT0_T1_T2_T3_T4_T5_mmT6_P12ihipStream_tbEUlT_E_NS1_11comp_targetILNS1_3genE8ELNS1_11target_archE1030ELNS1_3gpuE2ELNS1_3repE0EEENS1_30default_config_static_selectorELNS0_4arch9wavefront6targetE0EEEvS11_
; %bb.0:
	.section	.rodata,"a",@progbits
	.p2align	6, 0x0
	.amdhsa_kernel _ZN7rocprim17ROCPRIM_400000_NS6detail17trampoline_kernelINS0_14default_configENS1_21merge_config_selectorINS0_5tupleIJxxEEENS0_10empty_typeEEEZNS1_10merge_implIS3_NS0_12zip_iteratorINS5_IJN6thrust23THRUST_200600_302600_NS6detail15normal_iteratorINSC_10device_ptrIKxEEEESI_EEEEESK_NSA_INS5_IJNSC_16discard_iteratorINSC_11use_defaultEEESN_EEEEEPS7_SQ_SQ_NSC_11hip_rocprim7__merge17predicate_wrapperIxxNSC_4lessIxEEEEEE10hipError_tPvRmT0_T1_T2_T3_T4_T5_mmT6_P12ihipStream_tbEUlT_E_NS1_11comp_targetILNS1_3genE8ELNS1_11target_archE1030ELNS1_3gpuE2ELNS1_3repE0EEENS1_30default_config_static_selectorELNS0_4arch9wavefront6targetE0EEEvS11_
		.amdhsa_group_segment_fixed_size 0
		.amdhsa_private_segment_fixed_size 0
		.amdhsa_kernarg_size 64
		.amdhsa_user_sgpr_count 2
		.amdhsa_user_sgpr_dispatch_ptr 0
		.amdhsa_user_sgpr_queue_ptr 0
		.amdhsa_user_sgpr_kernarg_segment_ptr 1
		.amdhsa_user_sgpr_dispatch_id 0
		.amdhsa_user_sgpr_kernarg_preload_length 0
		.amdhsa_user_sgpr_kernarg_preload_offset 0
		.amdhsa_user_sgpr_private_segment_size 0
		.amdhsa_wavefront_size32 1
		.amdhsa_uses_dynamic_stack 0
		.amdhsa_enable_private_segment 0
		.amdhsa_system_sgpr_workgroup_id_x 1
		.amdhsa_system_sgpr_workgroup_id_y 0
		.amdhsa_system_sgpr_workgroup_id_z 0
		.amdhsa_system_sgpr_workgroup_info 0
		.amdhsa_system_vgpr_workitem_id 0
		.amdhsa_next_free_vgpr 1
		.amdhsa_next_free_sgpr 1
		.amdhsa_named_barrier_count 0
		.amdhsa_reserve_vcc 0
		.amdhsa_float_round_mode_32 0
		.amdhsa_float_round_mode_16_64 0
		.amdhsa_float_denorm_mode_32 3
		.amdhsa_float_denorm_mode_16_64 3
		.amdhsa_fp16_overflow 0
		.amdhsa_memory_ordered 1
		.amdhsa_forward_progress 1
		.amdhsa_inst_pref_size 0
		.amdhsa_round_robin_scheduling 0
		.amdhsa_exception_fp_ieee_invalid_op 0
		.amdhsa_exception_fp_denorm_src 0
		.amdhsa_exception_fp_ieee_div_zero 0
		.amdhsa_exception_fp_ieee_overflow 0
		.amdhsa_exception_fp_ieee_underflow 0
		.amdhsa_exception_fp_ieee_inexact 0
		.amdhsa_exception_int_div_zero 0
	.end_amdhsa_kernel
	.section	.text._ZN7rocprim17ROCPRIM_400000_NS6detail17trampoline_kernelINS0_14default_configENS1_21merge_config_selectorINS0_5tupleIJxxEEENS0_10empty_typeEEEZNS1_10merge_implIS3_NS0_12zip_iteratorINS5_IJN6thrust23THRUST_200600_302600_NS6detail15normal_iteratorINSC_10device_ptrIKxEEEESI_EEEEESK_NSA_INS5_IJNSC_16discard_iteratorINSC_11use_defaultEEESN_EEEEEPS7_SQ_SQ_NSC_11hip_rocprim7__merge17predicate_wrapperIxxNSC_4lessIxEEEEEE10hipError_tPvRmT0_T1_T2_T3_T4_T5_mmT6_P12ihipStream_tbEUlT_E_NS1_11comp_targetILNS1_3genE8ELNS1_11target_archE1030ELNS1_3gpuE2ELNS1_3repE0EEENS1_30default_config_static_selectorELNS0_4arch9wavefront6targetE0EEEvS11_,"axG",@progbits,_ZN7rocprim17ROCPRIM_400000_NS6detail17trampoline_kernelINS0_14default_configENS1_21merge_config_selectorINS0_5tupleIJxxEEENS0_10empty_typeEEEZNS1_10merge_implIS3_NS0_12zip_iteratorINS5_IJN6thrust23THRUST_200600_302600_NS6detail15normal_iteratorINSC_10device_ptrIKxEEEESI_EEEEESK_NSA_INS5_IJNSC_16discard_iteratorINSC_11use_defaultEEESN_EEEEEPS7_SQ_SQ_NSC_11hip_rocprim7__merge17predicate_wrapperIxxNSC_4lessIxEEEEEE10hipError_tPvRmT0_T1_T2_T3_T4_T5_mmT6_P12ihipStream_tbEUlT_E_NS1_11comp_targetILNS1_3genE8ELNS1_11target_archE1030ELNS1_3gpuE2ELNS1_3repE0EEENS1_30default_config_static_selectorELNS0_4arch9wavefront6targetE0EEEvS11_,comdat
.Lfunc_end577:
	.size	_ZN7rocprim17ROCPRIM_400000_NS6detail17trampoline_kernelINS0_14default_configENS1_21merge_config_selectorINS0_5tupleIJxxEEENS0_10empty_typeEEEZNS1_10merge_implIS3_NS0_12zip_iteratorINS5_IJN6thrust23THRUST_200600_302600_NS6detail15normal_iteratorINSC_10device_ptrIKxEEEESI_EEEEESK_NSA_INS5_IJNSC_16discard_iteratorINSC_11use_defaultEEESN_EEEEEPS7_SQ_SQ_NSC_11hip_rocprim7__merge17predicate_wrapperIxxNSC_4lessIxEEEEEE10hipError_tPvRmT0_T1_T2_T3_T4_T5_mmT6_P12ihipStream_tbEUlT_E_NS1_11comp_targetILNS1_3genE8ELNS1_11target_archE1030ELNS1_3gpuE2ELNS1_3repE0EEENS1_30default_config_static_selectorELNS0_4arch9wavefront6targetE0EEEvS11_, .Lfunc_end577-_ZN7rocprim17ROCPRIM_400000_NS6detail17trampoline_kernelINS0_14default_configENS1_21merge_config_selectorINS0_5tupleIJxxEEENS0_10empty_typeEEEZNS1_10merge_implIS3_NS0_12zip_iteratorINS5_IJN6thrust23THRUST_200600_302600_NS6detail15normal_iteratorINSC_10device_ptrIKxEEEESI_EEEEESK_NSA_INS5_IJNSC_16discard_iteratorINSC_11use_defaultEEESN_EEEEEPS7_SQ_SQ_NSC_11hip_rocprim7__merge17predicate_wrapperIxxNSC_4lessIxEEEEEE10hipError_tPvRmT0_T1_T2_T3_T4_T5_mmT6_P12ihipStream_tbEUlT_E_NS1_11comp_targetILNS1_3genE8ELNS1_11target_archE1030ELNS1_3gpuE2ELNS1_3repE0EEENS1_30default_config_static_selectorELNS0_4arch9wavefront6targetE0EEEvS11_
                                        ; -- End function
	.set _ZN7rocprim17ROCPRIM_400000_NS6detail17trampoline_kernelINS0_14default_configENS1_21merge_config_selectorINS0_5tupleIJxxEEENS0_10empty_typeEEEZNS1_10merge_implIS3_NS0_12zip_iteratorINS5_IJN6thrust23THRUST_200600_302600_NS6detail15normal_iteratorINSC_10device_ptrIKxEEEESI_EEEEESK_NSA_INS5_IJNSC_16discard_iteratorINSC_11use_defaultEEESN_EEEEEPS7_SQ_SQ_NSC_11hip_rocprim7__merge17predicate_wrapperIxxNSC_4lessIxEEEEEE10hipError_tPvRmT0_T1_T2_T3_T4_T5_mmT6_P12ihipStream_tbEUlT_E_NS1_11comp_targetILNS1_3genE8ELNS1_11target_archE1030ELNS1_3gpuE2ELNS1_3repE0EEENS1_30default_config_static_selectorELNS0_4arch9wavefront6targetE0EEEvS11_.num_vgpr, 0
	.set _ZN7rocprim17ROCPRIM_400000_NS6detail17trampoline_kernelINS0_14default_configENS1_21merge_config_selectorINS0_5tupleIJxxEEENS0_10empty_typeEEEZNS1_10merge_implIS3_NS0_12zip_iteratorINS5_IJN6thrust23THRUST_200600_302600_NS6detail15normal_iteratorINSC_10device_ptrIKxEEEESI_EEEEESK_NSA_INS5_IJNSC_16discard_iteratorINSC_11use_defaultEEESN_EEEEEPS7_SQ_SQ_NSC_11hip_rocprim7__merge17predicate_wrapperIxxNSC_4lessIxEEEEEE10hipError_tPvRmT0_T1_T2_T3_T4_T5_mmT6_P12ihipStream_tbEUlT_E_NS1_11comp_targetILNS1_3genE8ELNS1_11target_archE1030ELNS1_3gpuE2ELNS1_3repE0EEENS1_30default_config_static_selectorELNS0_4arch9wavefront6targetE0EEEvS11_.num_agpr, 0
	.set _ZN7rocprim17ROCPRIM_400000_NS6detail17trampoline_kernelINS0_14default_configENS1_21merge_config_selectorINS0_5tupleIJxxEEENS0_10empty_typeEEEZNS1_10merge_implIS3_NS0_12zip_iteratorINS5_IJN6thrust23THRUST_200600_302600_NS6detail15normal_iteratorINSC_10device_ptrIKxEEEESI_EEEEESK_NSA_INS5_IJNSC_16discard_iteratorINSC_11use_defaultEEESN_EEEEEPS7_SQ_SQ_NSC_11hip_rocprim7__merge17predicate_wrapperIxxNSC_4lessIxEEEEEE10hipError_tPvRmT0_T1_T2_T3_T4_T5_mmT6_P12ihipStream_tbEUlT_E_NS1_11comp_targetILNS1_3genE8ELNS1_11target_archE1030ELNS1_3gpuE2ELNS1_3repE0EEENS1_30default_config_static_selectorELNS0_4arch9wavefront6targetE0EEEvS11_.numbered_sgpr, 0
	.set _ZN7rocprim17ROCPRIM_400000_NS6detail17trampoline_kernelINS0_14default_configENS1_21merge_config_selectorINS0_5tupleIJxxEEENS0_10empty_typeEEEZNS1_10merge_implIS3_NS0_12zip_iteratorINS5_IJN6thrust23THRUST_200600_302600_NS6detail15normal_iteratorINSC_10device_ptrIKxEEEESI_EEEEESK_NSA_INS5_IJNSC_16discard_iteratorINSC_11use_defaultEEESN_EEEEEPS7_SQ_SQ_NSC_11hip_rocprim7__merge17predicate_wrapperIxxNSC_4lessIxEEEEEE10hipError_tPvRmT0_T1_T2_T3_T4_T5_mmT6_P12ihipStream_tbEUlT_E_NS1_11comp_targetILNS1_3genE8ELNS1_11target_archE1030ELNS1_3gpuE2ELNS1_3repE0EEENS1_30default_config_static_selectorELNS0_4arch9wavefront6targetE0EEEvS11_.num_named_barrier, 0
	.set _ZN7rocprim17ROCPRIM_400000_NS6detail17trampoline_kernelINS0_14default_configENS1_21merge_config_selectorINS0_5tupleIJxxEEENS0_10empty_typeEEEZNS1_10merge_implIS3_NS0_12zip_iteratorINS5_IJN6thrust23THRUST_200600_302600_NS6detail15normal_iteratorINSC_10device_ptrIKxEEEESI_EEEEESK_NSA_INS5_IJNSC_16discard_iteratorINSC_11use_defaultEEESN_EEEEEPS7_SQ_SQ_NSC_11hip_rocprim7__merge17predicate_wrapperIxxNSC_4lessIxEEEEEE10hipError_tPvRmT0_T1_T2_T3_T4_T5_mmT6_P12ihipStream_tbEUlT_E_NS1_11comp_targetILNS1_3genE8ELNS1_11target_archE1030ELNS1_3gpuE2ELNS1_3repE0EEENS1_30default_config_static_selectorELNS0_4arch9wavefront6targetE0EEEvS11_.private_seg_size, 0
	.set _ZN7rocprim17ROCPRIM_400000_NS6detail17trampoline_kernelINS0_14default_configENS1_21merge_config_selectorINS0_5tupleIJxxEEENS0_10empty_typeEEEZNS1_10merge_implIS3_NS0_12zip_iteratorINS5_IJN6thrust23THRUST_200600_302600_NS6detail15normal_iteratorINSC_10device_ptrIKxEEEESI_EEEEESK_NSA_INS5_IJNSC_16discard_iteratorINSC_11use_defaultEEESN_EEEEEPS7_SQ_SQ_NSC_11hip_rocprim7__merge17predicate_wrapperIxxNSC_4lessIxEEEEEE10hipError_tPvRmT0_T1_T2_T3_T4_T5_mmT6_P12ihipStream_tbEUlT_E_NS1_11comp_targetILNS1_3genE8ELNS1_11target_archE1030ELNS1_3gpuE2ELNS1_3repE0EEENS1_30default_config_static_selectorELNS0_4arch9wavefront6targetE0EEEvS11_.uses_vcc, 0
	.set _ZN7rocprim17ROCPRIM_400000_NS6detail17trampoline_kernelINS0_14default_configENS1_21merge_config_selectorINS0_5tupleIJxxEEENS0_10empty_typeEEEZNS1_10merge_implIS3_NS0_12zip_iteratorINS5_IJN6thrust23THRUST_200600_302600_NS6detail15normal_iteratorINSC_10device_ptrIKxEEEESI_EEEEESK_NSA_INS5_IJNSC_16discard_iteratorINSC_11use_defaultEEESN_EEEEEPS7_SQ_SQ_NSC_11hip_rocprim7__merge17predicate_wrapperIxxNSC_4lessIxEEEEEE10hipError_tPvRmT0_T1_T2_T3_T4_T5_mmT6_P12ihipStream_tbEUlT_E_NS1_11comp_targetILNS1_3genE8ELNS1_11target_archE1030ELNS1_3gpuE2ELNS1_3repE0EEENS1_30default_config_static_selectorELNS0_4arch9wavefront6targetE0EEEvS11_.uses_flat_scratch, 0
	.set _ZN7rocprim17ROCPRIM_400000_NS6detail17trampoline_kernelINS0_14default_configENS1_21merge_config_selectorINS0_5tupleIJxxEEENS0_10empty_typeEEEZNS1_10merge_implIS3_NS0_12zip_iteratorINS5_IJN6thrust23THRUST_200600_302600_NS6detail15normal_iteratorINSC_10device_ptrIKxEEEESI_EEEEESK_NSA_INS5_IJNSC_16discard_iteratorINSC_11use_defaultEEESN_EEEEEPS7_SQ_SQ_NSC_11hip_rocprim7__merge17predicate_wrapperIxxNSC_4lessIxEEEEEE10hipError_tPvRmT0_T1_T2_T3_T4_T5_mmT6_P12ihipStream_tbEUlT_E_NS1_11comp_targetILNS1_3genE8ELNS1_11target_archE1030ELNS1_3gpuE2ELNS1_3repE0EEENS1_30default_config_static_selectorELNS0_4arch9wavefront6targetE0EEEvS11_.has_dyn_sized_stack, 0
	.set _ZN7rocprim17ROCPRIM_400000_NS6detail17trampoline_kernelINS0_14default_configENS1_21merge_config_selectorINS0_5tupleIJxxEEENS0_10empty_typeEEEZNS1_10merge_implIS3_NS0_12zip_iteratorINS5_IJN6thrust23THRUST_200600_302600_NS6detail15normal_iteratorINSC_10device_ptrIKxEEEESI_EEEEESK_NSA_INS5_IJNSC_16discard_iteratorINSC_11use_defaultEEESN_EEEEEPS7_SQ_SQ_NSC_11hip_rocprim7__merge17predicate_wrapperIxxNSC_4lessIxEEEEEE10hipError_tPvRmT0_T1_T2_T3_T4_T5_mmT6_P12ihipStream_tbEUlT_E_NS1_11comp_targetILNS1_3genE8ELNS1_11target_archE1030ELNS1_3gpuE2ELNS1_3repE0EEENS1_30default_config_static_selectorELNS0_4arch9wavefront6targetE0EEEvS11_.has_recursion, 0
	.set _ZN7rocprim17ROCPRIM_400000_NS6detail17trampoline_kernelINS0_14default_configENS1_21merge_config_selectorINS0_5tupleIJxxEEENS0_10empty_typeEEEZNS1_10merge_implIS3_NS0_12zip_iteratorINS5_IJN6thrust23THRUST_200600_302600_NS6detail15normal_iteratorINSC_10device_ptrIKxEEEESI_EEEEESK_NSA_INS5_IJNSC_16discard_iteratorINSC_11use_defaultEEESN_EEEEEPS7_SQ_SQ_NSC_11hip_rocprim7__merge17predicate_wrapperIxxNSC_4lessIxEEEEEE10hipError_tPvRmT0_T1_T2_T3_T4_T5_mmT6_P12ihipStream_tbEUlT_E_NS1_11comp_targetILNS1_3genE8ELNS1_11target_archE1030ELNS1_3gpuE2ELNS1_3repE0EEENS1_30default_config_static_selectorELNS0_4arch9wavefront6targetE0EEEvS11_.has_indirect_call, 0
	.section	.AMDGPU.csdata,"",@progbits
; Kernel info:
; codeLenInByte = 0
; TotalNumSgprs: 0
; NumVgprs: 0
; ScratchSize: 0
; MemoryBound: 0
; FloatMode: 240
; IeeeMode: 1
; LDSByteSize: 0 bytes/workgroup (compile time only)
; SGPRBlocks: 0
; VGPRBlocks: 0
; NumSGPRsForWavesPerEU: 1
; NumVGPRsForWavesPerEU: 1
; NamedBarCnt: 0
; Occupancy: 16
; WaveLimiterHint : 0
; COMPUTE_PGM_RSRC2:SCRATCH_EN: 0
; COMPUTE_PGM_RSRC2:USER_SGPR: 2
; COMPUTE_PGM_RSRC2:TRAP_HANDLER: 0
; COMPUTE_PGM_RSRC2:TGID_X_EN: 1
; COMPUTE_PGM_RSRC2:TGID_Y_EN: 0
; COMPUTE_PGM_RSRC2:TGID_Z_EN: 0
; COMPUTE_PGM_RSRC2:TIDIG_COMP_CNT: 0
	.section	.text._ZN7rocprim17ROCPRIM_400000_NS6detail17trampoline_kernelINS0_14default_configENS1_21merge_config_selectorINS0_5tupleIJxxEEENS0_10empty_typeEEEZNS1_10merge_implIS3_NS0_12zip_iteratorINS5_IJN6thrust23THRUST_200600_302600_NS6detail15normal_iteratorINSC_10device_ptrIKxEEEESI_EEEEESK_NSA_INS5_IJNSC_16discard_iteratorINSC_11use_defaultEEESN_EEEEEPS7_SQ_SQ_NSC_11hip_rocprim7__merge17predicate_wrapperIxxNSC_4lessIxEEEEEE10hipError_tPvRmT0_T1_T2_T3_T4_T5_mmT6_P12ihipStream_tbEUlT_E0_NS1_11comp_targetILNS1_3genE0ELNS1_11target_archE4294967295ELNS1_3gpuE0ELNS1_3repE0EEENS1_30default_config_static_selectorELNS0_4arch9wavefront6targetE0EEEvS11_,"axG",@progbits,_ZN7rocprim17ROCPRIM_400000_NS6detail17trampoline_kernelINS0_14default_configENS1_21merge_config_selectorINS0_5tupleIJxxEEENS0_10empty_typeEEEZNS1_10merge_implIS3_NS0_12zip_iteratorINS5_IJN6thrust23THRUST_200600_302600_NS6detail15normal_iteratorINSC_10device_ptrIKxEEEESI_EEEEESK_NSA_INS5_IJNSC_16discard_iteratorINSC_11use_defaultEEESN_EEEEEPS7_SQ_SQ_NSC_11hip_rocprim7__merge17predicate_wrapperIxxNSC_4lessIxEEEEEE10hipError_tPvRmT0_T1_T2_T3_T4_T5_mmT6_P12ihipStream_tbEUlT_E0_NS1_11comp_targetILNS1_3genE0ELNS1_11target_archE4294967295ELNS1_3gpuE0ELNS1_3repE0EEENS1_30default_config_static_selectorELNS0_4arch9wavefront6targetE0EEEvS11_,comdat
	.protected	_ZN7rocprim17ROCPRIM_400000_NS6detail17trampoline_kernelINS0_14default_configENS1_21merge_config_selectorINS0_5tupleIJxxEEENS0_10empty_typeEEEZNS1_10merge_implIS3_NS0_12zip_iteratorINS5_IJN6thrust23THRUST_200600_302600_NS6detail15normal_iteratorINSC_10device_ptrIKxEEEESI_EEEEESK_NSA_INS5_IJNSC_16discard_iteratorINSC_11use_defaultEEESN_EEEEEPS7_SQ_SQ_NSC_11hip_rocprim7__merge17predicate_wrapperIxxNSC_4lessIxEEEEEE10hipError_tPvRmT0_T1_T2_T3_T4_T5_mmT6_P12ihipStream_tbEUlT_E0_NS1_11comp_targetILNS1_3genE0ELNS1_11target_archE4294967295ELNS1_3gpuE0ELNS1_3repE0EEENS1_30default_config_static_selectorELNS0_4arch9wavefront6targetE0EEEvS11_ ; -- Begin function _ZN7rocprim17ROCPRIM_400000_NS6detail17trampoline_kernelINS0_14default_configENS1_21merge_config_selectorINS0_5tupleIJxxEEENS0_10empty_typeEEEZNS1_10merge_implIS3_NS0_12zip_iteratorINS5_IJN6thrust23THRUST_200600_302600_NS6detail15normal_iteratorINSC_10device_ptrIKxEEEESI_EEEEESK_NSA_INS5_IJNSC_16discard_iteratorINSC_11use_defaultEEESN_EEEEEPS7_SQ_SQ_NSC_11hip_rocprim7__merge17predicate_wrapperIxxNSC_4lessIxEEEEEE10hipError_tPvRmT0_T1_T2_T3_T4_T5_mmT6_P12ihipStream_tbEUlT_E0_NS1_11comp_targetILNS1_3genE0ELNS1_11target_archE4294967295ELNS1_3gpuE0ELNS1_3repE0EEENS1_30default_config_static_selectorELNS0_4arch9wavefront6targetE0EEEvS11_
	.globl	_ZN7rocprim17ROCPRIM_400000_NS6detail17trampoline_kernelINS0_14default_configENS1_21merge_config_selectorINS0_5tupleIJxxEEENS0_10empty_typeEEEZNS1_10merge_implIS3_NS0_12zip_iteratorINS5_IJN6thrust23THRUST_200600_302600_NS6detail15normal_iteratorINSC_10device_ptrIKxEEEESI_EEEEESK_NSA_INS5_IJNSC_16discard_iteratorINSC_11use_defaultEEESN_EEEEEPS7_SQ_SQ_NSC_11hip_rocprim7__merge17predicate_wrapperIxxNSC_4lessIxEEEEEE10hipError_tPvRmT0_T1_T2_T3_T4_T5_mmT6_P12ihipStream_tbEUlT_E0_NS1_11comp_targetILNS1_3genE0ELNS1_11target_archE4294967295ELNS1_3gpuE0ELNS1_3repE0EEENS1_30default_config_static_selectorELNS0_4arch9wavefront6targetE0EEEvS11_
	.p2align	8
	.type	_ZN7rocprim17ROCPRIM_400000_NS6detail17trampoline_kernelINS0_14default_configENS1_21merge_config_selectorINS0_5tupleIJxxEEENS0_10empty_typeEEEZNS1_10merge_implIS3_NS0_12zip_iteratorINS5_IJN6thrust23THRUST_200600_302600_NS6detail15normal_iteratorINSC_10device_ptrIKxEEEESI_EEEEESK_NSA_INS5_IJNSC_16discard_iteratorINSC_11use_defaultEEESN_EEEEEPS7_SQ_SQ_NSC_11hip_rocprim7__merge17predicate_wrapperIxxNSC_4lessIxEEEEEE10hipError_tPvRmT0_T1_T2_T3_T4_T5_mmT6_P12ihipStream_tbEUlT_E0_NS1_11comp_targetILNS1_3genE0ELNS1_11target_archE4294967295ELNS1_3gpuE0ELNS1_3repE0EEENS1_30default_config_static_selectorELNS0_4arch9wavefront6targetE0EEEvS11_,@function
_ZN7rocprim17ROCPRIM_400000_NS6detail17trampoline_kernelINS0_14default_configENS1_21merge_config_selectorINS0_5tupleIJxxEEENS0_10empty_typeEEEZNS1_10merge_implIS3_NS0_12zip_iteratorINS5_IJN6thrust23THRUST_200600_302600_NS6detail15normal_iteratorINSC_10device_ptrIKxEEEESI_EEEEESK_NSA_INS5_IJNSC_16discard_iteratorINSC_11use_defaultEEESN_EEEEEPS7_SQ_SQ_NSC_11hip_rocprim7__merge17predicate_wrapperIxxNSC_4lessIxEEEEEE10hipError_tPvRmT0_T1_T2_T3_T4_T5_mmT6_P12ihipStream_tbEUlT_E0_NS1_11comp_targetILNS1_3genE0ELNS1_11target_archE4294967295ELNS1_3gpuE0ELNS1_3repE0EEENS1_30default_config_static_selectorELNS0_4arch9wavefront6targetE0EEEvS11_: ; @_ZN7rocprim17ROCPRIM_400000_NS6detail17trampoline_kernelINS0_14default_configENS1_21merge_config_selectorINS0_5tupleIJxxEEENS0_10empty_typeEEEZNS1_10merge_implIS3_NS0_12zip_iteratorINS5_IJN6thrust23THRUST_200600_302600_NS6detail15normal_iteratorINSC_10device_ptrIKxEEEESI_EEEEESK_NSA_INS5_IJNSC_16discard_iteratorINSC_11use_defaultEEESN_EEEEEPS7_SQ_SQ_NSC_11hip_rocprim7__merge17predicate_wrapperIxxNSC_4lessIxEEEEEE10hipError_tPvRmT0_T1_T2_T3_T4_T5_mmT6_P12ihipStream_tbEUlT_E0_NS1_11comp_targetILNS1_3genE0ELNS1_11target_archE4294967295ELNS1_3gpuE0ELNS1_3repE0EEENS1_30default_config_static_selectorELNS0_4arch9wavefront6targetE0EEEvS11_
; %bb.0:
	s_clause 0x1
	s_load_b128 s[12:15], s[0:1], 0x68
	s_load_b256 s[4:11], s[0:1], 0x8
	s_bfe_u32 s2, ttmp6, 0x4000c
	s_and_b32 s3, ttmp6, 15
	s_add_co_i32 s2, s2, 1
	s_wait_kmcnt 0x0
	s_getreg_b32 s13, hwreg(HW_REG_IB_STS2, 6, 4)
	s_mul_i32 s2, ttmp9, s2
	v_mov_b32_e32 v1, 0
	s_add_co_i32 s3, s3, s2
	s_cmp_eq_u32 s13, 0
	s_cselect_b32 s15, ttmp9, s3
	s_delay_alu instid0(SALU_CYCLE_1) | instskip(SKIP_2) | instid1(SALU_CYCLE_1)
	s_add_co_i32 s3, s15, 1
	s_lshl_b32 s17, s15, 10
	s_add_co_i32 s16, s14, s12
	s_add_co_i32 s2, s16, 0x3ff
	s_delay_alu instid0(SALU_CYCLE_1) | instskip(NEXT) | instid1(SALU_CYCLE_1)
	s_lshr_b32 s2, s2, 10
	s_min_u32 s14, s15, s2
	s_min_u32 s3, s3, s2
	s_clause 0x1
	s_load_b32 s2, s[4:5], s14 offset:0x0 scale_offset
	s_load_b32 s20, s[4:5], s3 offset:0x0 scale_offset
	s_load_b64 s[12:13], s[0:1], 0x28
	s_wait_xcnt 0x0
	s_mov_b32 s3, 0
	s_add_co_i32 s0, s17, 0x400
	s_mov_b32 s1, s3
	s_min_u32 s21, s16, s0
	s_wait_kmcnt 0x0
	s_sub_co_i32 s0, s17, s2
	s_lshl_b64 s[14:15], s[2:3], 3
	s_lshl_b64 s[18:19], s[0:1], 3
	s_add_co_i32 s0, s0, s20
	s_sub_co_i32 s2, s20, s2
	s_sub_co_i32 s0, s21, s0
	s_add_nc_u64 s[4:5], s[10:11], s[18:19]
	s_add_nc_u64 s[10:11], s[12:13], s[18:19]
	;; [unrolled: 1-line block ×3, first 2 shown]
	s_mov_b32 s1, exec_lo
	v_cmpx_le_u32_e64 s2, v0
	s_xor_b32 s1, exec_lo, s1
	s_cbranch_execz .LBB578_4
; %bb.1:
	s_mov_b32 s18, exec_lo
	v_cmpx_gt_u64_e64 s[12:13], v[0:1]
	s_cbranch_execz .LBB578_3
; %bb.2:
	v_subrev_nc_u32_e32 v6, s2, v0
	s_clause 0x1
	global_load_b64 v[2:3], v6, s[4:5] scale_offset
	global_load_b64 v[4:5], v6, s[10:11] scale_offset
	s_wait_xcnt 0x0
	v_lshlrev_b32_e32 v6, 4, v0
	s_wait_loadcnt 0x0
	ds_store_b128 v6, v[2:5]
.LBB578_3:
	s_or_b32 exec_lo, exec_lo, s18
.LBB578_4:
	s_or_saveexec_b32 s1, s1
	v_lshlrev_b32_e32 v4, 4, v0
	s_add_nc_u64 s[6:7], s[6:7], s[14:15]
	s_add_nc_u64 s[8:9], s[8:9], s[14:15]
	s_xor_b32 exec_lo, exec_lo, s1
	s_cbranch_execz .LBB578_6
; %bb.5:
	s_clause 0x1
	global_load_b64 v[6:7], v0, s[6:7] scale_offset
	global_load_b64 v[8:9], v0, s[8:9] scale_offset
	s_wait_loadcnt 0x0
	ds_store_b128 v4, v[6:9]
.LBB578_6:
	s_or_b32 exec_lo, exec_lo, s1
	v_or_b32_e32 v2, 0x200, v0
	s_mov_b32 s1, exec_lo
	s_delay_alu instid0(VALU_DEP_1)
	v_cmpx_le_u32_e64 s2, v2
	s_xor_b32 s1, exec_lo, s1
	s_cbranch_execz .LBB578_10
; %bb.7:
	v_mov_b32_e32 v3, 0
	s_delay_alu instid0(VALU_DEP_1)
	v_cmp_gt_u64_e32 vcc_lo, s[12:13], v[2:3]
	s_and_saveexec_b32 s12, vcc_lo
	s_cbranch_execz .LBB578_9
; %bb.8:
	v_sub_nc_u64_e64 v[2:3], v[0:1], s[2:3]
	s_delay_alu instid0(VALU_DEP_1) | instskip(NEXT) | instid1(VALU_DEP_1)
	v_lshlrev_b64_e32 v[2:3], 3, v[2:3]
	v_add_nc_u64_e32 v[10:11], s[4:5], v[2:3]
	v_add_nc_u64_e32 v[2:3], s[10:11], v[2:3]
	global_load_b64 v[6:7], v[10:11], off offset:4096
	global_load_b64 v[8:9], v[2:3], off offset:4096
	s_wait_loadcnt 0x0
	ds_store_b128 v4, v[6:9] offset:8192
.LBB578_9:
	s_or_b32 exec_lo, exec_lo, s12
                                        ; implicit-def: $vgpr4
.LBB578_10:
	s_and_not1_saveexec_b32 s1, s1
	s_cbranch_execz .LBB578_12
; %bb.11:
	s_clause 0x1
	global_load_b64 v[6:7], v0, s[6:7] offset:4096 scale_offset
	global_load_b64 v[8:9], v0, s[8:9] offset:4096 scale_offset
	s_wait_loadcnt 0x0
	ds_store_b128 v4, v[6:9] offset:8192
.LBB578_12:
	s_or_b32 exec_lo, exec_lo, s1
	v_lshlrev_b32_e32 v1, 1, v0
	s_mov_b32 s1, exec_lo
	s_wait_dscnt 0x0
	s_barrier_signal -1
	s_barrier_wait -1
	v_sub_nc_u32_e64 v14, v1, s0 clamp
	v_min_u32_e32 v2, s2, v1
	s_delay_alu instid0(VALU_DEP_1)
	v_cmpx_lt_u32_e64 v14, v2
	s_cbranch_execz .LBB578_16
; %bb.13:
	v_lshlrev_b32_e32 v3, 4, v1
	s_delay_alu instid0(VALU_DEP_1)
	v_lshl_add_u32 v3, s2, 4, v3
.LBB578_14:                             ; =>This Inner Loop Header: Depth=1
	v_add_nc_u32_e32 v4, v2, v14
	s_delay_alu instid0(VALU_DEP_1) | instskip(NEXT) | instid1(VALU_DEP_1)
	v_lshrrev_b32_e32 v8, 1, v4
	v_not_b32_e32 v4, v8
	v_lshlrev_b32_e32 v5, 4, v8
	s_delay_alu instid0(VALU_DEP_2)
	v_lshl_add_u32 v6, v4, 4, v3
	ds_load_b64 v[4:5], v5
	ds_load_b64 v[6:7], v6
	s_wait_dscnt 0x0
	v_cmp_lt_i64_e32 vcc_lo, v[6:7], v[4:5]
	v_add_nc_u32_e32 v4, 1, v8
	s_delay_alu instid0(VALU_DEP_1) | instskip(NEXT) | instid1(VALU_DEP_1)
	v_dual_cndmask_b32 v14, v4, v14, vcc_lo :: v_dual_cndmask_b32 v2, v2, v8, vcc_lo
	v_cmp_ge_u32_e32 vcc_lo, v14, v2
	s_or_b32 s3, vcc_lo, s3
	s_delay_alu instid0(SALU_CYCLE_1)
	s_and_not1_b32 exec_lo, exec_lo, s3
	s_cbranch_execnz .LBB578_14
; %bb.15:
	s_or_b32 exec_lo, exec_lo, s3
.LBB578_16:
	s_delay_alu instid0(SALU_CYCLE_1)
	s_or_b32 exec_lo, exec_lo, s1
	v_add_nc_u32_e32 v2, s2, v1
	s_add_co_i32 s4, s0, s2
	v_cmp_ge_u32_e32 vcc_lo, s2, v14
	v_mov_b64_e32 v[12:13], 0
	v_mov_b64_e32 v[4:5], 0
	v_sub_nc_u32_e32 v15, v2, v14
	v_mov_b64_e32 v[2:3], 0
	v_mov_b64_e32 v[10:11], 0
	s_delay_alu instid0(VALU_DEP_3) | instskip(SKIP_1) | instid1(SALU_CYCLE_1)
	v_cmp_ge_u32_e64 s0, s4, v15
	s_or_b32 s0, vcc_lo, s0
	s_and_saveexec_b32 s3, s0
	s_cbranch_execz .LBB578_22
; %bb.17:
	v_mov_b64_e32 v[8:9], 0
	v_mov_b64_e32 v[4:5], 0
	;; [unrolled: 1-line block ×3, first 2 shown]
	v_cmp_gt_u32_e32 vcc_lo, s2, v14
	s_and_saveexec_b32 s0, vcc_lo
; %bb.18:
	v_lshlrev_b32_e32 v2, 4, v14
	ds_load_b128 v[2:5], v2
; %bb.19:
	s_or_b32 exec_lo, exec_lo, s0
	v_mov_b64_e32 v[6:7], 0
	v_cmp_le_u32_e64 s0, s4, v15
	s_mov_b32 s5, exec_lo
	v_cmpx_gt_u32_e64 s4, v15
; %bb.20:
	v_lshlrev_b32_e32 v6, 4, v15
	ds_load_b128 v[6:9], v6
; %bb.21:
	s_or_b32 exec_lo, exec_lo, s5
	s_wait_dscnt 0x0
	v_cmp_ge_i64_e64 s1, v[6:7], v[2:3]
	s_and_b32 s1, vcc_lo, s1
	s_delay_alu instid0(SALU_CYCLE_1) | instskip(SKIP_2) | instid1(VALU_DEP_2)
	s_or_b32 vcc_lo, s0, s1
	v_dual_mov_b32 v10, s2 :: v_dual_cndmask_b32 v11, v15, v14
	v_cndmask_b32_e32 v13, v9, v5, vcc_lo
	v_dual_cndmask_b32 v10, s4, v10, vcc_lo :: v_dual_add_nc_u32 v12, 1, v11
	v_cndmask_b32_e32 v11, v7, v3, vcc_lo
	s_delay_alu instid0(VALU_DEP_2) | instskip(NEXT) | instid1(VALU_DEP_1)
	v_add_min_u32_e64 v10, v10, -1, v12
	v_lshlrev_b32_e32 v10, 4, v10
	ds_load_b128 v[16:19], v10
	s_wait_dscnt 0x0
	v_dual_cndmask_b32 v10, v6, v2 :: v_dual_cndmask_b32 v21, v17, v7
	v_dual_cndmask_b32 v20, v16, v6 :: v_dual_cndmask_b32 v17, v3, v17
	v_cndmask_b32_e32 v16, v2, v16, vcc_lo
	v_dual_cndmask_b32 v2, v14, v12 :: v_dual_cndmask_b32 v3, v12, v15
	v_dual_cndmask_b32 v12, v8, v4 :: v_dual_cndmask_b32 v7, v19, v9
	s_delay_alu instid0(VALU_DEP_3) | instskip(NEXT) | instid1(VALU_DEP_3)
	v_cmp_ge_i64_e64 s0, v[20:21], v[16:17]
	v_cmp_gt_u32_e64 s1, s2, v2
	s_delay_alu instid0(VALU_DEP_4) | instskip(SKIP_3) | instid1(SALU_CYCLE_1)
	v_cmp_le_u32_e64 s2, s4, v3
	v_dual_cndmask_b32 v6, v18, v8 :: v_dual_cndmask_b32 v5, v5, v19
	v_cndmask_b32_e32 v4, v4, v18, vcc_lo
	s_and_b32 s0, s1, s0
	s_or_b32 vcc_lo, s2, s0
	v_dual_cndmask_b32 v3, v21, v17 :: v_dual_cndmask_b32 v2, v20, v16
	s_delay_alu instid0(VALU_DEP_2)
	v_dual_cndmask_b32 v5, v7, v5 :: v_dual_cndmask_b32 v4, v6, v4
.LBB578_22:
	s_or_b32 exec_lo, exec_lo, s3
	v_and_b32_e32 v0, 0x1f0, v0
	s_sub_co_i32 s1, s16, s17
	s_mov_b32 s0, -1
	s_cmp_gt_u32 s1, 0x3ff
	s_delay_alu instid0(VALU_DEP_1)
	v_lshl_add_u32 v0, v1, 4, v0
	s_barrier_signal -1
	s_barrier_wait -1
	ds_store_b128 v0, v[10:13]
	ds_store_b128 v0, v[2:5] offset:16
	s_wait_dscnt 0x0
	s_cbranch_scc1 .LBB578_25
; %bb.23:
	s_and_not1_b32 vcc_lo, exec_lo, s0
	s_cbranch_vccz .LBB578_26
.LBB578_24:
	s_endpgm
.LBB578_25:
	s_barrier_signal -1
	s_barrier_wait -1
	s_cbranch_execnz .LBB578_24
.LBB578_26:
	s_barrier_signal -1
	s_barrier_wait -1
	s_endpgm
	.section	.rodata,"a",@progbits
	.p2align	6, 0x0
	.amdhsa_kernel _ZN7rocprim17ROCPRIM_400000_NS6detail17trampoline_kernelINS0_14default_configENS1_21merge_config_selectorINS0_5tupleIJxxEEENS0_10empty_typeEEEZNS1_10merge_implIS3_NS0_12zip_iteratorINS5_IJN6thrust23THRUST_200600_302600_NS6detail15normal_iteratorINSC_10device_ptrIKxEEEESI_EEEEESK_NSA_INS5_IJNSC_16discard_iteratorINSC_11use_defaultEEESN_EEEEEPS7_SQ_SQ_NSC_11hip_rocprim7__merge17predicate_wrapperIxxNSC_4lessIxEEEEEE10hipError_tPvRmT0_T1_T2_T3_T4_T5_mmT6_P12ihipStream_tbEUlT_E0_NS1_11comp_targetILNS1_3genE0ELNS1_11target_archE4294967295ELNS1_3gpuE0ELNS1_3repE0EEENS1_30default_config_static_selectorELNS0_4arch9wavefront6targetE0EEEvS11_
		.amdhsa_group_segment_fixed_size 16896
		.amdhsa_private_segment_fixed_size 0
		.amdhsa_kernarg_size 128
		.amdhsa_user_sgpr_count 2
		.amdhsa_user_sgpr_dispatch_ptr 0
		.amdhsa_user_sgpr_queue_ptr 0
		.amdhsa_user_sgpr_kernarg_segment_ptr 1
		.amdhsa_user_sgpr_dispatch_id 0
		.amdhsa_user_sgpr_kernarg_preload_length 0
		.amdhsa_user_sgpr_kernarg_preload_offset 0
		.amdhsa_user_sgpr_private_segment_size 0
		.amdhsa_wavefront_size32 1
		.amdhsa_uses_dynamic_stack 0
		.amdhsa_enable_private_segment 0
		.amdhsa_system_sgpr_workgroup_id_x 1
		.amdhsa_system_sgpr_workgroup_id_y 0
		.amdhsa_system_sgpr_workgroup_id_z 0
		.amdhsa_system_sgpr_workgroup_info 0
		.amdhsa_system_vgpr_workitem_id 0
		.amdhsa_next_free_vgpr 22
		.amdhsa_next_free_sgpr 22
		.amdhsa_named_barrier_count 0
		.amdhsa_reserve_vcc 1
		.amdhsa_float_round_mode_32 0
		.amdhsa_float_round_mode_16_64 0
		.amdhsa_float_denorm_mode_32 3
		.amdhsa_float_denorm_mode_16_64 3
		.amdhsa_fp16_overflow 0
		.amdhsa_memory_ordered 1
		.amdhsa_forward_progress 1
		.amdhsa_inst_pref_size 9
		.amdhsa_round_robin_scheduling 0
		.amdhsa_exception_fp_ieee_invalid_op 0
		.amdhsa_exception_fp_denorm_src 0
		.amdhsa_exception_fp_ieee_div_zero 0
		.amdhsa_exception_fp_ieee_overflow 0
		.amdhsa_exception_fp_ieee_underflow 0
		.amdhsa_exception_fp_ieee_inexact 0
		.amdhsa_exception_int_div_zero 0
	.end_amdhsa_kernel
	.section	.text._ZN7rocprim17ROCPRIM_400000_NS6detail17trampoline_kernelINS0_14default_configENS1_21merge_config_selectorINS0_5tupleIJxxEEENS0_10empty_typeEEEZNS1_10merge_implIS3_NS0_12zip_iteratorINS5_IJN6thrust23THRUST_200600_302600_NS6detail15normal_iteratorINSC_10device_ptrIKxEEEESI_EEEEESK_NSA_INS5_IJNSC_16discard_iteratorINSC_11use_defaultEEESN_EEEEEPS7_SQ_SQ_NSC_11hip_rocprim7__merge17predicate_wrapperIxxNSC_4lessIxEEEEEE10hipError_tPvRmT0_T1_T2_T3_T4_T5_mmT6_P12ihipStream_tbEUlT_E0_NS1_11comp_targetILNS1_3genE0ELNS1_11target_archE4294967295ELNS1_3gpuE0ELNS1_3repE0EEENS1_30default_config_static_selectorELNS0_4arch9wavefront6targetE0EEEvS11_,"axG",@progbits,_ZN7rocprim17ROCPRIM_400000_NS6detail17trampoline_kernelINS0_14default_configENS1_21merge_config_selectorINS0_5tupleIJxxEEENS0_10empty_typeEEEZNS1_10merge_implIS3_NS0_12zip_iteratorINS5_IJN6thrust23THRUST_200600_302600_NS6detail15normal_iteratorINSC_10device_ptrIKxEEEESI_EEEEESK_NSA_INS5_IJNSC_16discard_iteratorINSC_11use_defaultEEESN_EEEEEPS7_SQ_SQ_NSC_11hip_rocprim7__merge17predicate_wrapperIxxNSC_4lessIxEEEEEE10hipError_tPvRmT0_T1_T2_T3_T4_T5_mmT6_P12ihipStream_tbEUlT_E0_NS1_11comp_targetILNS1_3genE0ELNS1_11target_archE4294967295ELNS1_3gpuE0ELNS1_3repE0EEENS1_30default_config_static_selectorELNS0_4arch9wavefront6targetE0EEEvS11_,comdat
.Lfunc_end578:
	.size	_ZN7rocprim17ROCPRIM_400000_NS6detail17trampoline_kernelINS0_14default_configENS1_21merge_config_selectorINS0_5tupleIJxxEEENS0_10empty_typeEEEZNS1_10merge_implIS3_NS0_12zip_iteratorINS5_IJN6thrust23THRUST_200600_302600_NS6detail15normal_iteratorINSC_10device_ptrIKxEEEESI_EEEEESK_NSA_INS5_IJNSC_16discard_iteratorINSC_11use_defaultEEESN_EEEEEPS7_SQ_SQ_NSC_11hip_rocprim7__merge17predicate_wrapperIxxNSC_4lessIxEEEEEE10hipError_tPvRmT0_T1_T2_T3_T4_T5_mmT6_P12ihipStream_tbEUlT_E0_NS1_11comp_targetILNS1_3genE0ELNS1_11target_archE4294967295ELNS1_3gpuE0ELNS1_3repE0EEENS1_30default_config_static_selectorELNS0_4arch9wavefront6targetE0EEEvS11_, .Lfunc_end578-_ZN7rocprim17ROCPRIM_400000_NS6detail17trampoline_kernelINS0_14default_configENS1_21merge_config_selectorINS0_5tupleIJxxEEENS0_10empty_typeEEEZNS1_10merge_implIS3_NS0_12zip_iteratorINS5_IJN6thrust23THRUST_200600_302600_NS6detail15normal_iteratorINSC_10device_ptrIKxEEEESI_EEEEESK_NSA_INS5_IJNSC_16discard_iteratorINSC_11use_defaultEEESN_EEEEEPS7_SQ_SQ_NSC_11hip_rocprim7__merge17predicate_wrapperIxxNSC_4lessIxEEEEEE10hipError_tPvRmT0_T1_T2_T3_T4_T5_mmT6_P12ihipStream_tbEUlT_E0_NS1_11comp_targetILNS1_3genE0ELNS1_11target_archE4294967295ELNS1_3gpuE0ELNS1_3repE0EEENS1_30default_config_static_selectorELNS0_4arch9wavefront6targetE0EEEvS11_
                                        ; -- End function
	.set _ZN7rocprim17ROCPRIM_400000_NS6detail17trampoline_kernelINS0_14default_configENS1_21merge_config_selectorINS0_5tupleIJxxEEENS0_10empty_typeEEEZNS1_10merge_implIS3_NS0_12zip_iteratorINS5_IJN6thrust23THRUST_200600_302600_NS6detail15normal_iteratorINSC_10device_ptrIKxEEEESI_EEEEESK_NSA_INS5_IJNSC_16discard_iteratorINSC_11use_defaultEEESN_EEEEEPS7_SQ_SQ_NSC_11hip_rocprim7__merge17predicate_wrapperIxxNSC_4lessIxEEEEEE10hipError_tPvRmT0_T1_T2_T3_T4_T5_mmT6_P12ihipStream_tbEUlT_E0_NS1_11comp_targetILNS1_3genE0ELNS1_11target_archE4294967295ELNS1_3gpuE0ELNS1_3repE0EEENS1_30default_config_static_selectorELNS0_4arch9wavefront6targetE0EEEvS11_.num_vgpr, 22
	.set _ZN7rocprim17ROCPRIM_400000_NS6detail17trampoline_kernelINS0_14default_configENS1_21merge_config_selectorINS0_5tupleIJxxEEENS0_10empty_typeEEEZNS1_10merge_implIS3_NS0_12zip_iteratorINS5_IJN6thrust23THRUST_200600_302600_NS6detail15normal_iteratorINSC_10device_ptrIKxEEEESI_EEEEESK_NSA_INS5_IJNSC_16discard_iteratorINSC_11use_defaultEEESN_EEEEEPS7_SQ_SQ_NSC_11hip_rocprim7__merge17predicate_wrapperIxxNSC_4lessIxEEEEEE10hipError_tPvRmT0_T1_T2_T3_T4_T5_mmT6_P12ihipStream_tbEUlT_E0_NS1_11comp_targetILNS1_3genE0ELNS1_11target_archE4294967295ELNS1_3gpuE0ELNS1_3repE0EEENS1_30default_config_static_selectorELNS0_4arch9wavefront6targetE0EEEvS11_.num_agpr, 0
	.set _ZN7rocprim17ROCPRIM_400000_NS6detail17trampoline_kernelINS0_14default_configENS1_21merge_config_selectorINS0_5tupleIJxxEEENS0_10empty_typeEEEZNS1_10merge_implIS3_NS0_12zip_iteratorINS5_IJN6thrust23THRUST_200600_302600_NS6detail15normal_iteratorINSC_10device_ptrIKxEEEESI_EEEEESK_NSA_INS5_IJNSC_16discard_iteratorINSC_11use_defaultEEESN_EEEEEPS7_SQ_SQ_NSC_11hip_rocprim7__merge17predicate_wrapperIxxNSC_4lessIxEEEEEE10hipError_tPvRmT0_T1_T2_T3_T4_T5_mmT6_P12ihipStream_tbEUlT_E0_NS1_11comp_targetILNS1_3genE0ELNS1_11target_archE4294967295ELNS1_3gpuE0ELNS1_3repE0EEENS1_30default_config_static_selectorELNS0_4arch9wavefront6targetE0EEEvS11_.numbered_sgpr, 22
	.set _ZN7rocprim17ROCPRIM_400000_NS6detail17trampoline_kernelINS0_14default_configENS1_21merge_config_selectorINS0_5tupleIJxxEEENS0_10empty_typeEEEZNS1_10merge_implIS3_NS0_12zip_iteratorINS5_IJN6thrust23THRUST_200600_302600_NS6detail15normal_iteratorINSC_10device_ptrIKxEEEESI_EEEEESK_NSA_INS5_IJNSC_16discard_iteratorINSC_11use_defaultEEESN_EEEEEPS7_SQ_SQ_NSC_11hip_rocprim7__merge17predicate_wrapperIxxNSC_4lessIxEEEEEE10hipError_tPvRmT0_T1_T2_T3_T4_T5_mmT6_P12ihipStream_tbEUlT_E0_NS1_11comp_targetILNS1_3genE0ELNS1_11target_archE4294967295ELNS1_3gpuE0ELNS1_3repE0EEENS1_30default_config_static_selectorELNS0_4arch9wavefront6targetE0EEEvS11_.num_named_barrier, 0
	.set _ZN7rocprim17ROCPRIM_400000_NS6detail17trampoline_kernelINS0_14default_configENS1_21merge_config_selectorINS0_5tupleIJxxEEENS0_10empty_typeEEEZNS1_10merge_implIS3_NS0_12zip_iteratorINS5_IJN6thrust23THRUST_200600_302600_NS6detail15normal_iteratorINSC_10device_ptrIKxEEEESI_EEEEESK_NSA_INS5_IJNSC_16discard_iteratorINSC_11use_defaultEEESN_EEEEEPS7_SQ_SQ_NSC_11hip_rocprim7__merge17predicate_wrapperIxxNSC_4lessIxEEEEEE10hipError_tPvRmT0_T1_T2_T3_T4_T5_mmT6_P12ihipStream_tbEUlT_E0_NS1_11comp_targetILNS1_3genE0ELNS1_11target_archE4294967295ELNS1_3gpuE0ELNS1_3repE0EEENS1_30default_config_static_selectorELNS0_4arch9wavefront6targetE0EEEvS11_.private_seg_size, 0
	.set _ZN7rocprim17ROCPRIM_400000_NS6detail17trampoline_kernelINS0_14default_configENS1_21merge_config_selectorINS0_5tupleIJxxEEENS0_10empty_typeEEEZNS1_10merge_implIS3_NS0_12zip_iteratorINS5_IJN6thrust23THRUST_200600_302600_NS6detail15normal_iteratorINSC_10device_ptrIKxEEEESI_EEEEESK_NSA_INS5_IJNSC_16discard_iteratorINSC_11use_defaultEEESN_EEEEEPS7_SQ_SQ_NSC_11hip_rocprim7__merge17predicate_wrapperIxxNSC_4lessIxEEEEEE10hipError_tPvRmT0_T1_T2_T3_T4_T5_mmT6_P12ihipStream_tbEUlT_E0_NS1_11comp_targetILNS1_3genE0ELNS1_11target_archE4294967295ELNS1_3gpuE0ELNS1_3repE0EEENS1_30default_config_static_selectorELNS0_4arch9wavefront6targetE0EEEvS11_.uses_vcc, 1
	.set _ZN7rocprim17ROCPRIM_400000_NS6detail17trampoline_kernelINS0_14default_configENS1_21merge_config_selectorINS0_5tupleIJxxEEENS0_10empty_typeEEEZNS1_10merge_implIS3_NS0_12zip_iteratorINS5_IJN6thrust23THRUST_200600_302600_NS6detail15normal_iteratorINSC_10device_ptrIKxEEEESI_EEEEESK_NSA_INS5_IJNSC_16discard_iteratorINSC_11use_defaultEEESN_EEEEEPS7_SQ_SQ_NSC_11hip_rocprim7__merge17predicate_wrapperIxxNSC_4lessIxEEEEEE10hipError_tPvRmT0_T1_T2_T3_T4_T5_mmT6_P12ihipStream_tbEUlT_E0_NS1_11comp_targetILNS1_3genE0ELNS1_11target_archE4294967295ELNS1_3gpuE0ELNS1_3repE0EEENS1_30default_config_static_selectorELNS0_4arch9wavefront6targetE0EEEvS11_.uses_flat_scratch, 0
	.set _ZN7rocprim17ROCPRIM_400000_NS6detail17trampoline_kernelINS0_14default_configENS1_21merge_config_selectorINS0_5tupleIJxxEEENS0_10empty_typeEEEZNS1_10merge_implIS3_NS0_12zip_iteratorINS5_IJN6thrust23THRUST_200600_302600_NS6detail15normal_iteratorINSC_10device_ptrIKxEEEESI_EEEEESK_NSA_INS5_IJNSC_16discard_iteratorINSC_11use_defaultEEESN_EEEEEPS7_SQ_SQ_NSC_11hip_rocprim7__merge17predicate_wrapperIxxNSC_4lessIxEEEEEE10hipError_tPvRmT0_T1_T2_T3_T4_T5_mmT6_P12ihipStream_tbEUlT_E0_NS1_11comp_targetILNS1_3genE0ELNS1_11target_archE4294967295ELNS1_3gpuE0ELNS1_3repE0EEENS1_30default_config_static_selectorELNS0_4arch9wavefront6targetE0EEEvS11_.has_dyn_sized_stack, 0
	.set _ZN7rocprim17ROCPRIM_400000_NS6detail17trampoline_kernelINS0_14default_configENS1_21merge_config_selectorINS0_5tupleIJxxEEENS0_10empty_typeEEEZNS1_10merge_implIS3_NS0_12zip_iteratorINS5_IJN6thrust23THRUST_200600_302600_NS6detail15normal_iteratorINSC_10device_ptrIKxEEEESI_EEEEESK_NSA_INS5_IJNSC_16discard_iteratorINSC_11use_defaultEEESN_EEEEEPS7_SQ_SQ_NSC_11hip_rocprim7__merge17predicate_wrapperIxxNSC_4lessIxEEEEEE10hipError_tPvRmT0_T1_T2_T3_T4_T5_mmT6_P12ihipStream_tbEUlT_E0_NS1_11comp_targetILNS1_3genE0ELNS1_11target_archE4294967295ELNS1_3gpuE0ELNS1_3repE0EEENS1_30default_config_static_selectorELNS0_4arch9wavefront6targetE0EEEvS11_.has_recursion, 0
	.set _ZN7rocprim17ROCPRIM_400000_NS6detail17trampoline_kernelINS0_14default_configENS1_21merge_config_selectorINS0_5tupleIJxxEEENS0_10empty_typeEEEZNS1_10merge_implIS3_NS0_12zip_iteratorINS5_IJN6thrust23THRUST_200600_302600_NS6detail15normal_iteratorINSC_10device_ptrIKxEEEESI_EEEEESK_NSA_INS5_IJNSC_16discard_iteratorINSC_11use_defaultEEESN_EEEEEPS7_SQ_SQ_NSC_11hip_rocprim7__merge17predicate_wrapperIxxNSC_4lessIxEEEEEE10hipError_tPvRmT0_T1_T2_T3_T4_T5_mmT6_P12ihipStream_tbEUlT_E0_NS1_11comp_targetILNS1_3genE0ELNS1_11target_archE4294967295ELNS1_3gpuE0ELNS1_3repE0EEENS1_30default_config_static_selectorELNS0_4arch9wavefront6targetE0EEEvS11_.has_indirect_call, 0
	.section	.AMDGPU.csdata,"",@progbits
; Kernel info:
; codeLenInByte = 1124
; TotalNumSgprs: 24
; NumVgprs: 22
; ScratchSize: 0
; MemoryBound: 0
; FloatMode: 240
; IeeeMode: 1
; LDSByteSize: 16896 bytes/workgroup (compile time only)
; SGPRBlocks: 0
; VGPRBlocks: 1
; NumSGPRsForWavesPerEU: 24
; NumVGPRsForWavesPerEU: 22
; NamedBarCnt: 0
; Occupancy: 16
; WaveLimiterHint : 1
; COMPUTE_PGM_RSRC2:SCRATCH_EN: 0
; COMPUTE_PGM_RSRC2:USER_SGPR: 2
; COMPUTE_PGM_RSRC2:TRAP_HANDLER: 0
; COMPUTE_PGM_RSRC2:TGID_X_EN: 1
; COMPUTE_PGM_RSRC2:TGID_Y_EN: 0
; COMPUTE_PGM_RSRC2:TGID_Z_EN: 0
; COMPUTE_PGM_RSRC2:TIDIG_COMP_CNT: 0
	.section	.text._ZN7rocprim17ROCPRIM_400000_NS6detail17trampoline_kernelINS0_14default_configENS1_21merge_config_selectorINS0_5tupleIJxxEEENS0_10empty_typeEEEZNS1_10merge_implIS3_NS0_12zip_iteratorINS5_IJN6thrust23THRUST_200600_302600_NS6detail15normal_iteratorINSC_10device_ptrIKxEEEESI_EEEEESK_NSA_INS5_IJNSC_16discard_iteratorINSC_11use_defaultEEESN_EEEEEPS7_SQ_SQ_NSC_11hip_rocprim7__merge17predicate_wrapperIxxNSC_4lessIxEEEEEE10hipError_tPvRmT0_T1_T2_T3_T4_T5_mmT6_P12ihipStream_tbEUlT_E0_NS1_11comp_targetILNS1_3genE5ELNS1_11target_archE942ELNS1_3gpuE9ELNS1_3repE0EEENS1_30default_config_static_selectorELNS0_4arch9wavefront6targetE0EEEvS11_,"axG",@progbits,_ZN7rocprim17ROCPRIM_400000_NS6detail17trampoline_kernelINS0_14default_configENS1_21merge_config_selectorINS0_5tupleIJxxEEENS0_10empty_typeEEEZNS1_10merge_implIS3_NS0_12zip_iteratorINS5_IJN6thrust23THRUST_200600_302600_NS6detail15normal_iteratorINSC_10device_ptrIKxEEEESI_EEEEESK_NSA_INS5_IJNSC_16discard_iteratorINSC_11use_defaultEEESN_EEEEEPS7_SQ_SQ_NSC_11hip_rocprim7__merge17predicate_wrapperIxxNSC_4lessIxEEEEEE10hipError_tPvRmT0_T1_T2_T3_T4_T5_mmT6_P12ihipStream_tbEUlT_E0_NS1_11comp_targetILNS1_3genE5ELNS1_11target_archE942ELNS1_3gpuE9ELNS1_3repE0EEENS1_30default_config_static_selectorELNS0_4arch9wavefront6targetE0EEEvS11_,comdat
	.protected	_ZN7rocprim17ROCPRIM_400000_NS6detail17trampoline_kernelINS0_14default_configENS1_21merge_config_selectorINS0_5tupleIJxxEEENS0_10empty_typeEEEZNS1_10merge_implIS3_NS0_12zip_iteratorINS5_IJN6thrust23THRUST_200600_302600_NS6detail15normal_iteratorINSC_10device_ptrIKxEEEESI_EEEEESK_NSA_INS5_IJNSC_16discard_iteratorINSC_11use_defaultEEESN_EEEEEPS7_SQ_SQ_NSC_11hip_rocprim7__merge17predicate_wrapperIxxNSC_4lessIxEEEEEE10hipError_tPvRmT0_T1_T2_T3_T4_T5_mmT6_P12ihipStream_tbEUlT_E0_NS1_11comp_targetILNS1_3genE5ELNS1_11target_archE942ELNS1_3gpuE9ELNS1_3repE0EEENS1_30default_config_static_selectorELNS0_4arch9wavefront6targetE0EEEvS11_ ; -- Begin function _ZN7rocprim17ROCPRIM_400000_NS6detail17trampoline_kernelINS0_14default_configENS1_21merge_config_selectorINS0_5tupleIJxxEEENS0_10empty_typeEEEZNS1_10merge_implIS3_NS0_12zip_iteratorINS5_IJN6thrust23THRUST_200600_302600_NS6detail15normal_iteratorINSC_10device_ptrIKxEEEESI_EEEEESK_NSA_INS5_IJNSC_16discard_iteratorINSC_11use_defaultEEESN_EEEEEPS7_SQ_SQ_NSC_11hip_rocprim7__merge17predicate_wrapperIxxNSC_4lessIxEEEEEE10hipError_tPvRmT0_T1_T2_T3_T4_T5_mmT6_P12ihipStream_tbEUlT_E0_NS1_11comp_targetILNS1_3genE5ELNS1_11target_archE942ELNS1_3gpuE9ELNS1_3repE0EEENS1_30default_config_static_selectorELNS0_4arch9wavefront6targetE0EEEvS11_
	.globl	_ZN7rocprim17ROCPRIM_400000_NS6detail17trampoline_kernelINS0_14default_configENS1_21merge_config_selectorINS0_5tupleIJxxEEENS0_10empty_typeEEEZNS1_10merge_implIS3_NS0_12zip_iteratorINS5_IJN6thrust23THRUST_200600_302600_NS6detail15normal_iteratorINSC_10device_ptrIKxEEEESI_EEEEESK_NSA_INS5_IJNSC_16discard_iteratorINSC_11use_defaultEEESN_EEEEEPS7_SQ_SQ_NSC_11hip_rocprim7__merge17predicate_wrapperIxxNSC_4lessIxEEEEEE10hipError_tPvRmT0_T1_T2_T3_T4_T5_mmT6_P12ihipStream_tbEUlT_E0_NS1_11comp_targetILNS1_3genE5ELNS1_11target_archE942ELNS1_3gpuE9ELNS1_3repE0EEENS1_30default_config_static_selectorELNS0_4arch9wavefront6targetE0EEEvS11_
	.p2align	8
	.type	_ZN7rocprim17ROCPRIM_400000_NS6detail17trampoline_kernelINS0_14default_configENS1_21merge_config_selectorINS0_5tupleIJxxEEENS0_10empty_typeEEEZNS1_10merge_implIS3_NS0_12zip_iteratorINS5_IJN6thrust23THRUST_200600_302600_NS6detail15normal_iteratorINSC_10device_ptrIKxEEEESI_EEEEESK_NSA_INS5_IJNSC_16discard_iteratorINSC_11use_defaultEEESN_EEEEEPS7_SQ_SQ_NSC_11hip_rocprim7__merge17predicate_wrapperIxxNSC_4lessIxEEEEEE10hipError_tPvRmT0_T1_T2_T3_T4_T5_mmT6_P12ihipStream_tbEUlT_E0_NS1_11comp_targetILNS1_3genE5ELNS1_11target_archE942ELNS1_3gpuE9ELNS1_3repE0EEENS1_30default_config_static_selectorELNS0_4arch9wavefront6targetE0EEEvS11_,@function
_ZN7rocprim17ROCPRIM_400000_NS6detail17trampoline_kernelINS0_14default_configENS1_21merge_config_selectorINS0_5tupleIJxxEEENS0_10empty_typeEEEZNS1_10merge_implIS3_NS0_12zip_iteratorINS5_IJN6thrust23THRUST_200600_302600_NS6detail15normal_iteratorINSC_10device_ptrIKxEEEESI_EEEEESK_NSA_INS5_IJNSC_16discard_iteratorINSC_11use_defaultEEESN_EEEEEPS7_SQ_SQ_NSC_11hip_rocprim7__merge17predicate_wrapperIxxNSC_4lessIxEEEEEE10hipError_tPvRmT0_T1_T2_T3_T4_T5_mmT6_P12ihipStream_tbEUlT_E0_NS1_11comp_targetILNS1_3genE5ELNS1_11target_archE942ELNS1_3gpuE9ELNS1_3repE0EEENS1_30default_config_static_selectorELNS0_4arch9wavefront6targetE0EEEvS11_: ; @_ZN7rocprim17ROCPRIM_400000_NS6detail17trampoline_kernelINS0_14default_configENS1_21merge_config_selectorINS0_5tupleIJxxEEENS0_10empty_typeEEEZNS1_10merge_implIS3_NS0_12zip_iteratorINS5_IJN6thrust23THRUST_200600_302600_NS6detail15normal_iteratorINSC_10device_ptrIKxEEEESI_EEEEESK_NSA_INS5_IJNSC_16discard_iteratorINSC_11use_defaultEEESN_EEEEEPS7_SQ_SQ_NSC_11hip_rocprim7__merge17predicate_wrapperIxxNSC_4lessIxEEEEEE10hipError_tPvRmT0_T1_T2_T3_T4_T5_mmT6_P12ihipStream_tbEUlT_E0_NS1_11comp_targetILNS1_3genE5ELNS1_11target_archE942ELNS1_3gpuE9ELNS1_3repE0EEENS1_30default_config_static_selectorELNS0_4arch9wavefront6targetE0EEEvS11_
; %bb.0:
	.section	.rodata,"a",@progbits
	.p2align	6, 0x0
	.amdhsa_kernel _ZN7rocprim17ROCPRIM_400000_NS6detail17trampoline_kernelINS0_14default_configENS1_21merge_config_selectorINS0_5tupleIJxxEEENS0_10empty_typeEEEZNS1_10merge_implIS3_NS0_12zip_iteratorINS5_IJN6thrust23THRUST_200600_302600_NS6detail15normal_iteratorINSC_10device_ptrIKxEEEESI_EEEEESK_NSA_INS5_IJNSC_16discard_iteratorINSC_11use_defaultEEESN_EEEEEPS7_SQ_SQ_NSC_11hip_rocprim7__merge17predicate_wrapperIxxNSC_4lessIxEEEEEE10hipError_tPvRmT0_T1_T2_T3_T4_T5_mmT6_P12ihipStream_tbEUlT_E0_NS1_11comp_targetILNS1_3genE5ELNS1_11target_archE942ELNS1_3gpuE9ELNS1_3repE0EEENS1_30default_config_static_selectorELNS0_4arch9wavefront6targetE0EEEvS11_
		.amdhsa_group_segment_fixed_size 0
		.amdhsa_private_segment_fixed_size 0
		.amdhsa_kernarg_size 128
		.amdhsa_user_sgpr_count 2
		.amdhsa_user_sgpr_dispatch_ptr 0
		.amdhsa_user_sgpr_queue_ptr 0
		.amdhsa_user_sgpr_kernarg_segment_ptr 1
		.amdhsa_user_sgpr_dispatch_id 0
		.amdhsa_user_sgpr_kernarg_preload_length 0
		.amdhsa_user_sgpr_kernarg_preload_offset 0
		.amdhsa_user_sgpr_private_segment_size 0
		.amdhsa_wavefront_size32 1
		.amdhsa_uses_dynamic_stack 0
		.amdhsa_enable_private_segment 0
		.amdhsa_system_sgpr_workgroup_id_x 1
		.amdhsa_system_sgpr_workgroup_id_y 0
		.amdhsa_system_sgpr_workgroup_id_z 0
		.amdhsa_system_sgpr_workgroup_info 0
		.amdhsa_system_vgpr_workitem_id 0
		.amdhsa_next_free_vgpr 1
		.amdhsa_next_free_sgpr 1
		.amdhsa_named_barrier_count 0
		.amdhsa_reserve_vcc 0
		.amdhsa_float_round_mode_32 0
		.amdhsa_float_round_mode_16_64 0
		.amdhsa_float_denorm_mode_32 3
		.amdhsa_float_denorm_mode_16_64 3
		.amdhsa_fp16_overflow 0
		.amdhsa_memory_ordered 1
		.amdhsa_forward_progress 1
		.amdhsa_inst_pref_size 0
		.amdhsa_round_robin_scheduling 0
		.amdhsa_exception_fp_ieee_invalid_op 0
		.amdhsa_exception_fp_denorm_src 0
		.amdhsa_exception_fp_ieee_div_zero 0
		.amdhsa_exception_fp_ieee_overflow 0
		.amdhsa_exception_fp_ieee_underflow 0
		.amdhsa_exception_fp_ieee_inexact 0
		.amdhsa_exception_int_div_zero 0
	.end_amdhsa_kernel
	.section	.text._ZN7rocprim17ROCPRIM_400000_NS6detail17trampoline_kernelINS0_14default_configENS1_21merge_config_selectorINS0_5tupleIJxxEEENS0_10empty_typeEEEZNS1_10merge_implIS3_NS0_12zip_iteratorINS5_IJN6thrust23THRUST_200600_302600_NS6detail15normal_iteratorINSC_10device_ptrIKxEEEESI_EEEEESK_NSA_INS5_IJNSC_16discard_iteratorINSC_11use_defaultEEESN_EEEEEPS7_SQ_SQ_NSC_11hip_rocprim7__merge17predicate_wrapperIxxNSC_4lessIxEEEEEE10hipError_tPvRmT0_T1_T2_T3_T4_T5_mmT6_P12ihipStream_tbEUlT_E0_NS1_11comp_targetILNS1_3genE5ELNS1_11target_archE942ELNS1_3gpuE9ELNS1_3repE0EEENS1_30default_config_static_selectorELNS0_4arch9wavefront6targetE0EEEvS11_,"axG",@progbits,_ZN7rocprim17ROCPRIM_400000_NS6detail17trampoline_kernelINS0_14default_configENS1_21merge_config_selectorINS0_5tupleIJxxEEENS0_10empty_typeEEEZNS1_10merge_implIS3_NS0_12zip_iteratorINS5_IJN6thrust23THRUST_200600_302600_NS6detail15normal_iteratorINSC_10device_ptrIKxEEEESI_EEEEESK_NSA_INS5_IJNSC_16discard_iteratorINSC_11use_defaultEEESN_EEEEEPS7_SQ_SQ_NSC_11hip_rocprim7__merge17predicate_wrapperIxxNSC_4lessIxEEEEEE10hipError_tPvRmT0_T1_T2_T3_T4_T5_mmT6_P12ihipStream_tbEUlT_E0_NS1_11comp_targetILNS1_3genE5ELNS1_11target_archE942ELNS1_3gpuE9ELNS1_3repE0EEENS1_30default_config_static_selectorELNS0_4arch9wavefront6targetE0EEEvS11_,comdat
.Lfunc_end579:
	.size	_ZN7rocprim17ROCPRIM_400000_NS6detail17trampoline_kernelINS0_14default_configENS1_21merge_config_selectorINS0_5tupleIJxxEEENS0_10empty_typeEEEZNS1_10merge_implIS3_NS0_12zip_iteratorINS5_IJN6thrust23THRUST_200600_302600_NS6detail15normal_iteratorINSC_10device_ptrIKxEEEESI_EEEEESK_NSA_INS5_IJNSC_16discard_iteratorINSC_11use_defaultEEESN_EEEEEPS7_SQ_SQ_NSC_11hip_rocprim7__merge17predicate_wrapperIxxNSC_4lessIxEEEEEE10hipError_tPvRmT0_T1_T2_T3_T4_T5_mmT6_P12ihipStream_tbEUlT_E0_NS1_11comp_targetILNS1_3genE5ELNS1_11target_archE942ELNS1_3gpuE9ELNS1_3repE0EEENS1_30default_config_static_selectorELNS0_4arch9wavefront6targetE0EEEvS11_, .Lfunc_end579-_ZN7rocprim17ROCPRIM_400000_NS6detail17trampoline_kernelINS0_14default_configENS1_21merge_config_selectorINS0_5tupleIJxxEEENS0_10empty_typeEEEZNS1_10merge_implIS3_NS0_12zip_iteratorINS5_IJN6thrust23THRUST_200600_302600_NS6detail15normal_iteratorINSC_10device_ptrIKxEEEESI_EEEEESK_NSA_INS5_IJNSC_16discard_iteratorINSC_11use_defaultEEESN_EEEEEPS7_SQ_SQ_NSC_11hip_rocprim7__merge17predicate_wrapperIxxNSC_4lessIxEEEEEE10hipError_tPvRmT0_T1_T2_T3_T4_T5_mmT6_P12ihipStream_tbEUlT_E0_NS1_11comp_targetILNS1_3genE5ELNS1_11target_archE942ELNS1_3gpuE9ELNS1_3repE0EEENS1_30default_config_static_selectorELNS0_4arch9wavefront6targetE0EEEvS11_
                                        ; -- End function
	.set _ZN7rocprim17ROCPRIM_400000_NS6detail17trampoline_kernelINS0_14default_configENS1_21merge_config_selectorINS0_5tupleIJxxEEENS0_10empty_typeEEEZNS1_10merge_implIS3_NS0_12zip_iteratorINS5_IJN6thrust23THRUST_200600_302600_NS6detail15normal_iteratorINSC_10device_ptrIKxEEEESI_EEEEESK_NSA_INS5_IJNSC_16discard_iteratorINSC_11use_defaultEEESN_EEEEEPS7_SQ_SQ_NSC_11hip_rocprim7__merge17predicate_wrapperIxxNSC_4lessIxEEEEEE10hipError_tPvRmT0_T1_T2_T3_T4_T5_mmT6_P12ihipStream_tbEUlT_E0_NS1_11comp_targetILNS1_3genE5ELNS1_11target_archE942ELNS1_3gpuE9ELNS1_3repE0EEENS1_30default_config_static_selectorELNS0_4arch9wavefront6targetE0EEEvS11_.num_vgpr, 0
	.set _ZN7rocprim17ROCPRIM_400000_NS6detail17trampoline_kernelINS0_14default_configENS1_21merge_config_selectorINS0_5tupleIJxxEEENS0_10empty_typeEEEZNS1_10merge_implIS3_NS0_12zip_iteratorINS5_IJN6thrust23THRUST_200600_302600_NS6detail15normal_iteratorINSC_10device_ptrIKxEEEESI_EEEEESK_NSA_INS5_IJNSC_16discard_iteratorINSC_11use_defaultEEESN_EEEEEPS7_SQ_SQ_NSC_11hip_rocprim7__merge17predicate_wrapperIxxNSC_4lessIxEEEEEE10hipError_tPvRmT0_T1_T2_T3_T4_T5_mmT6_P12ihipStream_tbEUlT_E0_NS1_11comp_targetILNS1_3genE5ELNS1_11target_archE942ELNS1_3gpuE9ELNS1_3repE0EEENS1_30default_config_static_selectorELNS0_4arch9wavefront6targetE0EEEvS11_.num_agpr, 0
	.set _ZN7rocprim17ROCPRIM_400000_NS6detail17trampoline_kernelINS0_14default_configENS1_21merge_config_selectorINS0_5tupleIJxxEEENS0_10empty_typeEEEZNS1_10merge_implIS3_NS0_12zip_iteratorINS5_IJN6thrust23THRUST_200600_302600_NS6detail15normal_iteratorINSC_10device_ptrIKxEEEESI_EEEEESK_NSA_INS5_IJNSC_16discard_iteratorINSC_11use_defaultEEESN_EEEEEPS7_SQ_SQ_NSC_11hip_rocprim7__merge17predicate_wrapperIxxNSC_4lessIxEEEEEE10hipError_tPvRmT0_T1_T2_T3_T4_T5_mmT6_P12ihipStream_tbEUlT_E0_NS1_11comp_targetILNS1_3genE5ELNS1_11target_archE942ELNS1_3gpuE9ELNS1_3repE0EEENS1_30default_config_static_selectorELNS0_4arch9wavefront6targetE0EEEvS11_.numbered_sgpr, 0
	.set _ZN7rocprim17ROCPRIM_400000_NS6detail17trampoline_kernelINS0_14default_configENS1_21merge_config_selectorINS0_5tupleIJxxEEENS0_10empty_typeEEEZNS1_10merge_implIS3_NS0_12zip_iteratorINS5_IJN6thrust23THRUST_200600_302600_NS6detail15normal_iteratorINSC_10device_ptrIKxEEEESI_EEEEESK_NSA_INS5_IJNSC_16discard_iteratorINSC_11use_defaultEEESN_EEEEEPS7_SQ_SQ_NSC_11hip_rocprim7__merge17predicate_wrapperIxxNSC_4lessIxEEEEEE10hipError_tPvRmT0_T1_T2_T3_T4_T5_mmT6_P12ihipStream_tbEUlT_E0_NS1_11comp_targetILNS1_3genE5ELNS1_11target_archE942ELNS1_3gpuE9ELNS1_3repE0EEENS1_30default_config_static_selectorELNS0_4arch9wavefront6targetE0EEEvS11_.num_named_barrier, 0
	.set _ZN7rocprim17ROCPRIM_400000_NS6detail17trampoline_kernelINS0_14default_configENS1_21merge_config_selectorINS0_5tupleIJxxEEENS0_10empty_typeEEEZNS1_10merge_implIS3_NS0_12zip_iteratorINS5_IJN6thrust23THRUST_200600_302600_NS6detail15normal_iteratorINSC_10device_ptrIKxEEEESI_EEEEESK_NSA_INS5_IJNSC_16discard_iteratorINSC_11use_defaultEEESN_EEEEEPS7_SQ_SQ_NSC_11hip_rocprim7__merge17predicate_wrapperIxxNSC_4lessIxEEEEEE10hipError_tPvRmT0_T1_T2_T3_T4_T5_mmT6_P12ihipStream_tbEUlT_E0_NS1_11comp_targetILNS1_3genE5ELNS1_11target_archE942ELNS1_3gpuE9ELNS1_3repE0EEENS1_30default_config_static_selectorELNS0_4arch9wavefront6targetE0EEEvS11_.private_seg_size, 0
	.set _ZN7rocprim17ROCPRIM_400000_NS6detail17trampoline_kernelINS0_14default_configENS1_21merge_config_selectorINS0_5tupleIJxxEEENS0_10empty_typeEEEZNS1_10merge_implIS3_NS0_12zip_iteratorINS5_IJN6thrust23THRUST_200600_302600_NS6detail15normal_iteratorINSC_10device_ptrIKxEEEESI_EEEEESK_NSA_INS5_IJNSC_16discard_iteratorINSC_11use_defaultEEESN_EEEEEPS7_SQ_SQ_NSC_11hip_rocprim7__merge17predicate_wrapperIxxNSC_4lessIxEEEEEE10hipError_tPvRmT0_T1_T2_T3_T4_T5_mmT6_P12ihipStream_tbEUlT_E0_NS1_11comp_targetILNS1_3genE5ELNS1_11target_archE942ELNS1_3gpuE9ELNS1_3repE0EEENS1_30default_config_static_selectorELNS0_4arch9wavefront6targetE0EEEvS11_.uses_vcc, 0
	.set _ZN7rocprim17ROCPRIM_400000_NS6detail17trampoline_kernelINS0_14default_configENS1_21merge_config_selectorINS0_5tupleIJxxEEENS0_10empty_typeEEEZNS1_10merge_implIS3_NS0_12zip_iteratorINS5_IJN6thrust23THRUST_200600_302600_NS6detail15normal_iteratorINSC_10device_ptrIKxEEEESI_EEEEESK_NSA_INS5_IJNSC_16discard_iteratorINSC_11use_defaultEEESN_EEEEEPS7_SQ_SQ_NSC_11hip_rocprim7__merge17predicate_wrapperIxxNSC_4lessIxEEEEEE10hipError_tPvRmT0_T1_T2_T3_T4_T5_mmT6_P12ihipStream_tbEUlT_E0_NS1_11comp_targetILNS1_3genE5ELNS1_11target_archE942ELNS1_3gpuE9ELNS1_3repE0EEENS1_30default_config_static_selectorELNS0_4arch9wavefront6targetE0EEEvS11_.uses_flat_scratch, 0
	.set _ZN7rocprim17ROCPRIM_400000_NS6detail17trampoline_kernelINS0_14default_configENS1_21merge_config_selectorINS0_5tupleIJxxEEENS0_10empty_typeEEEZNS1_10merge_implIS3_NS0_12zip_iteratorINS5_IJN6thrust23THRUST_200600_302600_NS6detail15normal_iteratorINSC_10device_ptrIKxEEEESI_EEEEESK_NSA_INS5_IJNSC_16discard_iteratorINSC_11use_defaultEEESN_EEEEEPS7_SQ_SQ_NSC_11hip_rocprim7__merge17predicate_wrapperIxxNSC_4lessIxEEEEEE10hipError_tPvRmT0_T1_T2_T3_T4_T5_mmT6_P12ihipStream_tbEUlT_E0_NS1_11comp_targetILNS1_3genE5ELNS1_11target_archE942ELNS1_3gpuE9ELNS1_3repE0EEENS1_30default_config_static_selectorELNS0_4arch9wavefront6targetE0EEEvS11_.has_dyn_sized_stack, 0
	.set _ZN7rocprim17ROCPRIM_400000_NS6detail17trampoline_kernelINS0_14default_configENS1_21merge_config_selectorINS0_5tupleIJxxEEENS0_10empty_typeEEEZNS1_10merge_implIS3_NS0_12zip_iteratorINS5_IJN6thrust23THRUST_200600_302600_NS6detail15normal_iteratorINSC_10device_ptrIKxEEEESI_EEEEESK_NSA_INS5_IJNSC_16discard_iteratorINSC_11use_defaultEEESN_EEEEEPS7_SQ_SQ_NSC_11hip_rocprim7__merge17predicate_wrapperIxxNSC_4lessIxEEEEEE10hipError_tPvRmT0_T1_T2_T3_T4_T5_mmT6_P12ihipStream_tbEUlT_E0_NS1_11comp_targetILNS1_3genE5ELNS1_11target_archE942ELNS1_3gpuE9ELNS1_3repE0EEENS1_30default_config_static_selectorELNS0_4arch9wavefront6targetE0EEEvS11_.has_recursion, 0
	.set _ZN7rocprim17ROCPRIM_400000_NS6detail17trampoline_kernelINS0_14default_configENS1_21merge_config_selectorINS0_5tupleIJxxEEENS0_10empty_typeEEEZNS1_10merge_implIS3_NS0_12zip_iteratorINS5_IJN6thrust23THRUST_200600_302600_NS6detail15normal_iteratorINSC_10device_ptrIKxEEEESI_EEEEESK_NSA_INS5_IJNSC_16discard_iteratorINSC_11use_defaultEEESN_EEEEEPS7_SQ_SQ_NSC_11hip_rocprim7__merge17predicate_wrapperIxxNSC_4lessIxEEEEEE10hipError_tPvRmT0_T1_T2_T3_T4_T5_mmT6_P12ihipStream_tbEUlT_E0_NS1_11comp_targetILNS1_3genE5ELNS1_11target_archE942ELNS1_3gpuE9ELNS1_3repE0EEENS1_30default_config_static_selectorELNS0_4arch9wavefront6targetE0EEEvS11_.has_indirect_call, 0
	.section	.AMDGPU.csdata,"",@progbits
; Kernel info:
; codeLenInByte = 0
; TotalNumSgprs: 0
; NumVgprs: 0
; ScratchSize: 0
; MemoryBound: 0
; FloatMode: 240
; IeeeMode: 1
; LDSByteSize: 0 bytes/workgroup (compile time only)
; SGPRBlocks: 0
; VGPRBlocks: 0
; NumSGPRsForWavesPerEU: 1
; NumVGPRsForWavesPerEU: 1
; NamedBarCnt: 0
; Occupancy: 16
; WaveLimiterHint : 0
; COMPUTE_PGM_RSRC2:SCRATCH_EN: 0
; COMPUTE_PGM_RSRC2:USER_SGPR: 2
; COMPUTE_PGM_RSRC2:TRAP_HANDLER: 0
; COMPUTE_PGM_RSRC2:TGID_X_EN: 1
; COMPUTE_PGM_RSRC2:TGID_Y_EN: 0
; COMPUTE_PGM_RSRC2:TGID_Z_EN: 0
; COMPUTE_PGM_RSRC2:TIDIG_COMP_CNT: 0
	.section	.text._ZN7rocprim17ROCPRIM_400000_NS6detail17trampoline_kernelINS0_14default_configENS1_21merge_config_selectorINS0_5tupleIJxxEEENS0_10empty_typeEEEZNS1_10merge_implIS3_NS0_12zip_iteratorINS5_IJN6thrust23THRUST_200600_302600_NS6detail15normal_iteratorINSC_10device_ptrIKxEEEESI_EEEEESK_NSA_INS5_IJNSC_16discard_iteratorINSC_11use_defaultEEESN_EEEEEPS7_SQ_SQ_NSC_11hip_rocprim7__merge17predicate_wrapperIxxNSC_4lessIxEEEEEE10hipError_tPvRmT0_T1_T2_T3_T4_T5_mmT6_P12ihipStream_tbEUlT_E0_NS1_11comp_targetILNS1_3genE4ELNS1_11target_archE910ELNS1_3gpuE8ELNS1_3repE0EEENS1_30default_config_static_selectorELNS0_4arch9wavefront6targetE0EEEvS11_,"axG",@progbits,_ZN7rocprim17ROCPRIM_400000_NS6detail17trampoline_kernelINS0_14default_configENS1_21merge_config_selectorINS0_5tupleIJxxEEENS0_10empty_typeEEEZNS1_10merge_implIS3_NS0_12zip_iteratorINS5_IJN6thrust23THRUST_200600_302600_NS6detail15normal_iteratorINSC_10device_ptrIKxEEEESI_EEEEESK_NSA_INS5_IJNSC_16discard_iteratorINSC_11use_defaultEEESN_EEEEEPS7_SQ_SQ_NSC_11hip_rocprim7__merge17predicate_wrapperIxxNSC_4lessIxEEEEEE10hipError_tPvRmT0_T1_T2_T3_T4_T5_mmT6_P12ihipStream_tbEUlT_E0_NS1_11comp_targetILNS1_3genE4ELNS1_11target_archE910ELNS1_3gpuE8ELNS1_3repE0EEENS1_30default_config_static_selectorELNS0_4arch9wavefront6targetE0EEEvS11_,comdat
	.protected	_ZN7rocprim17ROCPRIM_400000_NS6detail17trampoline_kernelINS0_14default_configENS1_21merge_config_selectorINS0_5tupleIJxxEEENS0_10empty_typeEEEZNS1_10merge_implIS3_NS0_12zip_iteratorINS5_IJN6thrust23THRUST_200600_302600_NS6detail15normal_iteratorINSC_10device_ptrIKxEEEESI_EEEEESK_NSA_INS5_IJNSC_16discard_iteratorINSC_11use_defaultEEESN_EEEEEPS7_SQ_SQ_NSC_11hip_rocprim7__merge17predicate_wrapperIxxNSC_4lessIxEEEEEE10hipError_tPvRmT0_T1_T2_T3_T4_T5_mmT6_P12ihipStream_tbEUlT_E0_NS1_11comp_targetILNS1_3genE4ELNS1_11target_archE910ELNS1_3gpuE8ELNS1_3repE0EEENS1_30default_config_static_selectorELNS0_4arch9wavefront6targetE0EEEvS11_ ; -- Begin function _ZN7rocprim17ROCPRIM_400000_NS6detail17trampoline_kernelINS0_14default_configENS1_21merge_config_selectorINS0_5tupleIJxxEEENS0_10empty_typeEEEZNS1_10merge_implIS3_NS0_12zip_iteratorINS5_IJN6thrust23THRUST_200600_302600_NS6detail15normal_iteratorINSC_10device_ptrIKxEEEESI_EEEEESK_NSA_INS5_IJNSC_16discard_iteratorINSC_11use_defaultEEESN_EEEEEPS7_SQ_SQ_NSC_11hip_rocprim7__merge17predicate_wrapperIxxNSC_4lessIxEEEEEE10hipError_tPvRmT0_T1_T2_T3_T4_T5_mmT6_P12ihipStream_tbEUlT_E0_NS1_11comp_targetILNS1_3genE4ELNS1_11target_archE910ELNS1_3gpuE8ELNS1_3repE0EEENS1_30default_config_static_selectorELNS0_4arch9wavefront6targetE0EEEvS11_
	.globl	_ZN7rocprim17ROCPRIM_400000_NS6detail17trampoline_kernelINS0_14default_configENS1_21merge_config_selectorINS0_5tupleIJxxEEENS0_10empty_typeEEEZNS1_10merge_implIS3_NS0_12zip_iteratorINS5_IJN6thrust23THRUST_200600_302600_NS6detail15normal_iteratorINSC_10device_ptrIKxEEEESI_EEEEESK_NSA_INS5_IJNSC_16discard_iteratorINSC_11use_defaultEEESN_EEEEEPS7_SQ_SQ_NSC_11hip_rocprim7__merge17predicate_wrapperIxxNSC_4lessIxEEEEEE10hipError_tPvRmT0_T1_T2_T3_T4_T5_mmT6_P12ihipStream_tbEUlT_E0_NS1_11comp_targetILNS1_3genE4ELNS1_11target_archE910ELNS1_3gpuE8ELNS1_3repE0EEENS1_30default_config_static_selectorELNS0_4arch9wavefront6targetE0EEEvS11_
	.p2align	8
	.type	_ZN7rocprim17ROCPRIM_400000_NS6detail17trampoline_kernelINS0_14default_configENS1_21merge_config_selectorINS0_5tupleIJxxEEENS0_10empty_typeEEEZNS1_10merge_implIS3_NS0_12zip_iteratorINS5_IJN6thrust23THRUST_200600_302600_NS6detail15normal_iteratorINSC_10device_ptrIKxEEEESI_EEEEESK_NSA_INS5_IJNSC_16discard_iteratorINSC_11use_defaultEEESN_EEEEEPS7_SQ_SQ_NSC_11hip_rocprim7__merge17predicate_wrapperIxxNSC_4lessIxEEEEEE10hipError_tPvRmT0_T1_T2_T3_T4_T5_mmT6_P12ihipStream_tbEUlT_E0_NS1_11comp_targetILNS1_3genE4ELNS1_11target_archE910ELNS1_3gpuE8ELNS1_3repE0EEENS1_30default_config_static_selectorELNS0_4arch9wavefront6targetE0EEEvS11_,@function
_ZN7rocprim17ROCPRIM_400000_NS6detail17trampoline_kernelINS0_14default_configENS1_21merge_config_selectorINS0_5tupleIJxxEEENS0_10empty_typeEEEZNS1_10merge_implIS3_NS0_12zip_iteratorINS5_IJN6thrust23THRUST_200600_302600_NS6detail15normal_iteratorINSC_10device_ptrIKxEEEESI_EEEEESK_NSA_INS5_IJNSC_16discard_iteratorINSC_11use_defaultEEESN_EEEEEPS7_SQ_SQ_NSC_11hip_rocprim7__merge17predicate_wrapperIxxNSC_4lessIxEEEEEE10hipError_tPvRmT0_T1_T2_T3_T4_T5_mmT6_P12ihipStream_tbEUlT_E0_NS1_11comp_targetILNS1_3genE4ELNS1_11target_archE910ELNS1_3gpuE8ELNS1_3repE0EEENS1_30default_config_static_selectorELNS0_4arch9wavefront6targetE0EEEvS11_: ; @_ZN7rocprim17ROCPRIM_400000_NS6detail17trampoline_kernelINS0_14default_configENS1_21merge_config_selectorINS0_5tupleIJxxEEENS0_10empty_typeEEEZNS1_10merge_implIS3_NS0_12zip_iteratorINS5_IJN6thrust23THRUST_200600_302600_NS6detail15normal_iteratorINSC_10device_ptrIKxEEEESI_EEEEESK_NSA_INS5_IJNSC_16discard_iteratorINSC_11use_defaultEEESN_EEEEEPS7_SQ_SQ_NSC_11hip_rocprim7__merge17predicate_wrapperIxxNSC_4lessIxEEEEEE10hipError_tPvRmT0_T1_T2_T3_T4_T5_mmT6_P12ihipStream_tbEUlT_E0_NS1_11comp_targetILNS1_3genE4ELNS1_11target_archE910ELNS1_3gpuE8ELNS1_3repE0EEENS1_30default_config_static_selectorELNS0_4arch9wavefront6targetE0EEEvS11_
; %bb.0:
	.section	.rodata,"a",@progbits
	.p2align	6, 0x0
	.amdhsa_kernel _ZN7rocprim17ROCPRIM_400000_NS6detail17trampoline_kernelINS0_14default_configENS1_21merge_config_selectorINS0_5tupleIJxxEEENS0_10empty_typeEEEZNS1_10merge_implIS3_NS0_12zip_iteratorINS5_IJN6thrust23THRUST_200600_302600_NS6detail15normal_iteratorINSC_10device_ptrIKxEEEESI_EEEEESK_NSA_INS5_IJNSC_16discard_iteratorINSC_11use_defaultEEESN_EEEEEPS7_SQ_SQ_NSC_11hip_rocprim7__merge17predicate_wrapperIxxNSC_4lessIxEEEEEE10hipError_tPvRmT0_T1_T2_T3_T4_T5_mmT6_P12ihipStream_tbEUlT_E0_NS1_11comp_targetILNS1_3genE4ELNS1_11target_archE910ELNS1_3gpuE8ELNS1_3repE0EEENS1_30default_config_static_selectorELNS0_4arch9wavefront6targetE0EEEvS11_
		.amdhsa_group_segment_fixed_size 0
		.amdhsa_private_segment_fixed_size 0
		.amdhsa_kernarg_size 128
		.amdhsa_user_sgpr_count 2
		.amdhsa_user_sgpr_dispatch_ptr 0
		.amdhsa_user_sgpr_queue_ptr 0
		.amdhsa_user_sgpr_kernarg_segment_ptr 1
		.amdhsa_user_sgpr_dispatch_id 0
		.amdhsa_user_sgpr_kernarg_preload_length 0
		.amdhsa_user_sgpr_kernarg_preload_offset 0
		.amdhsa_user_sgpr_private_segment_size 0
		.amdhsa_wavefront_size32 1
		.amdhsa_uses_dynamic_stack 0
		.amdhsa_enable_private_segment 0
		.amdhsa_system_sgpr_workgroup_id_x 1
		.amdhsa_system_sgpr_workgroup_id_y 0
		.amdhsa_system_sgpr_workgroup_id_z 0
		.amdhsa_system_sgpr_workgroup_info 0
		.amdhsa_system_vgpr_workitem_id 0
		.amdhsa_next_free_vgpr 1
		.amdhsa_next_free_sgpr 1
		.amdhsa_named_barrier_count 0
		.amdhsa_reserve_vcc 0
		.amdhsa_float_round_mode_32 0
		.amdhsa_float_round_mode_16_64 0
		.amdhsa_float_denorm_mode_32 3
		.amdhsa_float_denorm_mode_16_64 3
		.amdhsa_fp16_overflow 0
		.amdhsa_memory_ordered 1
		.amdhsa_forward_progress 1
		.amdhsa_inst_pref_size 0
		.amdhsa_round_robin_scheduling 0
		.amdhsa_exception_fp_ieee_invalid_op 0
		.amdhsa_exception_fp_denorm_src 0
		.amdhsa_exception_fp_ieee_div_zero 0
		.amdhsa_exception_fp_ieee_overflow 0
		.amdhsa_exception_fp_ieee_underflow 0
		.amdhsa_exception_fp_ieee_inexact 0
		.amdhsa_exception_int_div_zero 0
	.end_amdhsa_kernel
	.section	.text._ZN7rocprim17ROCPRIM_400000_NS6detail17trampoline_kernelINS0_14default_configENS1_21merge_config_selectorINS0_5tupleIJxxEEENS0_10empty_typeEEEZNS1_10merge_implIS3_NS0_12zip_iteratorINS5_IJN6thrust23THRUST_200600_302600_NS6detail15normal_iteratorINSC_10device_ptrIKxEEEESI_EEEEESK_NSA_INS5_IJNSC_16discard_iteratorINSC_11use_defaultEEESN_EEEEEPS7_SQ_SQ_NSC_11hip_rocprim7__merge17predicate_wrapperIxxNSC_4lessIxEEEEEE10hipError_tPvRmT0_T1_T2_T3_T4_T5_mmT6_P12ihipStream_tbEUlT_E0_NS1_11comp_targetILNS1_3genE4ELNS1_11target_archE910ELNS1_3gpuE8ELNS1_3repE0EEENS1_30default_config_static_selectorELNS0_4arch9wavefront6targetE0EEEvS11_,"axG",@progbits,_ZN7rocprim17ROCPRIM_400000_NS6detail17trampoline_kernelINS0_14default_configENS1_21merge_config_selectorINS0_5tupleIJxxEEENS0_10empty_typeEEEZNS1_10merge_implIS3_NS0_12zip_iteratorINS5_IJN6thrust23THRUST_200600_302600_NS6detail15normal_iteratorINSC_10device_ptrIKxEEEESI_EEEEESK_NSA_INS5_IJNSC_16discard_iteratorINSC_11use_defaultEEESN_EEEEEPS7_SQ_SQ_NSC_11hip_rocprim7__merge17predicate_wrapperIxxNSC_4lessIxEEEEEE10hipError_tPvRmT0_T1_T2_T3_T4_T5_mmT6_P12ihipStream_tbEUlT_E0_NS1_11comp_targetILNS1_3genE4ELNS1_11target_archE910ELNS1_3gpuE8ELNS1_3repE0EEENS1_30default_config_static_selectorELNS0_4arch9wavefront6targetE0EEEvS11_,comdat
.Lfunc_end580:
	.size	_ZN7rocprim17ROCPRIM_400000_NS6detail17trampoline_kernelINS0_14default_configENS1_21merge_config_selectorINS0_5tupleIJxxEEENS0_10empty_typeEEEZNS1_10merge_implIS3_NS0_12zip_iteratorINS5_IJN6thrust23THRUST_200600_302600_NS6detail15normal_iteratorINSC_10device_ptrIKxEEEESI_EEEEESK_NSA_INS5_IJNSC_16discard_iteratorINSC_11use_defaultEEESN_EEEEEPS7_SQ_SQ_NSC_11hip_rocprim7__merge17predicate_wrapperIxxNSC_4lessIxEEEEEE10hipError_tPvRmT0_T1_T2_T3_T4_T5_mmT6_P12ihipStream_tbEUlT_E0_NS1_11comp_targetILNS1_3genE4ELNS1_11target_archE910ELNS1_3gpuE8ELNS1_3repE0EEENS1_30default_config_static_selectorELNS0_4arch9wavefront6targetE0EEEvS11_, .Lfunc_end580-_ZN7rocprim17ROCPRIM_400000_NS6detail17trampoline_kernelINS0_14default_configENS1_21merge_config_selectorINS0_5tupleIJxxEEENS0_10empty_typeEEEZNS1_10merge_implIS3_NS0_12zip_iteratorINS5_IJN6thrust23THRUST_200600_302600_NS6detail15normal_iteratorINSC_10device_ptrIKxEEEESI_EEEEESK_NSA_INS5_IJNSC_16discard_iteratorINSC_11use_defaultEEESN_EEEEEPS7_SQ_SQ_NSC_11hip_rocprim7__merge17predicate_wrapperIxxNSC_4lessIxEEEEEE10hipError_tPvRmT0_T1_T2_T3_T4_T5_mmT6_P12ihipStream_tbEUlT_E0_NS1_11comp_targetILNS1_3genE4ELNS1_11target_archE910ELNS1_3gpuE8ELNS1_3repE0EEENS1_30default_config_static_selectorELNS0_4arch9wavefront6targetE0EEEvS11_
                                        ; -- End function
	.set _ZN7rocprim17ROCPRIM_400000_NS6detail17trampoline_kernelINS0_14default_configENS1_21merge_config_selectorINS0_5tupleIJxxEEENS0_10empty_typeEEEZNS1_10merge_implIS3_NS0_12zip_iteratorINS5_IJN6thrust23THRUST_200600_302600_NS6detail15normal_iteratorINSC_10device_ptrIKxEEEESI_EEEEESK_NSA_INS5_IJNSC_16discard_iteratorINSC_11use_defaultEEESN_EEEEEPS7_SQ_SQ_NSC_11hip_rocprim7__merge17predicate_wrapperIxxNSC_4lessIxEEEEEE10hipError_tPvRmT0_T1_T2_T3_T4_T5_mmT6_P12ihipStream_tbEUlT_E0_NS1_11comp_targetILNS1_3genE4ELNS1_11target_archE910ELNS1_3gpuE8ELNS1_3repE0EEENS1_30default_config_static_selectorELNS0_4arch9wavefront6targetE0EEEvS11_.num_vgpr, 0
	.set _ZN7rocprim17ROCPRIM_400000_NS6detail17trampoline_kernelINS0_14default_configENS1_21merge_config_selectorINS0_5tupleIJxxEEENS0_10empty_typeEEEZNS1_10merge_implIS3_NS0_12zip_iteratorINS5_IJN6thrust23THRUST_200600_302600_NS6detail15normal_iteratorINSC_10device_ptrIKxEEEESI_EEEEESK_NSA_INS5_IJNSC_16discard_iteratorINSC_11use_defaultEEESN_EEEEEPS7_SQ_SQ_NSC_11hip_rocprim7__merge17predicate_wrapperIxxNSC_4lessIxEEEEEE10hipError_tPvRmT0_T1_T2_T3_T4_T5_mmT6_P12ihipStream_tbEUlT_E0_NS1_11comp_targetILNS1_3genE4ELNS1_11target_archE910ELNS1_3gpuE8ELNS1_3repE0EEENS1_30default_config_static_selectorELNS0_4arch9wavefront6targetE0EEEvS11_.num_agpr, 0
	.set _ZN7rocprim17ROCPRIM_400000_NS6detail17trampoline_kernelINS0_14default_configENS1_21merge_config_selectorINS0_5tupleIJxxEEENS0_10empty_typeEEEZNS1_10merge_implIS3_NS0_12zip_iteratorINS5_IJN6thrust23THRUST_200600_302600_NS6detail15normal_iteratorINSC_10device_ptrIKxEEEESI_EEEEESK_NSA_INS5_IJNSC_16discard_iteratorINSC_11use_defaultEEESN_EEEEEPS7_SQ_SQ_NSC_11hip_rocprim7__merge17predicate_wrapperIxxNSC_4lessIxEEEEEE10hipError_tPvRmT0_T1_T2_T3_T4_T5_mmT6_P12ihipStream_tbEUlT_E0_NS1_11comp_targetILNS1_3genE4ELNS1_11target_archE910ELNS1_3gpuE8ELNS1_3repE0EEENS1_30default_config_static_selectorELNS0_4arch9wavefront6targetE0EEEvS11_.numbered_sgpr, 0
	.set _ZN7rocprim17ROCPRIM_400000_NS6detail17trampoline_kernelINS0_14default_configENS1_21merge_config_selectorINS0_5tupleIJxxEEENS0_10empty_typeEEEZNS1_10merge_implIS3_NS0_12zip_iteratorINS5_IJN6thrust23THRUST_200600_302600_NS6detail15normal_iteratorINSC_10device_ptrIKxEEEESI_EEEEESK_NSA_INS5_IJNSC_16discard_iteratorINSC_11use_defaultEEESN_EEEEEPS7_SQ_SQ_NSC_11hip_rocprim7__merge17predicate_wrapperIxxNSC_4lessIxEEEEEE10hipError_tPvRmT0_T1_T2_T3_T4_T5_mmT6_P12ihipStream_tbEUlT_E0_NS1_11comp_targetILNS1_3genE4ELNS1_11target_archE910ELNS1_3gpuE8ELNS1_3repE0EEENS1_30default_config_static_selectorELNS0_4arch9wavefront6targetE0EEEvS11_.num_named_barrier, 0
	.set _ZN7rocprim17ROCPRIM_400000_NS6detail17trampoline_kernelINS0_14default_configENS1_21merge_config_selectorINS0_5tupleIJxxEEENS0_10empty_typeEEEZNS1_10merge_implIS3_NS0_12zip_iteratorINS5_IJN6thrust23THRUST_200600_302600_NS6detail15normal_iteratorINSC_10device_ptrIKxEEEESI_EEEEESK_NSA_INS5_IJNSC_16discard_iteratorINSC_11use_defaultEEESN_EEEEEPS7_SQ_SQ_NSC_11hip_rocprim7__merge17predicate_wrapperIxxNSC_4lessIxEEEEEE10hipError_tPvRmT0_T1_T2_T3_T4_T5_mmT6_P12ihipStream_tbEUlT_E0_NS1_11comp_targetILNS1_3genE4ELNS1_11target_archE910ELNS1_3gpuE8ELNS1_3repE0EEENS1_30default_config_static_selectorELNS0_4arch9wavefront6targetE0EEEvS11_.private_seg_size, 0
	.set _ZN7rocprim17ROCPRIM_400000_NS6detail17trampoline_kernelINS0_14default_configENS1_21merge_config_selectorINS0_5tupleIJxxEEENS0_10empty_typeEEEZNS1_10merge_implIS3_NS0_12zip_iteratorINS5_IJN6thrust23THRUST_200600_302600_NS6detail15normal_iteratorINSC_10device_ptrIKxEEEESI_EEEEESK_NSA_INS5_IJNSC_16discard_iteratorINSC_11use_defaultEEESN_EEEEEPS7_SQ_SQ_NSC_11hip_rocprim7__merge17predicate_wrapperIxxNSC_4lessIxEEEEEE10hipError_tPvRmT0_T1_T2_T3_T4_T5_mmT6_P12ihipStream_tbEUlT_E0_NS1_11comp_targetILNS1_3genE4ELNS1_11target_archE910ELNS1_3gpuE8ELNS1_3repE0EEENS1_30default_config_static_selectorELNS0_4arch9wavefront6targetE0EEEvS11_.uses_vcc, 0
	.set _ZN7rocprim17ROCPRIM_400000_NS6detail17trampoline_kernelINS0_14default_configENS1_21merge_config_selectorINS0_5tupleIJxxEEENS0_10empty_typeEEEZNS1_10merge_implIS3_NS0_12zip_iteratorINS5_IJN6thrust23THRUST_200600_302600_NS6detail15normal_iteratorINSC_10device_ptrIKxEEEESI_EEEEESK_NSA_INS5_IJNSC_16discard_iteratorINSC_11use_defaultEEESN_EEEEEPS7_SQ_SQ_NSC_11hip_rocprim7__merge17predicate_wrapperIxxNSC_4lessIxEEEEEE10hipError_tPvRmT0_T1_T2_T3_T4_T5_mmT6_P12ihipStream_tbEUlT_E0_NS1_11comp_targetILNS1_3genE4ELNS1_11target_archE910ELNS1_3gpuE8ELNS1_3repE0EEENS1_30default_config_static_selectorELNS0_4arch9wavefront6targetE0EEEvS11_.uses_flat_scratch, 0
	.set _ZN7rocprim17ROCPRIM_400000_NS6detail17trampoline_kernelINS0_14default_configENS1_21merge_config_selectorINS0_5tupleIJxxEEENS0_10empty_typeEEEZNS1_10merge_implIS3_NS0_12zip_iteratorINS5_IJN6thrust23THRUST_200600_302600_NS6detail15normal_iteratorINSC_10device_ptrIKxEEEESI_EEEEESK_NSA_INS5_IJNSC_16discard_iteratorINSC_11use_defaultEEESN_EEEEEPS7_SQ_SQ_NSC_11hip_rocprim7__merge17predicate_wrapperIxxNSC_4lessIxEEEEEE10hipError_tPvRmT0_T1_T2_T3_T4_T5_mmT6_P12ihipStream_tbEUlT_E0_NS1_11comp_targetILNS1_3genE4ELNS1_11target_archE910ELNS1_3gpuE8ELNS1_3repE0EEENS1_30default_config_static_selectorELNS0_4arch9wavefront6targetE0EEEvS11_.has_dyn_sized_stack, 0
	.set _ZN7rocprim17ROCPRIM_400000_NS6detail17trampoline_kernelINS0_14default_configENS1_21merge_config_selectorINS0_5tupleIJxxEEENS0_10empty_typeEEEZNS1_10merge_implIS3_NS0_12zip_iteratorINS5_IJN6thrust23THRUST_200600_302600_NS6detail15normal_iteratorINSC_10device_ptrIKxEEEESI_EEEEESK_NSA_INS5_IJNSC_16discard_iteratorINSC_11use_defaultEEESN_EEEEEPS7_SQ_SQ_NSC_11hip_rocprim7__merge17predicate_wrapperIxxNSC_4lessIxEEEEEE10hipError_tPvRmT0_T1_T2_T3_T4_T5_mmT6_P12ihipStream_tbEUlT_E0_NS1_11comp_targetILNS1_3genE4ELNS1_11target_archE910ELNS1_3gpuE8ELNS1_3repE0EEENS1_30default_config_static_selectorELNS0_4arch9wavefront6targetE0EEEvS11_.has_recursion, 0
	.set _ZN7rocprim17ROCPRIM_400000_NS6detail17trampoline_kernelINS0_14default_configENS1_21merge_config_selectorINS0_5tupleIJxxEEENS0_10empty_typeEEEZNS1_10merge_implIS3_NS0_12zip_iteratorINS5_IJN6thrust23THRUST_200600_302600_NS6detail15normal_iteratorINSC_10device_ptrIKxEEEESI_EEEEESK_NSA_INS5_IJNSC_16discard_iteratorINSC_11use_defaultEEESN_EEEEEPS7_SQ_SQ_NSC_11hip_rocprim7__merge17predicate_wrapperIxxNSC_4lessIxEEEEEE10hipError_tPvRmT0_T1_T2_T3_T4_T5_mmT6_P12ihipStream_tbEUlT_E0_NS1_11comp_targetILNS1_3genE4ELNS1_11target_archE910ELNS1_3gpuE8ELNS1_3repE0EEENS1_30default_config_static_selectorELNS0_4arch9wavefront6targetE0EEEvS11_.has_indirect_call, 0
	.section	.AMDGPU.csdata,"",@progbits
; Kernel info:
; codeLenInByte = 0
; TotalNumSgprs: 0
; NumVgprs: 0
; ScratchSize: 0
; MemoryBound: 0
; FloatMode: 240
; IeeeMode: 1
; LDSByteSize: 0 bytes/workgroup (compile time only)
; SGPRBlocks: 0
; VGPRBlocks: 0
; NumSGPRsForWavesPerEU: 1
; NumVGPRsForWavesPerEU: 1
; NamedBarCnt: 0
; Occupancy: 16
; WaveLimiterHint : 0
; COMPUTE_PGM_RSRC2:SCRATCH_EN: 0
; COMPUTE_PGM_RSRC2:USER_SGPR: 2
; COMPUTE_PGM_RSRC2:TRAP_HANDLER: 0
; COMPUTE_PGM_RSRC2:TGID_X_EN: 1
; COMPUTE_PGM_RSRC2:TGID_Y_EN: 0
; COMPUTE_PGM_RSRC2:TGID_Z_EN: 0
; COMPUTE_PGM_RSRC2:TIDIG_COMP_CNT: 0
	.section	.text._ZN7rocprim17ROCPRIM_400000_NS6detail17trampoline_kernelINS0_14default_configENS1_21merge_config_selectorINS0_5tupleIJxxEEENS0_10empty_typeEEEZNS1_10merge_implIS3_NS0_12zip_iteratorINS5_IJN6thrust23THRUST_200600_302600_NS6detail15normal_iteratorINSC_10device_ptrIKxEEEESI_EEEEESK_NSA_INS5_IJNSC_16discard_iteratorINSC_11use_defaultEEESN_EEEEEPS7_SQ_SQ_NSC_11hip_rocprim7__merge17predicate_wrapperIxxNSC_4lessIxEEEEEE10hipError_tPvRmT0_T1_T2_T3_T4_T5_mmT6_P12ihipStream_tbEUlT_E0_NS1_11comp_targetILNS1_3genE3ELNS1_11target_archE908ELNS1_3gpuE7ELNS1_3repE0EEENS1_30default_config_static_selectorELNS0_4arch9wavefront6targetE0EEEvS11_,"axG",@progbits,_ZN7rocprim17ROCPRIM_400000_NS6detail17trampoline_kernelINS0_14default_configENS1_21merge_config_selectorINS0_5tupleIJxxEEENS0_10empty_typeEEEZNS1_10merge_implIS3_NS0_12zip_iteratorINS5_IJN6thrust23THRUST_200600_302600_NS6detail15normal_iteratorINSC_10device_ptrIKxEEEESI_EEEEESK_NSA_INS5_IJNSC_16discard_iteratorINSC_11use_defaultEEESN_EEEEEPS7_SQ_SQ_NSC_11hip_rocprim7__merge17predicate_wrapperIxxNSC_4lessIxEEEEEE10hipError_tPvRmT0_T1_T2_T3_T4_T5_mmT6_P12ihipStream_tbEUlT_E0_NS1_11comp_targetILNS1_3genE3ELNS1_11target_archE908ELNS1_3gpuE7ELNS1_3repE0EEENS1_30default_config_static_selectorELNS0_4arch9wavefront6targetE0EEEvS11_,comdat
	.protected	_ZN7rocprim17ROCPRIM_400000_NS6detail17trampoline_kernelINS0_14default_configENS1_21merge_config_selectorINS0_5tupleIJxxEEENS0_10empty_typeEEEZNS1_10merge_implIS3_NS0_12zip_iteratorINS5_IJN6thrust23THRUST_200600_302600_NS6detail15normal_iteratorINSC_10device_ptrIKxEEEESI_EEEEESK_NSA_INS5_IJNSC_16discard_iteratorINSC_11use_defaultEEESN_EEEEEPS7_SQ_SQ_NSC_11hip_rocprim7__merge17predicate_wrapperIxxNSC_4lessIxEEEEEE10hipError_tPvRmT0_T1_T2_T3_T4_T5_mmT6_P12ihipStream_tbEUlT_E0_NS1_11comp_targetILNS1_3genE3ELNS1_11target_archE908ELNS1_3gpuE7ELNS1_3repE0EEENS1_30default_config_static_selectorELNS0_4arch9wavefront6targetE0EEEvS11_ ; -- Begin function _ZN7rocprim17ROCPRIM_400000_NS6detail17trampoline_kernelINS0_14default_configENS1_21merge_config_selectorINS0_5tupleIJxxEEENS0_10empty_typeEEEZNS1_10merge_implIS3_NS0_12zip_iteratorINS5_IJN6thrust23THRUST_200600_302600_NS6detail15normal_iteratorINSC_10device_ptrIKxEEEESI_EEEEESK_NSA_INS5_IJNSC_16discard_iteratorINSC_11use_defaultEEESN_EEEEEPS7_SQ_SQ_NSC_11hip_rocprim7__merge17predicate_wrapperIxxNSC_4lessIxEEEEEE10hipError_tPvRmT0_T1_T2_T3_T4_T5_mmT6_P12ihipStream_tbEUlT_E0_NS1_11comp_targetILNS1_3genE3ELNS1_11target_archE908ELNS1_3gpuE7ELNS1_3repE0EEENS1_30default_config_static_selectorELNS0_4arch9wavefront6targetE0EEEvS11_
	.globl	_ZN7rocprim17ROCPRIM_400000_NS6detail17trampoline_kernelINS0_14default_configENS1_21merge_config_selectorINS0_5tupleIJxxEEENS0_10empty_typeEEEZNS1_10merge_implIS3_NS0_12zip_iteratorINS5_IJN6thrust23THRUST_200600_302600_NS6detail15normal_iteratorINSC_10device_ptrIKxEEEESI_EEEEESK_NSA_INS5_IJNSC_16discard_iteratorINSC_11use_defaultEEESN_EEEEEPS7_SQ_SQ_NSC_11hip_rocprim7__merge17predicate_wrapperIxxNSC_4lessIxEEEEEE10hipError_tPvRmT0_T1_T2_T3_T4_T5_mmT6_P12ihipStream_tbEUlT_E0_NS1_11comp_targetILNS1_3genE3ELNS1_11target_archE908ELNS1_3gpuE7ELNS1_3repE0EEENS1_30default_config_static_selectorELNS0_4arch9wavefront6targetE0EEEvS11_
	.p2align	8
	.type	_ZN7rocprim17ROCPRIM_400000_NS6detail17trampoline_kernelINS0_14default_configENS1_21merge_config_selectorINS0_5tupleIJxxEEENS0_10empty_typeEEEZNS1_10merge_implIS3_NS0_12zip_iteratorINS5_IJN6thrust23THRUST_200600_302600_NS6detail15normal_iteratorINSC_10device_ptrIKxEEEESI_EEEEESK_NSA_INS5_IJNSC_16discard_iteratorINSC_11use_defaultEEESN_EEEEEPS7_SQ_SQ_NSC_11hip_rocprim7__merge17predicate_wrapperIxxNSC_4lessIxEEEEEE10hipError_tPvRmT0_T1_T2_T3_T4_T5_mmT6_P12ihipStream_tbEUlT_E0_NS1_11comp_targetILNS1_3genE3ELNS1_11target_archE908ELNS1_3gpuE7ELNS1_3repE0EEENS1_30default_config_static_selectorELNS0_4arch9wavefront6targetE0EEEvS11_,@function
_ZN7rocprim17ROCPRIM_400000_NS6detail17trampoline_kernelINS0_14default_configENS1_21merge_config_selectorINS0_5tupleIJxxEEENS0_10empty_typeEEEZNS1_10merge_implIS3_NS0_12zip_iteratorINS5_IJN6thrust23THRUST_200600_302600_NS6detail15normal_iteratorINSC_10device_ptrIKxEEEESI_EEEEESK_NSA_INS5_IJNSC_16discard_iteratorINSC_11use_defaultEEESN_EEEEEPS7_SQ_SQ_NSC_11hip_rocprim7__merge17predicate_wrapperIxxNSC_4lessIxEEEEEE10hipError_tPvRmT0_T1_T2_T3_T4_T5_mmT6_P12ihipStream_tbEUlT_E0_NS1_11comp_targetILNS1_3genE3ELNS1_11target_archE908ELNS1_3gpuE7ELNS1_3repE0EEENS1_30default_config_static_selectorELNS0_4arch9wavefront6targetE0EEEvS11_: ; @_ZN7rocprim17ROCPRIM_400000_NS6detail17trampoline_kernelINS0_14default_configENS1_21merge_config_selectorINS0_5tupleIJxxEEENS0_10empty_typeEEEZNS1_10merge_implIS3_NS0_12zip_iteratorINS5_IJN6thrust23THRUST_200600_302600_NS6detail15normal_iteratorINSC_10device_ptrIKxEEEESI_EEEEESK_NSA_INS5_IJNSC_16discard_iteratorINSC_11use_defaultEEESN_EEEEEPS7_SQ_SQ_NSC_11hip_rocprim7__merge17predicate_wrapperIxxNSC_4lessIxEEEEEE10hipError_tPvRmT0_T1_T2_T3_T4_T5_mmT6_P12ihipStream_tbEUlT_E0_NS1_11comp_targetILNS1_3genE3ELNS1_11target_archE908ELNS1_3gpuE7ELNS1_3repE0EEENS1_30default_config_static_selectorELNS0_4arch9wavefront6targetE0EEEvS11_
; %bb.0:
	.section	.rodata,"a",@progbits
	.p2align	6, 0x0
	.amdhsa_kernel _ZN7rocprim17ROCPRIM_400000_NS6detail17trampoline_kernelINS0_14default_configENS1_21merge_config_selectorINS0_5tupleIJxxEEENS0_10empty_typeEEEZNS1_10merge_implIS3_NS0_12zip_iteratorINS5_IJN6thrust23THRUST_200600_302600_NS6detail15normal_iteratorINSC_10device_ptrIKxEEEESI_EEEEESK_NSA_INS5_IJNSC_16discard_iteratorINSC_11use_defaultEEESN_EEEEEPS7_SQ_SQ_NSC_11hip_rocprim7__merge17predicate_wrapperIxxNSC_4lessIxEEEEEE10hipError_tPvRmT0_T1_T2_T3_T4_T5_mmT6_P12ihipStream_tbEUlT_E0_NS1_11comp_targetILNS1_3genE3ELNS1_11target_archE908ELNS1_3gpuE7ELNS1_3repE0EEENS1_30default_config_static_selectorELNS0_4arch9wavefront6targetE0EEEvS11_
		.amdhsa_group_segment_fixed_size 0
		.amdhsa_private_segment_fixed_size 0
		.amdhsa_kernarg_size 128
		.amdhsa_user_sgpr_count 2
		.amdhsa_user_sgpr_dispatch_ptr 0
		.amdhsa_user_sgpr_queue_ptr 0
		.amdhsa_user_sgpr_kernarg_segment_ptr 1
		.amdhsa_user_sgpr_dispatch_id 0
		.amdhsa_user_sgpr_kernarg_preload_length 0
		.amdhsa_user_sgpr_kernarg_preload_offset 0
		.amdhsa_user_sgpr_private_segment_size 0
		.amdhsa_wavefront_size32 1
		.amdhsa_uses_dynamic_stack 0
		.amdhsa_enable_private_segment 0
		.amdhsa_system_sgpr_workgroup_id_x 1
		.amdhsa_system_sgpr_workgroup_id_y 0
		.amdhsa_system_sgpr_workgroup_id_z 0
		.amdhsa_system_sgpr_workgroup_info 0
		.amdhsa_system_vgpr_workitem_id 0
		.amdhsa_next_free_vgpr 1
		.amdhsa_next_free_sgpr 1
		.amdhsa_named_barrier_count 0
		.amdhsa_reserve_vcc 0
		.amdhsa_float_round_mode_32 0
		.amdhsa_float_round_mode_16_64 0
		.amdhsa_float_denorm_mode_32 3
		.amdhsa_float_denorm_mode_16_64 3
		.amdhsa_fp16_overflow 0
		.amdhsa_memory_ordered 1
		.amdhsa_forward_progress 1
		.amdhsa_inst_pref_size 0
		.amdhsa_round_robin_scheduling 0
		.amdhsa_exception_fp_ieee_invalid_op 0
		.amdhsa_exception_fp_denorm_src 0
		.amdhsa_exception_fp_ieee_div_zero 0
		.amdhsa_exception_fp_ieee_overflow 0
		.amdhsa_exception_fp_ieee_underflow 0
		.amdhsa_exception_fp_ieee_inexact 0
		.amdhsa_exception_int_div_zero 0
	.end_amdhsa_kernel
	.section	.text._ZN7rocprim17ROCPRIM_400000_NS6detail17trampoline_kernelINS0_14default_configENS1_21merge_config_selectorINS0_5tupleIJxxEEENS0_10empty_typeEEEZNS1_10merge_implIS3_NS0_12zip_iteratorINS5_IJN6thrust23THRUST_200600_302600_NS6detail15normal_iteratorINSC_10device_ptrIKxEEEESI_EEEEESK_NSA_INS5_IJNSC_16discard_iteratorINSC_11use_defaultEEESN_EEEEEPS7_SQ_SQ_NSC_11hip_rocprim7__merge17predicate_wrapperIxxNSC_4lessIxEEEEEE10hipError_tPvRmT0_T1_T2_T3_T4_T5_mmT6_P12ihipStream_tbEUlT_E0_NS1_11comp_targetILNS1_3genE3ELNS1_11target_archE908ELNS1_3gpuE7ELNS1_3repE0EEENS1_30default_config_static_selectorELNS0_4arch9wavefront6targetE0EEEvS11_,"axG",@progbits,_ZN7rocprim17ROCPRIM_400000_NS6detail17trampoline_kernelINS0_14default_configENS1_21merge_config_selectorINS0_5tupleIJxxEEENS0_10empty_typeEEEZNS1_10merge_implIS3_NS0_12zip_iteratorINS5_IJN6thrust23THRUST_200600_302600_NS6detail15normal_iteratorINSC_10device_ptrIKxEEEESI_EEEEESK_NSA_INS5_IJNSC_16discard_iteratorINSC_11use_defaultEEESN_EEEEEPS7_SQ_SQ_NSC_11hip_rocprim7__merge17predicate_wrapperIxxNSC_4lessIxEEEEEE10hipError_tPvRmT0_T1_T2_T3_T4_T5_mmT6_P12ihipStream_tbEUlT_E0_NS1_11comp_targetILNS1_3genE3ELNS1_11target_archE908ELNS1_3gpuE7ELNS1_3repE0EEENS1_30default_config_static_selectorELNS0_4arch9wavefront6targetE0EEEvS11_,comdat
.Lfunc_end581:
	.size	_ZN7rocprim17ROCPRIM_400000_NS6detail17trampoline_kernelINS0_14default_configENS1_21merge_config_selectorINS0_5tupleIJxxEEENS0_10empty_typeEEEZNS1_10merge_implIS3_NS0_12zip_iteratorINS5_IJN6thrust23THRUST_200600_302600_NS6detail15normal_iteratorINSC_10device_ptrIKxEEEESI_EEEEESK_NSA_INS5_IJNSC_16discard_iteratorINSC_11use_defaultEEESN_EEEEEPS7_SQ_SQ_NSC_11hip_rocprim7__merge17predicate_wrapperIxxNSC_4lessIxEEEEEE10hipError_tPvRmT0_T1_T2_T3_T4_T5_mmT6_P12ihipStream_tbEUlT_E0_NS1_11comp_targetILNS1_3genE3ELNS1_11target_archE908ELNS1_3gpuE7ELNS1_3repE0EEENS1_30default_config_static_selectorELNS0_4arch9wavefront6targetE0EEEvS11_, .Lfunc_end581-_ZN7rocprim17ROCPRIM_400000_NS6detail17trampoline_kernelINS0_14default_configENS1_21merge_config_selectorINS0_5tupleIJxxEEENS0_10empty_typeEEEZNS1_10merge_implIS3_NS0_12zip_iteratorINS5_IJN6thrust23THRUST_200600_302600_NS6detail15normal_iteratorINSC_10device_ptrIKxEEEESI_EEEEESK_NSA_INS5_IJNSC_16discard_iteratorINSC_11use_defaultEEESN_EEEEEPS7_SQ_SQ_NSC_11hip_rocprim7__merge17predicate_wrapperIxxNSC_4lessIxEEEEEE10hipError_tPvRmT0_T1_T2_T3_T4_T5_mmT6_P12ihipStream_tbEUlT_E0_NS1_11comp_targetILNS1_3genE3ELNS1_11target_archE908ELNS1_3gpuE7ELNS1_3repE0EEENS1_30default_config_static_selectorELNS0_4arch9wavefront6targetE0EEEvS11_
                                        ; -- End function
	.set _ZN7rocprim17ROCPRIM_400000_NS6detail17trampoline_kernelINS0_14default_configENS1_21merge_config_selectorINS0_5tupleIJxxEEENS0_10empty_typeEEEZNS1_10merge_implIS3_NS0_12zip_iteratorINS5_IJN6thrust23THRUST_200600_302600_NS6detail15normal_iteratorINSC_10device_ptrIKxEEEESI_EEEEESK_NSA_INS5_IJNSC_16discard_iteratorINSC_11use_defaultEEESN_EEEEEPS7_SQ_SQ_NSC_11hip_rocprim7__merge17predicate_wrapperIxxNSC_4lessIxEEEEEE10hipError_tPvRmT0_T1_T2_T3_T4_T5_mmT6_P12ihipStream_tbEUlT_E0_NS1_11comp_targetILNS1_3genE3ELNS1_11target_archE908ELNS1_3gpuE7ELNS1_3repE0EEENS1_30default_config_static_selectorELNS0_4arch9wavefront6targetE0EEEvS11_.num_vgpr, 0
	.set _ZN7rocprim17ROCPRIM_400000_NS6detail17trampoline_kernelINS0_14default_configENS1_21merge_config_selectorINS0_5tupleIJxxEEENS0_10empty_typeEEEZNS1_10merge_implIS3_NS0_12zip_iteratorINS5_IJN6thrust23THRUST_200600_302600_NS6detail15normal_iteratorINSC_10device_ptrIKxEEEESI_EEEEESK_NSA_INS5_IJNSC_16discard_iteratorINSC_11use_defaultEEESN_EEEEEPS7_SQ_SQ_NSC_11hip_rocprim7__merge17predicate_wrapperIxxNSC_4lessIxEEEEEE10hipError_tPvRmT0_T1_T2_T3_T4_T5_mmT6_P12ihipStream_tbEUlT_E0_NS1_11comp_targetILNS1_3genE3ELNS1_11target_archE908ELNS1_3gpuE7ELNS1_3repE0EEENS1_30default_config_static_selectorELNS0_4arch9wavefront6targetE0EEEvS11_.num_agpr, 0
	.set _ZN7rocprim17ROCPRIM_400000_NS6detail17trampoline_kernelINS0_14default_configENS1_21merge_config_selectorINS0_5tupleIJxxEEENS0_10empty_typeEEEZNS1_10merge_implIS3_NS0_12zip_iteratorINS5_IJN6thrust23THRUST_200600_302600_NS6detail15normal_iteratorINSC_10device_ptrIKxEEEESI_EEEEESK_NSA_INS5_IJNSC_16discard_iteratorINSC_11use_defaultEEESN_EEEEEPS7_SQ_SQ_NSC_11hip_rocprim7__merge17predicate_wrapperIxxNSC_4lessIxEEEEEE10hipError_tPvRmT0_T1_T2_T3_T4_T5_mmT6_P12ihipStream_tbEUlT_E0_NS1_11comp_targetILNS1_3genE3ELNS1_11target_archE908ELNS1_3gpuE7ELNS1_3repE0EEENS1_30default_config_static_selectorELNS0_4arch9wavefront6targetE0EEEvS11_.numbered_sgpr, 0
	.set _ZN7rocprim17ROCPRIM_400000_NS6detail17trampoline_kernelINS0_14default_configENS1_21merge_config_selectorINS0_5tupleIJxxEEENS0_10empty_typeEEEZNS1_10merge_implIS3_NS0_12zip_iteratorINS5_IJN6thrust23THRUST_200600_302600_NS6detail15normal_iteratorINSC_10device_ptrIKxEEEESI_EEEEESK_NSA_INS5_IJNSC_16discard_iteratorINSC_11use_defaultEEESN_EEEEEPS7_SQ_SQ_NSC_11hip_rocprim7__merge17predicate_wrapperIxxNSC_4lessIxEEEEEE10hipError_tPvRmT0_T1_T2_T3_T4_T5_mmT6_P12ihipStream_tbEUlT_E0_NS1_11comp_targetILNS1_3genE3ELNS1_11target_archE908ELNS1_3gpuE7ELNS1_3repE0EEENS1_30default_config_static_selectorELNS0_4arch9wavefront6targetE0EEEvS11_.num_named_barrier, 0
	.set _ZN7rocprim17ROCPRIM_400000_NS6detail17trampoline_kernelINS0_14default_configENS1_21merge_config_selectorINS0_5tupleIJxxEEENS0_10empty_typeEEEZNS1_10merge_implIS3_NS0_12zip_iteratorINS5_IJN6thrust23THRUST_200600_302600_NS6detail15normal_iteratorINSC_10device_ptrIKxEEEESI_EEEEESK_NSA_INS5_IJNSC_16discard_iteratorINSC_11use_defaultEEESN_EEEEEPS7_SQ_SQ_NSC_11hip_rocprim7__merge17predicate_wrapperIxxNSC_4lessIxEEEEEE10hipError_tPvRmT0_T1_T2_T3_T4_T5_mmT6_P12ihipStream_tbEUlT_E0_NS1_11comp_targetILNS1_3genE3ELNS1_11target_archE908ELNS1_3gpuE7ELNS1_3repE0EEENS1_30default_config_static_selectorELNS0_4arch9wavefront6targetE0EEEvS11_.private_seg_size, 0
	.set _ZN7rocprim17ROCPRIM_400000_NS6detail17trampoline_kernelINS0_14default_configENS1_21merge_config_selectorINS0_5tupleIJxxEEENS0_10empty_typeEEEZNS1_10merge_implIS3_NS0_12zip_iteratorINS5_IJN6thrust23THRUST_200600_302600_NS6detail15normal_iteratorINSC_10device_ptrIKxEEEESI_EEEEESK_NSA_INS5_IJNSC_16discard_iteratorINSC_11use_defaultEEESN_EEEEEPS7_SQ_SQ_NSC_11hip_rocprim7__merge17predicate_wrapperIxxNSC_4lessIxEEEEEE10hipError_tPvRmT0_T1_T2_T3_T4_T5_mmT6_P12ihipStream_tbEUlT_E0_NS1_11comp_targetILNS1_3genE3ELNS1_11target_archE908ELNS1_3gpuE7ELNS1_3repE0EEENS1_30default_config_static_selectorELNS0_4arch9wavefront6targetE0EEEvS11_.uses_vcc, 0
	.set _ZN7rocprim17ROCPRIM_400000_NS6detail17trampoline_kernelINS0_14default_configENS1_21merge_config_selectorINS0_5tupleIJxxEEENS0_10empty_typeEEEZNS1_10merge_implIS3_NS0_12zip_iteratorINS5_IJN6thrust23THRUST_200600_302600_NS6detail15normal_iteratorINSC_10device_ptrIKxEEEESI_EEEEESK_NSA_INS5_IJNSC_16discard_iteratorINSC_11use_defaultEEESN_EEEEEPS7_SQ_SQ_NSC_11hip_rocprim7__merge17predicate_wrapperIxxNSC_4lessIxEEEEEE10hipError_tPvRmT0_T1_T2_T3_T4_T5_mmT6_P12ihipStream_tbEUlT_E0_NS1_11comp_targetILNS1_3genE3ELNS1_11target_archE908ELNS1_3gpuE7ELNS1_3repE0EEENS1_30default_config_static_selectorELNS0_4arch9wavefront6targetE0EEEvS11_.uses_flat_scratch, 0
	.set _ZN7rocprim17ROCPRIM_400000_NS6detail17trampoline_kernelINS0_14default_configENS1_21merge_config_selectorINS0_5tupleIJxxEEENS0_10empty_typeEEEZNS1_10merge_implIS3_NS0_12zip_iteratorINS5_IJN6thrust23THRUST_200600_302600_NS6detail15normal_iteratorINSC_10device_ptrIKxEEEESI_EEEEESK_NSA_INS5_IJNSC_16discard_iteratorINSC_11use_defaultEEESN_EEEEEPS7_SQ_SQ_NSC_11hip_rocprim7__merge17predicate_wrapperIxxNSC_4lessIxEEEEEE10hipError_tPvRmT0_T1_T2_T3_T4_T5_mmT6_P12ihipStream_tbEUlT_E0_NS1_11comp_targetILNS1_3genE3ELNS1_11target_archE908ELNS1_3gpuE7ELNS1_3repE0EEENS1_30default_config_static_selectorELNS0_4arch9wavefront6targetE0EEEvS11_.has_dyn_sized_stack, 0
	.set _ZN7rocprim17ROCPRIM_400000_NS6detail17trampoline_kernelINS0_14default_configENS1_21merge_config_selectorINS0_5tupleIJxxEEENS0_10empty_typeEEEZNS1_10merge_implIS3_NS0_12zip_iteratorINS5_IJN6thrust23THRUST_200600_302600_NS6detail15normal_iteratorINSC_10device_ptrIKxEEEESI_EEEEESK_NSA_INS5_IJNSC_16discard_iteratorINSC_11use_defaultEEESN_EEEEEPS7_SQ_SQ_NSC_11hip_rocprim7__merge17predicate_wrapperIxxNSC_4lessIxEEEEEE10hipError_tPvRmT0_T1_T2_T3_T4_T5_mmT6_P12ihipStream_tbEUlT_E0_NS1_11comp_targetILNS1_3genE3ELNS1_11target_archE908ELNS1_3gpuE7ELNS1_3repE0EEENS1_30default_config_static_selectorELNS0_4arch9wavefront6targetE0EEEvS11_.has_recursion, 0
	.set _ZN7rocprim17ROCPRIM_400000_NS6detail17trampoline_kernelINS0_14default_configENS1_21merge_config_selectorINS0_5tupleIJxxEEENS0_10empty_typeEEEZNS1_10merge_implIS3_NS0_12zip_iteratorINS5_IJN6thrust23THRUST_200600_302600_NS6detail15normal_iteratorINSC_10device_ptrIKxEEEESI_EEEEESK_NSA_INS5_IJNSC_16discard_iteratorINSC_11use_defaultEEESN_EEEEEPS7_SQ_SQ_NSC_11hip_rocprim7__merge17predicate_wrapperIxxNSC_4lessIxEEEEEE10hipError_tPvRmT0_T1_T2_T3_T4_T5_mmT6_P12ihipStream_tbEUlT_E0_NS1_11comp_targetILNS1_3genE3ELNS1_11target_archE908ELNS1_3gpuE7ELNS1_3repE0EEENS1_30default_config_static_selectorELNS0_4arch9wavefront6targetE0EEEvS11_.has_indirect_call, 0
	.section	.AMDGPU.csdata,"",@progbits
; Kernel info:
; codeLenInByte = 0
; TotalNumSgprs: 0
; NumVgprs: 0
; ScratchSize: 0
; MemoryBound: 0
; FloatMode: 240
; IeeeMode: 1
; LDSByteSize: 0 bytes/workgroup (compile time only)
; SGPRBlocks: 0
; VGPRBlocks: 0
; NumSGPRsForWavesPerEU: 1
; NumVGPRsForWavesPerEU: 1
; NamedBarCnt: 0
; Occupancy: 16
; WaveLimiterHint : 0
; COMPUTE_PGM_RSRC2:SCRATCH_EN: 0
; COMPUTE_PGM_RSRC2:USER_SGPR: 2
; COMPUTE_PGM_RSRC2:TRAP_HANDLER: 0
; COMPUTE_PGM_RSRC2:TGID_X_EN: 1
; COMPUTE_PGM_RSRC2:TGID_Y_EN: 0
; COMPUTE_PGM_RSRC2:TGID_Z_EN: 0
; COMPUTE_PGM_RSRC2:TIDIG_COMP_CNT: 0
	.section	.text._ZN7rocprim17ROCPRIM_400000_NS6detail17trampoline_kernelINS0_14default_configENS1_21merge_config_selectorINS0_5tupleIJxxEEENS0_10empty_typeEEEZNS1_10merge_implIS3_NS0_12zip_iteratorINS5_IJN6thrust23THRUST_200600_302600_NS6detail15normal_iteratorINSC_10device_ptrIKxEEEESI_EEEEESK_NSA_INS5_IJNSC_16discard_iteratorINSC_11use_defaultEEESN_EEEEEPS7_SQ_SQ_NSC_11hip_rocprim7__merge17predicate_wrapperIxxNSC_4lessIxEEEEEE10hipError_tPvRmT0_T1_T2_T3_T4_T5_mmT6_P12ihipStream_tbEUlT_E0_NS1_11comp_targetILNS1_3genE2ELNS1_11target_archE906ELNS1_3gpuE6ELNS1_3repE0EEENS1_30default_config_static_selectorELNS0_4arch9wavefront6targetE0EEEvS11_,"axG",@progbits,_ZN7rocprim17ROCPRIM_400000_NS6detail17trampoline_kernelINS0_14default_configENS1_21merge_config_selectorINS0_5tupleIJxxEEENS0_10empty_typeEEEZNS1_10merge_implIS3_NS0_12zip_iteratorINS5_IJN6thrust23THRUST_200600_302600_NS6detail15normal_iteratorINSC_10device_ptrIKxEEEESI_EEEEESK_NSA_INS5_IJNSC_16discard_iteratorINSC_11use_defaultEEESN_EEEEEPS7_SQ_SQ_NSC_11hip_rocprim7__merge17predicate_wrapperIxxNSC_4lessIxEEEEEE10hipError_tPvRmT0_T1_T2_T3_T4_T5_mmT6_P12ihipStream_tbEUlT_E0_NS1_11comp_targetILNS1_3genE2ELNS1_11target_archE906ELNS1_3gpuE6ELNS1_3repE0EEENS1_30default_config_static_selectorELNS0_4arch9wavefront6targetE0EEEvS11_,comdat
	.protected	_ZN7rocprim17ROCPRIM_400000_NS6detail17trampoline_kernelINS0_14default_configENS1_21merge_config_selectorINS0_5tupleIJxxEEENS0_10empty_typeEEEZNS1_10merge_implIS3_NS0_12zip_iteratorINS5_IJN6thrust23THRUST_200600_302600_NS6detail15normal_iteratorINSC_10device_ptrIKxEEEESI_EEEEESK_NSA_INS5_IJNSC_16discard_iteratorINSC_11use_defaultEEESN_EEEEEPS7_SQ_SQ_NSC_11hip_rocprim7__merge17predicate_wrapperIxxNSC_4lessIxEEEEEE10hipError_tPvRmT0_T1_T2_T3_T4_T5_mmT6_P12ihipStream_tbEUlT_E0_NS1_11comp_targetILNS1_3genE2ELNS1_11target_archE906ELNS1_3gpuE6ELNS1_3repE0EEENS1_30default_config_static_selectorELNS0_4arch9wavefront6targetE0EEEvS11_ ; -- Begin function _ZN7rocprim17ROCPRIM_400000_NS6detail17trampoline_kernelINS0_14default_configENS1_21merge_config_selectorINS0_5tupleIJxxEEENS0_10empty_typeEEEZNS1_10merge_implIS3_NS0_12zip_iteratorINS5_IJN6thrust23THRUST_200600_302600_NS6detail15normal_iteratorINSC_10device_ptrIKxEEEESI_EEEEESK_NSA_INS5_IJNSC_16discard_iteratorINSC_11use_defaultEEESN_EEEEEPS7_SQ_SQ_NSC_11hip_rocprim7__merge17predicate_wrapperIxxNSC_4lessIxEEEEEE10hipError_tPvRmT0_T1_T2_T3_T4_T5_mmT6_P12ihipStream_tbEUlT_E0_NS1_11comp_targetILNS1_3genE2ELNS1_11target_archE906ELNS1_3gpuE6ELNS1_3repE0EEENS1_30default_config_static_selectorELNS0_4arch9wavefront6targetE0EEEvS11_
	.globl	_ZN7rocprim17ROCPRIM_400000_NS6detail17trampoline_kernelINS0_14default_configENS1_21merge_config_selectorINS0_5tupleIJxxEEENS0_10empty_typeEEEZNS1_10merge_implIS3_NS0_12zip_iteratorINS5_IJN6thrust23THRUST_200600_302600_NS6detail15normal_iteratorINSC_10device_ptrIKxEEEESI_EEEEESK_NSA_INS5_IJNSC_16discard_iteratorINSC_11use_defaultEEESN_EEEEEPS7_SQ_SQ_NSC_11hip_rocprim7__merge17predicate_wrapperIxxNSC_4lessIxEEEEEE10hipError_tPvRmT0_T1_T2_T3_T4_T5_mmT6_P12ihipStream_tbEUlT_E0_NS1_11comp_targetILNS1_3genE2ELNS1_11target_archE906ELNS1_3gpuE6ELNS1_3repE0EEENS1_30default_config_static_selectorELNS0_4arch9wavefront6targetE0EEEvS11_
	.p2align	8
	.type	_ZN7rocprim17ROCPRIM_400000_NS6detail17trampoline_kernelINS0_14default_configENS1_21merge_config_selectorINS0_5tupleIJxxEEENS0_10empty_typeEEEZNS1_10merge_implIS3_NS0_12zip_iteratorINS5_IJN6thrust23THRUST_200600_302600_NS6detail15normal_iteratorINSC_10device_ptrIKxEEEESI_EEEEESK_NSA_INS5_IJNSC_16discard_iteratorINSC_11use_defaultEEESN_EEEEEPS7_SQ_SQ_NSC_11hip_rocprim7__merge17predicate_wrapperIxxNSC_4lessIxEEEEEE10hipError_tPvRmT0_T1_T2_T3_T4_T5_mmT6_P12ihipStream_tbEUlT_E0_NS1_11comp_targetILNS1_3genE2ELNS1_11target_archE906ELNS1_3gpuE6ELNS1_3repE0EEENS1_30default_config_static_selectorELNS0_4arch9wavefront6targetE0EEEvS11_,@function
_ZN7rocprim17ROCPRIM_400000_NS6detail17trampoline_kernelINS0_14default_configENS1_21merge_config_selectorINS0_5tupleIJxxEEENS0_10empty_typeEEEZNS1_10merge_implIS3_NS0_12zip_iteratorINS5_IJN6thrust23THRUST_200600_302600_NS6detail15normal_iteratorINSC_10device_ptrIKxEEEESI_EEEEESK_NSA_INS5_IJNSC_16discard_iteratorINSC_11use_defaultEEESN_EEEEEPS7_SQ_SQ_NSC_11hip_rocprim7__merge17predicate_wrapperIxxNSC_4lessIxEEEEEE10hipError_tPvRmT0_T1_T2_T3_T4_T5_mmT6_P12ihipStream_tbEUlT_E0_NS1_11comp_targetILNS1_3genE2ELNS1_11target_archE906ELNS1_3gpuE6ELNS1_3repE0EEENS1_30default_config_static_selectorELNS0_4arch9wavefront6targetE0EEEvS11_: ; @_ZN7rocprim17ROCPRIM_400000_NS6detail17trampoline_kernelINS0_14default_configENS1_21merge_config_selectorINS0_5tupleIJxxEEENS0_10empty_typeEEEZNS1_10merge_implIS3_NS0_12zip_iteratorINS5_IJN6thrust23THRUST_200600_302600_NS6detail15normal_iteratorINSC_10device_ptrIKxEEEESI_EEEEESK_NSA_INS5_IJNSC_16discard_iteratorINSC_11use_defaultEEESN_EEEEEPS7_SQ_SQ_NSC_11hip_rocprim7__merge17predicate_wrapperIxxNSC_4lessIxEEEEEE10hipError_tPvRmT0_T1_T2_T3_T4_T5_mmT6_P12ihipStream_tbEUlT_E0_NS1_11comp_targetILNS1_3genE2ELNS1_11target_archE906ELNS1_3gpuE6ELNS1_3repE0EEENS1_30default_config_static_selectorELNS0_4arch9wavefront6targetE0EEEvS11_
; %bb.0:
	.section	.rodata,"a",@progbits
	.p2align	6, 0x0
	.amdhsa_kernel _ZN7rocprim17ROCPRIM_400000_NS6detail17trampoline_kernelINS0_14default_configENS1_21merge_config_selectorINS0_5tupleIJxxEEENS0_10empty_typeEEEZNS1_10merge_implIS3_NS0_12zip_iteratorINS5_IJN6thrust23THRUST_200600_302600_NS6detail15normal_iteratorINSC_10device_ptrIKxEEEESI_EEEEESK_NSA_INS5_IJNSC_16discard_iteratorINSC_11use_defaultEEESN_EEEEEPS7_SQ_SQ_NSC_11hip_rocprim7__merge17predicate_wrapperIxxNSC_4lessIxEEEEEE10hipError_tPvRmT0_T1_T2_T3_T4_T5_mmT6_P12ihipStream_tbEUlT_E0_NS1_11comp_targetILNS1_3genE2ELNS1_11target_archE906ELNS1_3gpuE6ELNS1_3repE0EEENS1_30default_config_static_selectorELNS0_4arch9wavefront6targetE0EEEvS11_
		.amdhsa_group_segment_fixed_size 0
		.amdhsa_private_segment_fixed_size 0
		.amdhsa_kernarg_size 128
		.amdhsa_user_sgpr_count 2
		.amdhsa_user_sgpr_dispatch_ptr 0
		.amdhsa_user_sgpr_queue_ptr 0
		.amdhsa_user_sgpr_kernarg_segment_ptr 1
		.amdhsa_user_sgpr_dispatch_id 0
		.amdhsa_user_sgpr_kernarg_preload_length 0
		.amdhsa_user_sgpr_kernarg_preload_offset 0
		.amdhsa_user_sgpr_private_segment_size 0
		.amdhsa_wavefront_size32 1
		.amdhsa_uses_dynamic_stack 0
		.amdhsa_enable_private_segment 0
		.amdhsa_system_sgpr_workgroup_id_x 1
		.amdhsa_system_sgpr_workgroup_id_y 0
		.amdhsa_system_sgpr_workgroup_id_z 0
		.amdhsa_system_sgpr_workgroup_info 0
		.amdhsa_system_vgpr_workitem_id 0
		.amdhsa_next_free_vgpr 1
		.amdhsa_next_free_sgpr 1
		.amdhsa_named_barrier_count 0
		.amdhsa_reserve_vcc 0
		.amdhsa_float_round_mode_32 0
		.amdhsa_float_round_mode_16_64 0
		.amdhsa_float_denorm_mode_32 3
		.amdhsa_float_denorm_mode_16_64 3
		.amdhsa_fp16_overflow 0
		.amdhsa_memory_ordered 1
		.amdhsa_forward_progress 1
		.amdhsa_inst_pref_size 0
		.amdhsa_round_robin_scheduling 0
		.amdhsa_exception_fp_ieee_invalid_op 0
		.amdhsa_exception_fp_denorm_src 0
		.amdhsa_exception_fp_ieee_div_zero 0
		.amdhsa_exception_fp_ieee_overflow 0
		.amdhsa_exception_fp_ieee_underflow 0
		.amdhsa_exception_fp_ieee_inexact 0
		.amdhsa_exception_int_div_zero 0
	.end_amdhsa_kernel
	.section	.text._ZN7rocprim17ROCPRIM_400000_NS6detail17trampoline_kernelINS0_14default_configENS1_21merge_config_selectorINS0_5tupleIJxxEEENS0_10empty_typeEEEZNS1_10merge_implIS3_NS0_12zip_iteratorINS5_IJN6thrust23THRUST_200600_302600_NS6detail15normal_iteratorINSC_10device_ptrIKxEEEESI_EEEEESK_NSA_INS5_IJNSC_16discard_iteratorINSC_11use_defaultEEESN_EEEEEPS7_SQ_SQ_NSC_11hip_rocprim7__merge17predicate_wrapperIxxNSC_4lessIxEEEEEE10hipError_tPvRmT0_T1_T2_T3_T4_T5_mmT6_P12ihipStream_tbEUlT_E0_NS1_11comp_targetILNS1_3genE2ELNS1_11target_archE906ELNS1_3gpuE6ELNS1_3repE0EEENS1_30default_config_static_selectorELNS0_4arch9wavefront6targetE0EEEvS11_,"axG",@progbits,_ZN7rocprim17ROCPRIM_400000_NS6detail17trampoline_kernelINS0_14default_configENS1_21merge_config_selectorINS0_5tupleIJxxEEENS0_10empty_typeEEEZNS1_10merge_implIS3_NS0_12zip_iteratorINS5_IJN6thrust23THRUST_200600_302600_NS6detail15normal_iteratorINSC_10device_ptrIKxEEEESI_EEEEESK_NSA_INS5_IJNSC_16discard_iteratorINSC_11use_defaultEEESN_EEEEEPS7_SQ_SQ_NSC_11hip_rocprim7__merge17predicate_wrapperIxxNSC_4lessIxEEEEEE10hipError_tPvRmT0_T1_T2_T3_T4_T5_mmT6_P12ihipStream_tbEUlT_E0_NS1_11comp_targetILNS1_3genE2ELNS1_11target_archE906ELNS1_3gpuE6ELNS1_3repE0EEENS1_30default_config_static_selectorELNS0_4arch9wavefront6targetE0EEEvS11_,comdat
.Lfunc_end582:
	.size	_ZN7rocprim17ROCPRIM_400000_NS6detail17trampoline_kernelINS0_14default_configENS1_21merge_config_selectorINS0_5tupleIJxxEEENS0_10empty_typeEEEZNS1_10merge_implIS3_NS0_12zip_iteratorINS5_IJN6thrust23THRUST_200600_302600_NS6detail15normal_iteratorINSC_10device_ptrIKxEEEESI_EEEEESK_NSA_INS5_IJNSC_16discard_iteratorINSC_11use_defaultEEESN_EEEEEPS7_SQ_SQ_NSC_11hip_rocprim7__merge17predicate_wrapperIxxNSC_4lessIxEEEEEE10hipError_tPvRmT0_T1_T2_T3_T4_T5_mmT6_P12ihipStream_tbEUlT_E0_NS1_11comp_targetILNS1_3genE2ELNS1_11target_archE906ELNS1_3gpuE6ELNS1_3repE0EEENS1_30default_config_static_selectorELNS0_4arch9wavefront6targetE0EEEvS11_, .Lfunc_end582-_ZN7rocprim17ROCPRIM_400000_NS6detail17trampoline_kernelINS0_14default_configENS1_21merge_config_selectorINS0_5tupleIJxxEEENS0_10empty_typeEEEZNS1_10merge_implIS3_NS0_12zip_iteratorINS5_IJN6thrust23THRUST_200600_302600_NS6detail15normal_iteratorINSC_10device_ptrIKxEEEESI_EEEEESK_NSA_INS5_IJNSC_16discard_iteratorINSC_11use_defaultEEESN_EEEEEPS7_SQ_SQ_NSC_11hip_rocprim7__merge17predicate_wrapperIxxNSC_4lessIxEEEEEE10hipError_tPvRmT0_T1_T2_T3_T4_T5_mmT6_P12ihipStream_tbEUlT_E0_NS1_11comp_targetILNS1_3genE2ELNS1_11target_archE906ELNS1_3gpuE6ELNS1_3repE0EEENS1_30default_config_static_selectorELNS0_4arch9wavefront6targetE0EEEvS11_
                                        ; -- End function
	.set _ZN7rocprim17ROCPRIM_400000_NS6detail17trampoline_kernelINS0_14default_configENS1_21merge_config_selectorINS0_5tupleIJxxEEENS0_10empty_typeEEEZNS1_10merge_implIS3_NS0_12zip_iteratorINS5_IJN6thrust23THRUST_200600_302600_NS6detail15normal_iteratorINSC_10device_ptrIKxEEEESI_EEEEESK_NSA_INS5_IJNSC_16discard_iteratorINSC_11use_defaultEEESN_EEEEEPS7_SQ_SQ_NSC_11hip_rocprim7__merge17predicate_wrapperIxxNSC_4lessIxEEEEEE10hipError_tPvRmT0_T1_T2_T3_T4_T5_mmT6_P12ihipStream_tbEUlT_E0_NS1_11comp_targetILNS1_3genE2ELNS1_11target_archE906ELNS1_3gpuE6ELNS1_3repE0EEENS1_30default_config_static_selectorELNS0_4arch9wavefront6targetE0EEEvS11_.num_vgpr, 0
	.set _ZN7rocprim17ROCPRIM_400000_NS6detail17trampoline_kernelINS0_14default_configENS1_21merge_config_selectorINS0_5tupleIJxxEEENS0_10empty_typeEEEZNS1_10merge_implIS3_NS0_12zip_iteratorINS5_IJN6thrust23THRUST_200600_302600_NS6detail15normal_iteratorINSC_10device_ptrIKxEEEESI_EEEEESK_NSA_INS5_IJNSC_16discard_iteratorINSC_11use_defaultEEESN_EEEEEPS7_SQ_SQ_NSC_11hip_rocprim7__merge17predicate_wrapperIxxNSC_4lessIxEEEEEE10hipError_tPvRmT0_T1_T2_T3_T4_T5_mmT6_P12ihipStream_tbEUlT_E0_NS1_11comp_targetILNS1_3genE2ELNS1_11target_archE906ELNS1_3gpuE6ELNS1_3repE0EEENS1_30default_config_static_selectorELNS0_4arch9wavefront6targetE0EEEvS11_.num_agpr, 0
	.set _ZN7rocprim17ROCPRIM_400000_NS6detail17trampoline_kernelINS0_14default_configENS1_21merge_config_selectorINS0_5tupleIJxxEEENS0_10empty_typeEEEZNS1_10merge_implIS3_NS0_12zip_iteratorINS5_IJN6thrust23THRUST_200600_302600_NS6detail15normal_iteratorINSC_10device_ptrIKxEEEESI_EEEEESK_NSA_INS5_IJNSC_16discard_iteratorINSC_11use_defaultEEESN_EEEEEPS7_SQ_SQ_NSC_11hip_rocprim7__merge17predicate_wrapperIxxNSC_4lessIxEEEEEE10hipError_tPvRmT0_T1_T2_T3_T4_T5_mmT6_P12ihipStream_tbEUlT_E0_NS1_11comp_targetILNS1_3genE2ELNS1_11target_archE906ELNS1_3gpuE6ELNS1_3repE0EEENS1_30default_config_static_selectorELNS0_4arch9wavefront6targetE0EEEvS11_.numbered_sgpr, 0
	.set _ZN7rocprim17ROCPRIM_400000_NS6detail17trampoline_kernelINS0_14default_configENS1_21merge_config_selectorINS0_5tupleIJxxEEENS0_10empty_typeEEEZNS1_10merge_implIS3_NS0_12zip_iteratorINS5_IJN6thrust23THRUST_200600_302600_NS6detail15normal_iteratorINSC_10device_ptrIKxEEEESI_EEEEESK_NSA_INS5_IJNSC_16discard_iteratorINSC_11use_defaultEEESN_EEEEEPS7_SQ_SQ_NSC_11hip_rocprim7__merge17predicate_wrapperIxxNSC_4lessIxEEEEEE10hipError_tPvRmT0_T1_T2_T3_T4_T5_mmT6_P12ihipStream_tbEUlT_E0_NS1_11comp_targetILNS1_3genE2ELNS1_11target_archE906ELNS1_3gpuE6ELNS1_3repE0EEENS1_30default_config_static_selectorELNS0_4arch9wavefront6targetE0EEEvS11_.num_named_barrier, 0
	.set _ZN7rocprim17ROCPRIM_400000_NS6detail17trampoline_kernelINS0_14default_configENS1_21merge_config_selectorINS0_5tupleIJxxEEENS0_10empty_typeEEEZNS1_10merge_implIS3_NS0_12zip_iteratorINS5_IJN6thrust23THRUST_200600_302600_NS6detail15normal_iteratorINSC_10device_ptrIKxEEEESI_EEEEESK_NSA_INS5_IJNSC_16discard_iteratorINSC_11use_defaultEEESN_EEEEEPS7_SQ_SQ_NSC_11hip_rocprim7__merge17predicate_wrapperIxxNSC_4lessIxEEEEEE10hipError_tPvRmT0_T1_T2_T3_T4_T5_mmT6_P12ihipStream_tbEUlT_E0_NS1_11comp_targetILNS1_3genE2ELNS1_11target_archE906ELNS1_3gpuE6ELNS1_3repE0EEENS1_30default_config_static_selectorELNS0_4arch9wavefront6targetE0EEEvS11_.private_seg_size, 0
	.set _ZN7rocprim17ROCPRIM_400000_NS6detail17trampoline_kernelINS0_14default_configENS1_21merge_config_selectorINS0_5tupleIJxxEEENS0_10empty_typeEEEZNS1_10merge_implIS3_NS0_12zip_iteratorINS5_IJN6thrust23THRUST_200600_302600_NS6detail15normal_iteratorINSC_10device_ptrIKxEEEESI_EEEEESK_NSA_INS5_IJNSC_16discard_iteratorINSC_11use_defaultEEESN_EEEEEPS7_SQ_SQ_NSC_11hip_rocprim7__merge17predicate_wrapperIxxNSC_4lessIxEEEEEE10hipError_tPvRmT0_T1_T2_T3_T4_T5_mmT6_P12ihipStream_tbEUlT_E0_NS1_11comp_targetILNS1_3genE2ELNS1_11target_archE906ELNS1_3gpuE6ELNS1_3repE0EEENS1_30default_config_static_selectorELNS0_4arch9wavefront6targetE0EEEvS11_.uses_vcc, 0
	.set _ZN7rocprim17ROCPRIM_400000_NS6detail17trampoline_kernelINS0_14default_configENS1_21merge_config_selectorINS0_5tupleIJxxEEENS0_10empty_typeEEEZNS1_10merge_implIS3_NS0_12zip_iteratorINS5_IJN6thrust23THRUST_200600_302600_NS6detail15normal_iteratorINSC_10device_ptrIKxEEEESI_EEEEESK_NSA_INS5_IJNSC_16discard_iteratorINSC_11use_defaultEEESN_EEEEEPS7_SQ_SQ_NSC_11hip_rocprim7__merge17predicate_wrapperIxxNSC_4lessIxEEEEEE10hipError_tPvRmT0_T1_T2_T3_T4_T5_mmT6_P12ihipStream_tbEUlT_E0_NS1_11comp_targetILNS1_3genE2ELNS1_11target_archE906ELNS1_3gpuE6ELNS1_3repE0EEENS1_30default_config_static_selectorELNS0_4arch9wavefront6targetE0EEEvS11_.uses_flat_scratch, 0
	.set _ZN7rocprim17ROCPRIM_400000_NS6detail17trampoline_kernelINS0_14default_configENS1_21merge_config_selectorINS0_5tupleIJxxEEENS0_10empty_typeEEEZNS1_10merge_implIS3_NS0_12zip_iteratorINS5_IJN6thrust23THRUST_200600_302600_NS6detail15normal_iteratorINSC_10device_ptrIKxEEEESI_EEEEESK_NSA_INS5_IJNSC_16discard_iteratorINSC_11use_defaultEEESN_EEEEEPS7_SQ_SQ_NSC_11hip_rocprim7__merge17predicate_wrapperIxxNSC_4lessIxEEEEEE10hipError_tPvRmT0_T1_T2_T3_T4_T5_mmT6_P12ihipStream_tbEUlT_E0_NS1_11comp_targetILNS1_3genE2ELNS1_11target_archE906ELNS1_3gpuE6ELNS1_3repE0EEENS1_30default_config_static_selectorELNS0_4arch9wavefront6targetE0EEEvS11_.has_dyn_sized_stack, 0
	.set _ZN7rocprim17ROCPRIM_400000_NS6detail17trampoline_kernelINS0_14default_configENS1_21merge_config_selectorINS0_5tupleIJxxEEENS0_10empty_typeEEEZNS1_10merge_implIS3_NS0_12zip_iteratorINS5_IJN6thrust23THRUST_200600_302600_NS6detail15normal_iteratorINSC_10device_ptrIKxEEEESI_EEEEESK_NSA_INS5_IJNSC_16discard_iteratorINSC_11use_defaultEEESN_EEEEEPS7_SQ_SQ_NSC_11hip_rocprim7__merge17predicate_wrapperIxxNSC_4lessIxEEEEEE10hipError_tPvRmT0_T1_T2_T3_T4_T5_mmT6_P12ihipStream_tbEUlT_E0_NS1_11comp_targetILNS1_3genE2ELNS1_11target_archE906ELNS1_3gpuE6ELNS1_3repE0EEENS1_30default_config_static_selectorELNS0_4arch9wavefront6targetE0EEEvS11_.has_recursion, 0
	.set _ZN7rocprim17ROCPRIM_400000_NS6detail17trampoline_kernelINS0_14default_configENS1_21merge_config_selectorINS0_5tupleIJxxEEENS0_10empty_typeEEEZNS1_10merge_implIS3_NS0_12zip_iteratorINS5_IJN6thrust23THRUST_200600_302600_NS6detail15normal_iteratorINSC_10device_ptrIKxEEEESI_EEEEESK_NSA_INS5_IJNSC_16discard_iteratorINSC_11use_defaultEEESN_EEEEEPS7_SQ_SQ_NSC_11hip_rocprim7__merge17predicate_wrapperIxxNSC_4lessIxEEEEEE10hipError_tPvRmT0_T1_T2_T3_T4_T5_mmT6_P12ihipStream_tbEUlT_E0_NS1_11comp_targetILNS1_3genE2ELNS1_11target_archE906ELNS1_3gpuE6ELNS1_3repE0EEENS1_30default_config_static_selectorELNS0_4arch9wavefront6targetE0EEEvS11_.has_indirect_call, 0
	.section	.AMDGPU.csdata,"",@progbits
; Kernel info:
; codeLenInByte = 0
; TotalNumSgprs: 0
; NumVgprs: 0
; ScratchSize: 0
; MemoryBound: 0
; FloatMode: 240
; IeeeMode: 1
; LDSByteSize: 0 bytes/workgroup (compile time only)
; SGPRBlocks: 0
; VGPRBlocks: 0
; NumSGPRsForWavesPerEU: 1
; NumVGPRsForWavesPerEU: 1
; NamedBarCnt: 0
; Occupancy: 16
; WaveLimiterHint : 0
; COMPUTE_PGM_RSRC2:SCRATCH_EN: 0
; COMPUTE_PGM_RSRC2:USER_SGPR: 2
; COMPUTE_PGM_RSRC2:TRAP_HANDLER: 0
; COMPUTE_PGM_RSRC2:TGID_X_EN: 1
; COMPUTE_PGM_RSRC2:TGID_Y_EN: 0
; COMPUTE_PGM_RSRC2:TGID_Z_EN: 0
; COMPUTE_PGM_RSRC2:TIDIG_COMP_CNT: 0
	.section	.text._ZN7rocprim17ROCPRIM_400000_NS6detail17trampoline_kernelINS0_14default_configENS1_21merge_config_selectorINS0_5tupleIJxxEEENS0_10empty_typeEEEZNS1_10merge_implIS3_NS0_12zip_iteratorINS5_IJN6thrust23THRUST_200600_302600_NS6detail15normal_iteratorINSC_10device_ptrIKxEEEESI_EEEEESK_NSA_INS5_IJNSC_16discard_iteratorINSC_11use_defaultEEESN_EEEEEPS7_SQ_SQ_NSC_11hip_rocprim7__merge17predicate_wrapperIxxNSC_4lessIxEEEEEE10hipError_tPvRmT0_T1_T2_T3_T4_T5_mmT6_P12ihipStream_tbEUlT_E0_NS1_11comp_targetILNS1_3genE10ELNS1_11target_archE1201ELNS1_3gpuE5ELNS1_3repE0EEENS1_30default_config_static_selectorELNS0_4arch9wavefront6targetE0EEEvS11_,"axG",@progbits,_ZN7rocprim17ROCPRIM_400000_NS6detail17trampoline_kernelINS0_14default_configENS1_21merge_config_selectorINS0_5tupleIJxxEEENS0_10empty_typeEEEZNS1_10merge_implIS3_NS0_12zip_iteratorINS5_IJN6thrust23THRUST_200600_302600_NS6detail15normal_iteratorINSC_10device_ptrIKxEEEESI_EEEEESK_NSA_INS5_IJNSC_16discard_iteratorINSC_11use_defaultEEESN_EEEEEPS7_SQ_SQ_NSC_11hip_rocprim7__merge17predicate_wrapperIxxNSC_4lessIxEEEEEE10hipError_tPvRmT0_T1_T2_T3_T4_T5_mmT6_P12ihipStream_tbEUlT_E0_NS1_11comp_targetILNS1_3genE10ELNS1_11target_archE1201ELNS1_3gpuE5ELNS1_3repE0EEENS1_30default_config_static_selectorELNS0_4arch9wavefront6targetE0EEEvS11_,comdat
	.protected	_ZN7rocprim17ROCPRIM_400000_NS6detail17trampoline_kernelINS0_14default_configENS1_21merge_config_selectorINS0_5tupleIJxxEEENS0_10empty_typeEEEZNS1_10merge_implIS3_NS0_12zip_iteratorINS5_IJN6thrust23THRUST_200600_302600_NS6detail15normal_iteratorINSC_10device_ptrIKxEEEESI_EEEEESK_NSA_INS5_IJNSC_16discard_iteratorINSC_11use_defaultEEESN_EEEEEPS7_SQ_SQ_NSC_11hip_rocprim7__merge17predicate_wrapperIxxNSC_4lessIxEEEEEE10hipError_tPvRmT0_T1_T2_T3_T4_T5_mmT6_P12ihipStream_tbEUlT_E0_NS1_11comp_targetILNS1_3genE10ELNS1_11target_archE1201ELNS1_3gpuE5ELNS1_3repE0EEENS1_30default_config_static_selectorELNS0_4arch9wavefront6targetE0EEEvS11_ ; -- Begin function _ZN7rocprim17ROCPRIM_400000_NS6detail17trampoline_kernelINS0_14default_configENS1_21merge_config_selectorINS0_5tupleIJxxEEENS0_10empty_typeEEEZNS1_10merge_implIS3_NS0_12zip_iteratorINS5_IJN6thrust23THRUST_200600_302600_NS6detail15normal_iteratorINSC_10device_ptrIKxEEEESI_EEEEESK_NSA_INS5_IJNSC_16discard_iteratorINSC_11use_defaultEEESN_EEEEEPS7_SQ_SQ_NSC_11hip_rocprim7__merge17predicate_wrapperIxxNSC_4lessIxEEEEEE10hipError_tPvRmT0_T1_T2_T3_T4_T5_mmT6_P12ihipStream_tbEUlT_E0_NS1_11comp_targetILNS1_3genE10ELNS1_11target_archE1201ELNS1_3gpuE5ELNS1_3repE0EEENS1_30default_config_static_selectorELNS0_4arch9wavefront6targetE0EEEvS11_
	.globl	_ZN7rocprim17ROCPRIM_400000_NS6detail17trampoline_kernelINS0_14default_configENS1_21merge_config_selectorINS0_5tupleIJxxEEENS0_10empty_typeEEEZNS1_10merge_implIS3_NS0_12zip_iteratorINS5_IJN6thrust23THRUST_200600_302600_NS6detail15normal_iteratorINSC_10device_ptrIKxEEEESI_EEEEESK_NSA_INS5_IJNSC_16discard_iteratorINSC_11use_defaultEEESN_EEEEEPS7_SQ_SQ_NSC_11hip_rocprim7__merge17predicate_wrapperIxxNSC_4lessIxEEEEEE10hipError_tPvRmT0_T1_T2_T3_T4_T5_mmT6_P12ihipStream_tbEUlT_E0_NS1_11comp_targetILNS1_3genE10ELNS1_11target_archE1201ELNS1_3gpuE5ELNS1_3repE0EEENS1_30default_config_static_selectorELNS0_4arch9wavefront6targetE0EEEvS11_
	.p2align	8
	.type	_ZN7rocprim17ROCPRIM_400000_NS6detail17trampoline_kernelINS0_14default_configENS1_21merge_config_selectorINS0_5tupleIJxxEEENS0_10empty_typeEEEZNS1_10merge_implIS3_NS0_12zip_iteratorINS5_IJN6thrust23THRUST_200600_302600_NS6detail15normal_iteratorINSC_10device_ptrIKxEEEESI_EEEEESK_NSA_INS5_IJNSC_16discard_iteratorINSC_11use_defaultEEESN_EEEEEPS7_SQ_SQ_NSC_11hip_rocprim7__merge17predicate_wrapperIxxNSC_4lessIxEEEEEE10hipError_tPvRmT0_T1_T2_T3_T4_T5_mmT6_P12ihipStream_tbEUlT_E0_NS1_11comp_targetILNS1_3genE10ELNS1_11target_archE1201ELNS1_3gpuE5ELNS1_3repE0EEENS1_30default_config_static_selectorELNS0_4arch9wavefront6targetE0EEEvS11_,@function
_ZN7rocprim17ROCPRIM_400000_NS6detail17trampoline_kernelINS0_14default_configENS1_21merge_config_selectorINS0_5tupleIJxxEEENS0_10empty_typeEEEZNS1_10merge_implIS3_NS0_12zip_iteratorINS5_IJN6thrust23THRUST_200600_302600_NS6detail15normal_iteratorINSC_10device_ptrIKxEEEESI_EEEEESK_NSA_INS5_IJNSC_16discard_iteratorINSC_11use_defaultEEESN_EEEEEPS7_SQ_SQ_NSC_11hip_rocprim7__merge17predicate_wrapperIxxNSC_4lessIxEEEEEE10hipError_tPvRmT0_T1_T2_T3_T4_T5_mmT6_P12ihipStream_tbEUlT_E0_NS1_11comp_targetILNS1_3genE10ELNS1_11target_archE1201ELNS1_3gpuE5ELNS1_3repE0EEENS1_30default_config_static_selectorELNS0_4arch9wavefront6targetE0EEEvS11_: ; @_ZN7rocprim17ROCPRIM_400000_NS6detail17trampoline_kernelINS0_14default_configENS1_21merge_config_selectorINS0_5tupleIJxxEEENS0_10empty_typeEEEZNS1_10merge_implIS3_NS0_12zip_iteratorINS5_IJN6thrust23THRUST_200600_302600_NS6detail15normal_iteratorINSC_10device_ptrIKxEEEESI_EEEEESK_NSA_INS5_IJNSC_16discard_iteratorINSC_11use_defaultEEESN_EEEEEPS7_SQ_SQ_NSC_11hip_rocprim7__merge17predicate_wrapperIxxNSC_4lessIxEEEEEE10hipError_tPvRmT0_T1_T2_T3_T4_T5_mmT6_P12ihipStream_tbEUlT_E0_NS1_11comp_targetILNS1_3genE10ELNS1_11target_archE1201ELNS1_3gpuE5ELNS1_3repE0EEENS1_30default_config_static_selectorELNS0_4arch9wavefront6targetE0EEEvS11_
; %bb.0:
	.section	.rodata,"a",@progbits
	.p2align	6, 0x0
	.amdhsa_kernel _ZN7rocprim17ROCPRIM_400000_NS6detail17trampoline_kernelINS0_14default_configENS1_21merge_config_selectorINS0_5tupleIJxxEEENS0_10empty_typeEEEZNS1_10merge_implIS3_NS0_12zip_iteratorINS5_IJN6thrust23THRUST_200600_302600_NS6detail15normal_iteratorINSC_10device_ptrIKxEEEESI_EEEEESK_NSA_INS5_IJNSC_16discard_iteratorINSC_11use_defaultEEESN_EEEEEPS7_SQ_SQ_NSC_11hip_rocprim7__merge17predicate_wrapperIxxNSC_4lessIxEEEEEE10hipError_tPvRmT0_T1_T2_T3_T4_T5_mmT6_P12ihipStream_tbEUlT_E0_NS1_11comp_targetILNS1_3genE10ELNS1_11target_archE1201ELNS1_3gpuE5ELNS1_3repE0EEENS1_30default_config_static_selectorELNS0_4arch9wavefront6targetE0EEEvS11_
		.amdhsa_group_segment_fixed_size 0
		.amdhsa_private_segment_fixed_size 0
		.amdhsa_kernarg_size 128
		.amdhsa_user_sgpr_count 2
		.amdhsa_user_sgpr_dispatch_ptr 0
		.amdhsa_user_sgpr_queue_ptr 0
		.amdhsa_user_sgpr_kernarg_segment_ptr 1
		.amdhsa_user_sgpr_dispatch_id 0
		.amdhsa_user_sgpr_kernarg_preload_length 0
		.amdhsa_user_sgpr_kernarg_preload_offset 0
		.amdhsa_user_sgpr_private_segment_size 0
		.amdhsa_wavefront_size32 1
		.amdhsa_uses_dynamic_stack 0
		.amdhsa_enable_private_segment 0
		.amdhsa_system_sgpr_workgroup_id_x 1
		.amdhsa_system_sgpr_workgroup_id_y 0
		.amdhsa_system_sgpr_workgroup_id_z 0
		.amdhsa_system_sgpr_workgroup_info 0
		.amdhsa_system_vgpr_workitem_id 0
		.amdhsa_next_free_vgpr 1
		.amdhsa_next_free_sgpr 1
		.amdhsa_named_barrier_count 0
		.amdhsa_reserve_vcc 0
		.amdhsa_float_round_mode_32 0
		.amdhsa_float_round_mode_16_64 0
		.amdhsa_float_denorm_mode_32 3
		.amdhsa_float_denorm_mode_16_64 3
		.amdhsa_fp16_overflow 0
		.amdhsa_memory_ordered 1
		.amdhsa_forward_progress 1
		.amdhsa_inst_pref_size 0
		.amdhsa_round_robin_scheduling 0
		.amdhsa_exception_fp_ieee_invalid_op 0
		.amdhsa_exception_fp_denorm_src 0
		.amdhsa_exception_fp_ieee_div_zero 0
		.amdhsa_exception_fp_ieee_overflow 0
		.amdhsa_exception_fp_ieee_underflow 0
		.amdhsa_exception_fp_ieee_inexact 0
		.amdhsa_exception_int_div_zero 0
	.end_amdhsa_kernel
	.section	.text._ZN7rocprim17ROCPRIM_400000_NS6detail17trampoline_kernelINS0_14default_configENS1_21merge_config_selectorINS0_5tupleIJxxEEENS0_10empty_typeEEEZNS1_10merge_implIS3_NS0_12zip_iteratorINS5_IJN6thrust23THRUST_200600_302600_NS6detail15normal_iteratorINSC_10device_ptrIKxEEEESI_EEEEESK_NSA_INS5_IJNSC_16discard_iteratorINSC_11use_defaultEEESN_EEEEEPS7_SQ_SQ_NSC_11hip_rocprim7__merge17predicate_wrapperIxxNSC_4lessIxEEEEEE10hipError_tPvRmT0_T1_T2_T3_T4_T5_mmT6_P12ihipStream_tbEUlT_E0_NS1_11comp_targetILNS1_3genE10ELNS1_11target_archE1201ELNS1_3gpuE5ELNS1_3repE0EEENS1_30default_config_static_selectorELNS0_4arch9wavefront6targetE0EEEvS11_,"axG",@progbits,_ZN7rocprim17ROCPRIM_400000_NS6detail17trampoline_kernelINS0_14default_configENS1_21merge_config_selectorINS0_5tupleIJxxEEENS0_10empty_typeEEEZNS1_10merge_implIS3_NS0_12zip_iteratorINS5_IJN6thrust23THRUST_200600_302600_NS6detail15normal_iteratorINSC_10device_ptrIKxEEEESI_EEEEESK_NSA_INS5_IJNSC_16discard_iteratorINSC_11use_defaultEEESN_EEEEEPS7_SQ_SQ_NSC_11hip_rocprim7__merge17predicate_wrapperIxxNSC_4lessIxEEEEEE10hipError_tPvRmT0_T1_T2_T3_T4_T5_mmT6_P12ihipStream_tbEUlT_E0_NS1_11comp_targetILNS1_3genE10ELNS1_11target_archE1201ELNS1_3gpuE5ELNS1_3repE0EEENS1_30default_config_static_selectorELNS0_4arch9wavefront6targetE0EEEvS11_,comdat
.Lfunc_end583:
	.size	_ZN7rocprim17ROCPRIM_400000_NS6detail17trampoline_kernelINS0_14default_configENS1_21merge_config_selectorINS0_5tupleIJxxEEENS0_10empty_typeEEEZNS1_10merge_implIS3_NS0_12zip_iteratorINS5_IJN6thrust23THRUST_200600_302600_NS6detail15normal_iteratorINSC_10device_ptrIKxEEEESI_EEEEESK_NSA_INS5_IJNSC_16discard_iteratorINSC_11use_defaultEEESN_EEEEEPS7_SQ_SQ_NSC_11hip_rocprim7__merge17predicate_wrapperIxxNSC_4lessIxEEEEEE10hipError_tPvRmT0_T1_T2_T3_T4_T5_mmT6_P12ihipStream_tbEUlT_E0_NS1_11comp_targetILNS1_3genE10ELNS1_11target_archE1201ELNS1_3gpuE5ELNS1_3repE0EEENS1_30default_config_static_selectorELNS0_4arch9wavefront6targetE0EEEvS11_, .Lfunc_end583-_ZN7rocprim17ROCPRIM_400000_NS6detail17trampoline_kernelINS0_14default_configENS1_21merge_config_selectorINS0_5tupleIJxxEEENS0_10empty_typeEEEZNS1_10merge_implIS3_NS0_12zip_iteratorINS5_IJN6thrust23THRUST_200600_302600_NS6detail15normal_iteratorINSC_10device_ptrIKxEEEESI_EEEEESK_NSA_INS5_IJNSC_16discard_iteratorINSC_11use_defaultEEESN_EEEEEPS7_SQ_SQ_NSC_11hip_rocprim7__merge17predicate_wrapperIxxNSC_4lessIxEEEEEE10hipError_tPvRmT0_T1_T2_T3_T4_T5_mmT6_P12ihipStream_tbEUlT_E0_NS1_11comp_targetILNS1_3genE10ELNS1_11target_archE1201ELNS1_3gpuE5ELNS1_3repE0EEENS1_30default_config_static_selectorELNS0_4arch9wavefront6targetE0EEEvS11_
                                        ; -- End function
	.set _ZN7rocprim17ROCPRIM_400000_NS6detail17trampoline_kernelINS0_14default_configENS1_21merge_config_selectorINS0_5tupleIJxxEEENS0_10empty_typeEEEZNS1_10merge_implIS3_NS0_12zip_iteratorINS5_IJN6thrust23THRUST_200600_302600_NS6detail15normal_iteratorINSC_10device_ptrIKxEEEESI_EEEEESK_NSA_INS5_IJNSC_16discard_iteratorINSC_11use_defaultEEESN_EEEEEPS7_SQ_SQ_NSC_11hip_rocprim7__merge17predicate_wrapperIxxNSC_4lessIxEEEEEE10hipError_tPvRmT0_T1_T2_T3_T4_T5_mmT6_P12ihipStream_tbEUlT_E0_NS1_11comp_targetILNS1_3genE10ELNS1_11target_archE1201ELNS1_3gpuE5ELNS1_3repE0EEENS1_30default_config_static_selectorELNS0_4arch9wavefront6targetE0EEEvS11_.num_vgpr, 0
	.set _ZN7rocprim17ROCPRIM_400000_NS6detail17trampoline_kernelINS0_14default_configENS1_21merge_config_selectorINS0_5tupleIJxxEEENS0_10empty_typeEEEZNS1_10merge_implIS3_NS0_12zip_iteratorINS5_IJN6thrust23THRUST_200600_302600_NS6detail15normal_iteratorINSC_10device_ptrIKxEEEESI_EEEEESK_NSA_INS5_IJNSC_16discard_iteratorINSC_11use_defaultEEESN_EEEEEPS7_SQ_SQ_NSC_11hip_rocprim7__merge17predicate_wrapperIxxNSC_4lessIxEEEEEE10hipError_tPvRmT0_T1_T2_T3_T4_T5_mmT6_P12ihipStream_tbEUlT_E0_NS1_11comp_targetILNS1_3genE10ELNS1_11target_archE1201ELNS1_3gpuE5ELNS1_3repE0EEENS1_30default_config_static_selectorELNS0_4arch9wavefront6targetE0EEEvS11_.num_agpr, 0
	.set _ZN7rocprim17ROCPRIM_400000_NS6detail17trampoline_kernelINS0_14default_configENS1_21merge_config_selectorINS0_5tupleIJxxEEENS0_10empty_typeEEEZNS1_10merge_implIS3_NS0_12zip_iteratorINS5_IJN6thrust23THRUST_200600_302600_NS6detail15normal_iteratorINSC_10device_ptrIKxEEEESI_EEEEESK_NSA_INS5_IJNSC_16discard_iteratorINSC_11use_defaultEEESN_EEEEEPS7_SQ_SQ_NSC_11hip_rocprim7__merge17predicate_wrapperIxxNSC_4lessIxEEEEEE10hipError_tPvRmT0_T1_T2_T3_T4_T5_mmT6_P12ihipStream_tbEUlT_E0_NS1_11comp_targetILNS1_3genE10ELNS1_11target_archE1201ELNS1_3gpuE5ELNS1_3repE0EEENS1_30default_config_static_selectorELNS0_4arch9wavefront6targetE0EEEvS11_.numbered_sgpr, 0
	.set _ZN7rocprim17ROCPRIM_400000_NS6detail17trampoline_kernelINS0_14default_configENS1_21merge_config_selectorINS0_5tupleIJxxEEENS0_10empty_typeEEEZNS1_10merge_implIS3_NS0_12zip_iteratorINS5_IJN6thrust23THRUST_200600_302600_NS6detail15normal_iteratorINSC_10device_ptrIKxEEEESI_EEEEESK_NSA_INS5_IJNSC_16discard_iteratorINSC_11use_defaultEEESN_EEEEEPS7_SQ_SQ_NSC_11hip_rocprim7__merge17predicate_wrapperIxxNSC_4lessIxEEEEEE10hipError_tPvRmT0_T1_T2_T3_T4_T5_mmT6_P12ihipStream_tbEUlT_E0_NS1_11comp_targetILNS1_3genE10ELNS1_11target_archE1201ELNS1_3gpuE5ELNS1_3repE0EEENS1_30default_config_static_selectorELNS0_4arch9wavefront6targetE0EEEvS11_.num_named_barrier, 0
	.set _ZN7rocprim17ROCPRIM_400000_NS6detail17trampoline_kernelINS0_14default_configENS1_21merge_config_selectorINS0_5tupleIJxxEEENS0_10empty_typeEEEZNS1_10merge_implIS3_NS0_12zip_iteratorINS5_IJN6thrust23THRUST_200600_302600_NS6detail15normal_iteratorINSC_10device_ptrIKxEEEESI_EEEEESK_NSA_INS5_IJNSC_16discard_iteratorINSC_11use_defaultEEESN_EEEEEPS7_SQ_SQ_NSC_11hip_rocprim7__merge17predicate_wrapperIxxNSC_4lessIxEEEEEE10hipError_tPvRmT0_T1_T2_T3_T4_T5_mmT6_P12ihipStream_tbEUlT_E0_NS1_11comp_targetILNS1_3genE10ELNS1_11target_archE1201ELNS1_3gpuE5ELNS1_3repE0EEENS1_30default_config_static_selectorELNS0_4arch9wavefront6targetE0EEEvS11_.private_seg_size, 0
	.set _ZN7rocprim17ROCPRIM_400000_NS6detail17trampoline_kernelINS0_14default_configENS1_21merge_config_selectorINS0_5tupleIJxxEEENS0_10empty_typeEEEZNS1_10merge_implIS3_NS0_12zip_iteratorINS5_IJN6thrust23THRUST_200600_302600_NS6detail15normal_iteratorINSC_10device_ptrIKxEEEESI_EEEEESK_NSA_INS5_IJNSC_16discard_iteratorINSC_11use_defaultEEESN_EEEEEPS7_SQ_SQ_NSC_11hip_rocprim7__merge17predicate_wrapperIxxNSC_4lessIxEEEEEE10hipError_tPvRmT0_T1_T2_T3_T4_T5_mmT6_P12ihipStream_tbEUlT_E0_NS1_11comp_targetILNS1_3genE10ELNS1_11target_archE1201ELNS1_3gpuE5ELNS1_3repE0EEENS1_30default_config_static_selectorELNS0_4arch9wavefront6targetE0EEEvS11_.uses_vcc, 0
	.set _ZN7rocprim17ROCPRIM_400000_NS6detail17trampoline_kernelINS0_14default_configENS1_21merge_config_selectorINS0_5tupleIJxxEEENS0_10empty_typeEEEZNS1_10merge_implIS3_NS0_12zip_iteratorINS5_IJN6thrust23THRUST_200600_302600_NS6detail15normal_iteratorINSC_10device_ptrIKxEEEESI_EEEEESK_NSA_INS5_IJNSC_16discard_iteratorINSC_11use_defaultEEESN_EEEEEPS7_SQ_SQ_NSC_11hip_rocprim7__merge17predicate_wrapperIxxNSC_4lessIxEEEEEE10hipError_tPvRmT0_T1_T2_T3_T4_T5_mmT6_P12ihipStream_tbEUlT_E0_NS1_11comp_targetILNS1_3genE10ELNS1_11target_archE1201ELNS1_3gpuE5ELNS1_3repE0EEENS1_30default_config_static_selectorELNS0_4arch9wavefront6targetE0EEEvS11_.uses_flat_scratch, 0
	.set _ZN7rocprim17ROCPRIM_400000_NS6detail17trampoline_kernelINS0_14default_configENS1_21merge_config_selectorINS0_5tupleIJxxEEENS0_10empty_typeEEEZNS1_10merge_implIS3_NS0_12zip_iteratorINS5_IJN6thrust23THRUST_200600_302600_NS6detail15normal_iteratorINSC_10device_ptrIKxEEEESI_EEEEESK_NSA_INS5_IJNSC_16discard_iteratorINSC_11use_defaultEEESN_EEEEEPS7_SQ_SQ_NSC_11hip_rocprim7__merge17predicate_wrapperIxxNSC_4lessIxEEEEEE10hipError_tPvRmT0_T1_T2_T3_T4_T5_mmT6_P12ihipStream_tbEUlT_E0_NS1_11comp_targetILNS1_3genE10ELNS1_11target_archE1201ELNS1_3gpuE5ELNS1_3repE0EEENS1_30default_config_static_selectorELNS0_4arch9wavefront6targetE0EEEvS11_.has_dyn_sized_stack, 0
	.set _ZN7rocprim17ROCPRIM_400000_NS6detail17trampoline_kernelINS0_14default_configENS1_21merge_config_selectorINS0_5tupleIJxxEEENS0_10empty_typeEEEZNS1_10merge_implIS3_NS0_12zip_iteratorINS5_IJN6thrust23THRUST_200600_302600_NS6detail15normal_iteratorINSC_10device_ptrIKxEEEESI_EEEEESK_NSA_INS5_IJNSC_16discard_iteratorINSC_11use_defaultEEESN_EEEEEPS7_SQ_SQ_NSC_11hip_rocprim7__merge17predicate_wrapperIxxNSC_4lessIxEEEEEE10hipError_tPvRmT0_T1_T2_T3_T4_T5_mmT6_P12ihipStream_tbEUlT_E0_NS1_11comp_targetILNS1_3genE10ELNS1_11target_archE1201ELNS1_3gpuE5ELNS1_3repE0EEENS1_30default_config_static_selectorELNS0_4arch9wavefront6targetE0EEEvS11_.has_recursion, 0
	.set _ZN7rocprim17ROCPRIM_400000_NS6detail17trampoline_kernelINS0_14default_configENS1_21merge_config_selectorINS0_5tupleIJxxEEENS0_10empty_typeEEEZNS1_10merge_implIS3_NS0_12zip_iteratorINS5_IJN6thrust23THRUST_200600_302600_NS6detail15normal_iteratorINSC_10device_ptrIKxEEEESI_EEEEESK_NSA_INS5_IJNSC_16discard_iteratorINSC_11use_defaultEEESN_EEEEEPS7_SQ_SQ_NSC_11hip_rocprim7__merge17predicate_wrapperIxxNSC_4lessIxEEEEEE10hipError_tPvRmT0_T1_T2_T3_T4_T5_mmT6_P12ihipStream_tbEUlT_E0_NS1_11comp_targetILNS1_3genE10ELNS1_11target_archE1201ELNS1_3gpuE5ELNS1_3repE0EEENS1_30default_config_static_selectorELNS0_4arch9wavefront6targetE0EEEvS11_.has_indirect_call, 0
	.section	.AMDGPU.csdata,"",@progbits
; Kernel info:
; codeLenInByte = 0
; TotalNumSgprs: 0
; NumVgprs: 0
; ScratchSize: 0
; MemoryBound: 0
; FloatMode: 240
; IeeeMode: 1
; LDSByteSize: 0 bytes/workgroup (compile time only)
; SGPRBlocks: 0
; VGPRBlocks: 0
; NumSGPRsForWavesPerEU: 1
; NumVGPRsForWavesPerEU: 1
; NamedBarCnt: 0
; Occupancy: 16
; WaveLimiterHint : 0
; COMPUTE_PGM_RSRC2:SCRATCH_EN: 0
; COMPUTE_PGM_RSRC2:USER_SGPR: 2
; COMPUTE_PGM_RSRC2:TRAP_HANDLER: 0
; COMPUTE_PGM_RSRC2:TGID_X_EN: 1
; COMPUTE_PGM_RSRC2:TGID_Y_EN: 0
; COMPUTE_PGM_RSRC2:TGID_Z_EN: 0
; COMPUTE_PGM_RSRC2:TIDIG_COMP_CNT: 0
	.section	.text._ZN7rocprim17ROCPRIM_400000_NS6detail17trampoline_kernelINS0_14default_configENS1_21merge_config_selectorINS0_5tupleIJxxEEENS0_10empty_typeEEEZNS1_10merge_implIS3_NS0_12zip_iteratorINS5_IJN6thrust23THRUST_200600_302600_NS6detail15normal_iteratorINSC_10device_ptrIKxEEEESI_EEEEESK_NSA_INS5_IJNSC_16discard_iteratorINSC_11use_defaultEEESN_EEEEEPS7_SQ_SQ_NSC_11hip_rocprim7__merge17predicate_wrapperIxxNSC_4lessIxEEEEEE10hipError_tPvRmT0_T1_T2_T3_T4_T5_mmT6_P12ihipStream_tbEUlT_E0_NS1_11comp_targetILNS1_3genE10ELNS1_11target_archE1200ELNS1_3gpuE4ELNS1_3repE0EEENS1_30default_config_static_selectorELNS0_4arch9wavefront6targetE0EEEvS11_,"axG",@progbits,_ZN7rocprim17ROCPRIM_400000_NS6detail17trampoline_kernelINS0_14default_configENS1_21merge_config_selectorINS0_5tupleIJxxEEENS0_10empty_typeEEEZNS1_10merge_implIS3_NS0_12zip_iteratorINS5_IJN6thrust23THRUST_200600_302600_NS6detail15normal_iteratorINSC_10device_ptrIKxEEEESI_EEEEESK_NSA_INS5_IJNSC_16discard_iteratorINSC_11use_defaultEEESN_EEEEEPS7_SQ_SQ_NSC_11hip_rocprim7__merge17predicate_wrapperIxxNSC_4lessIxEEEEEE10hipError_tPvRmT0_T1_T2_T3_T4_T5_mmT6_P12ihipStream_tbEUlT_E0_NS1_11comp_targetILNS1_3genE10ELNS1_11target_archE1200ELNS1_3gpuE4ELNS1_3repE0EEENS1_30default_config_static_selectorELNS0_4arch9wavefront6targetE0EEEvS11_,comdat
	.protected	_ZN7rocprim17ROCPRIM_400000_NS6detail17trampoline_kernelINS0_14default_configENS1_21merge_config_selectorINS0_5tupleIJxxEEENS0_10empty_typeEEEZNS1_10merge_implIS3_NS0_12zip_iteratorINS5_IJN6thrust23THRUST_200600_302600_NS6detail15normal_iteratorINSC_10device_ptrIKxEEEESI_EEEEESK_NSA_INS5_IJNSC_16discard_iteratorINSC_11use_defaultEEESN_EEEEEPS7_SQ_SQ_NSC_11hip_rocprim7__merge17predicate_wrapperIxxNSC_4lessIxEEEEEE10hipError_tPvRmT0_T1_T2_T3_T4_T5_mmT6_P12ihipStream_tbEUlT_E0_NS1_11comp_targetILNS1_3genE10ELNS1_11target_archE1200ELNS1_3gpuE4ELNS1_3repE0EEENS1_30default_config_static_selectorELNS0_4arch9wavefront6targetE0EEEvS11_ ; -- Begin function _ZN7rocprim17ROCPRIM_400000_NS6detail17trampoline_kernelINS0_14default_configENS1_21merge_config_selectorINS0_5tupleIJxxEEENS0_10empty_typeEEEZNS1_10merge_implIS3_NS0_12zip_iteratorINS5_IJN6thrust23THRUST_200600_302600_NS6detail15normal_iteratorINSC_10device_ptrIKxEEEESI_EEEEESK_NSA_INS5_IJNSC_16discard_iteratorINSC_11use_defaultEEESN_EEEEEPS7_SQ_SQ_NSC_11hip_rocprim7__merge17predicate_wrapperIxxNSC_4lessIxEEEEEE10hipError_tPvRmT0_T1_T2_T3_T4_T5_mmT6_P12ihipStream_tbEUlT_E0_NS1_11comp_targetILNS1_3genE10ELNS1_11target_archE1200ELNS1_3gpuE4ELNS1_3repE0EEENS1_30default_config_static_selectorELNS0_4arch9wavefront6targetE0EEEvS11_
	.globl	_ZN7rocprim17ROCPRIM_400000_NS6detail17trampoline_kernelINS0_14default_configENS1_21merge_config_selectorINS0_5tupleIJxxEEENS0_10empty_typeEEEZNS1_10merge_implIS3_NS0_12zip_iteratorINS5_IJN6thrust23THRUST_200600_302600_NS6detail15normal_iteratorINSC_10device_ptrIKxEEEESI_EEEEESK_NSA_INS5_IJNSC_16discard_iteratorINSC_11use_defaultEEESN_EEEEEPS7_SQ_SQ_NSC_11hip_rocprim7__merge17predicate_wrapperIxxNSC_4lessIxEEEEEE10hipError_tPvRmT0_T1_T2_T3_T4_T5_mmT6_P12ihipStream_tbEUlT_E0_NS1_11comp_targetILNS1_3genE10ELNS1_11target_archE1200ELNS1_3gpuE4ELNS1_3repE0EEENS1_30default_config_static_selectorELNS0_4arch9wavefront6targetE0EEEvS11_
	.p2align	8
	.type	_ZN7rocprim17ROCPRIM_400000_NS6detail17trampoline_kernelINS0_14default_configENS1_21merge_config_selectorINS0_5tupleIJxxEEENS0_10empty_typeEEEZNS1_10merge_implIS3_NS0_12zip_iteratorINS5_IJN6thrust23THRUST_200600_302600_NS6detail15normal_iteratorINSC_10device_ptrIKxEEEESI_EEEEESK_NSA_INS5_IJNSC_16discard_iteratorINSC_11use_defaultEEESN_EEEEEPS7_SQ_SQ_NSC_11hip_rocprim7__merge17predicate_wrapperIxxNSC_4lessIxEEEEEE10hipError_tPvRmT0_T1_T2_T3_T4_T5_mmT6_P12ihipStream_tbEUlT_E0_NS1_11comp_targetILNS1_3genE10ELNS1_11target_archE1200ELNS1_3gpuE4ELNS1_3repE0EEENS1_30default_config_static_selectorELNS0_4arch9wavefront6targetE0EEEvS11_,@function
_ZN7rocprim17ROCPRIM_400000_NS6detail17trampoline_kernelINS0_14default_configENS1_21merge_config_selectorINS0_5tupleIJxxEEENS0_10empty_typeEEEZNS1_10merge_implIS3_NS0_12zip_iteratorINS5_IJN6thrust23THRUST_200600_302600_NS6detail15normal_iteratorINSC_10device_ptrIKxEEEESI_EEEEESK_NSA_INS5_IJNSC_16discard_iteratorINSC_11use_defaultEEESN_EEEEEPS7_SQ_SQ_NSC_11hip_rocprim7__merge17predicate_wrapperIxxNSC_4lessIxEEEEEE10hipError_tPvRmT0_T1_T2_T3_T4_T5_mmT6_P12ihipStream_tbEUlT_E0_NS1_11comp_targetILNS1_3genE10ELNS1_11target_archE1200ELNS1_3gpuE4ELNS1_3repE0EEENS1_30default_config_static_selectorELNS0_4arch9wavefront6targetE0EEEvS11_: ; @_ZN7rocprim17ROCPRIM_400000_NS6detail17trampoline_kernelINS0_14default_configENS1_21merge_config_selectorINS0_5tupleIJxxEEENS0_10empty_typeEEEZNS1_10merge_implIS3_NS0_12zip_iteratorINS5_IJN6thrust23THRUST_200600_302600_NS6detail15normal_iteratorINSC_10device_ptrIKxEEEESI_EEEEESK_NSA_INS5_IJNSC_16discard_iteratorINSC_11use_defaultEEESN_EEEEEPS7_SQ_SQ_NSC_11hip_rocprim7__merge17predicate_wrapperIxxNSC_4lessIxEEEEEE10hipError_tPvRmT0_T1_T2_T3_T4_T5_mmT6_P12ihipStream_tbEUlT_E0_NS1_11comp_targetILNS1_3genE10ELNS1_11target_archE1200ELNS1_3gpuE4ELNS1_3repE0EEENS1_30default_config_static_selectorELNS0_4arch9wavefront6targetE0EEEvS11_
; %bb.0:
	.section	.rodata,"a",@progbits
	.p2align	6, 0x0
	.amdhsa_kernel _ZN7rocprim17ROCPRIM_400000_NS6detail17trampoline_kernelINS0_14default_configENS1_21merge_config_selectorINS0_5tupleIJxxEEENS0_10empty_typeEEEZNS1_10merge_implIS3_NS0_12zip_iteratorINS5_IJN6thrust23THRUST_200600_302600_NS6detail15normal_iteratorINSC_10device_ptrIKxEEEESI_EEEEESK_NSA_INS5_IJNSC_16discard_iteratorINSC_11use_defaultEEESN_EEEEEPS7_SQ_SQ_NSC_11hip_rocprim7__merge17predicate_wrapperIxxNSC_4lessIxEEEEEE10hipError_tPvRmT0_T1_T2_T3_T4_T5_mmT6_P12ihipStream_tbEUlT_E0_NS1_11comp_targetILNS1_3genE10ELNS1_11target_archE1200ELNS1_3gpuE4ELNS1_3repE0EEENS1_30default_config_static_selectorELNS0_4arch9wavefront6targetE0EEEvS11_
		.amdhsa_group_segment_fixed_size 0
		.amdhsa_private_segment_fixed_size 0
		.amdhsa_kernarg_size 128
		.amdhsa_user_sgpr_count 2
		.amdhsa_user_sgpr_dispatch_ptr 0
		.amdhsa_user_sgpr_queue_ptr 0
		.amdhsa_user_sgpr_kernarg_segment_ptr 1
		.amdhsa_user_sgpr_dispatch_id 0
		.amdhsa_user_sgpr_kernarg_preload_length 0
		.amdhsa_user_sgpr_kernarg_preload_offset 0
		.amdhsa_user_sgpr_private_segment_size 0
		.amdhsa_wavefront_size32 1
		.amdhsa_uses_dynamic_stack 0
		.amdhsa_enable_private_segment 0
		.amdhsa_system_sgpr_workgroup_id_x 1
		.amdhsa_system_sgpr_workgroup_id_y 0
		.amdhsa_system_sgpr_workgroup_id_z 0
		.amdhsa_system_sgpr_workgroup_info 0
		.amdhsa_system_vgpr_workitem_id 0
		.amdhsa_next_free_vgpr 1
		.amdhsa_next_free_sgpr 1
		.amdhsa_named_barrier_count 0
		.amdhsa_reserve_vcc 0
		.amdhsa_float_round_mode_32 0
		.amdhsa_float_round_mode_16_64 0
		.amdhsa_float_denorm_mode_32 3
		.amdhsa_float_denorm_mode_16_64 3
		.amdhsa_fp16_overflow 0
		.amdhsa_memory_ordered 1
		.amdhsa_forward_progress 1
		.amdhsa_inst_pref_size 0
		.amdhsa_round_robin_scheduling 0
		.amdhsa_exception_fp_ieee_invalid_op 0
		.amdhsa_exception_fp_denorm_src 0
		.amdhsa_exception_fp_ieee_div_zero 0
		.amdhsa_exception_fp_ieee_overflow 0
		.amdhsa_exception_fp_ieee_underflow 0
		.amdhsa_exception_fp_ieee_inexact 0
		.amdhsa_exception_int_div_zero 0
	.end_amdhsa_kernel
	.section	.text._ZN7rocprim17ROCPRIM_400000_NS6detail17trampoline_kernelINS0_14default_configENS1_21merge_config_selectorINS0_5tupleIJxxEEENS0_10empty_typeEEEZNS1_10merge_implIS3_NS0_12zip_iteratorINS5_IJN6thrust23THRUST_200600_302600_NS6detail15normal_iteratorINSC_10device_ptrIKxEEEESI_EEEEESK_NSA_INS5_IJNSC_16discard_iteratorINSC_11use_defaultEEESN_EEEEEPS7_SQ_SQ_NSC_11hip_rocprim7__merge17predicate_wrapperIxxNSC_4lessIxEEEEEE10hipError_tPvRmT0_T1_T2_T3_T4_T5_mmT6_P12ihipStream_tbEUlT_E0_NS1_11comp_targetILNS1_3genE10ELNS1_11target_archE1200ELNS1_3gpuE4ELNS1_3repE0EEENS1_30default_config_static_selectorELNS0_4arch9wavefront6targetE0EEEvS11_,"axG",@progbits,_ZN7rocprim17ROCPRIM_400000_NS6detail17trampoline_kernelINS0_14default_configENS1_21merge_config_selectorINS0_5tupleIJxxEEENS0_10empty_typeEEEZNS1_10merge_implIS3_NS0_12zip_iteratorINS5_IJN6thrust23THRUST_200600_302600_NS6detail15normal_iteratorINSC_10device_ptrIKxEEEESI_EEEEESK_NSA_INS5_IJNSC_16discard_iteratorINSC_11use_defaultEEESN_EEEEEPS7_SQ_SQ_NSC_11hip_rocprim7__merge17predicate_wrapperIxxNSC_4lessIxEEEEEE10hipError_tPvRmT0_T1_T2_T3_T4_T5_mmT6_P12ihipStream_tbEUlT_E0_NS1_11comp_targetILNS1_3genE10ELNS1_11target_archE1200ELNS1_3gpuE4ELNS1_3repE0EEENS1_30default_config_static_selectorELNS0_4arch9wavefront6targetE0EEEvS11_,comdat
.Lfunc_end584:
	.size	_ZN7rocprim17ROCPRIM_400000_NS6detail17trampoline_kernelINS0_14default_configENS1_21merge_config_selectorINS0_5tupleIJxxEEENS0_10empty_typeEEEZNS1_10merge_implIS3_NS0_12zip_iteratorINS5_IJN6thrust23THRUST_200600_302600_NS6detail15normal_iteratorINSC_10device_ptrIKxEEEESI_EEEEESK_NSA_INS5_IJNSC_16discard_iteratorINSC_11use_defaultEEESN_EEEEEPS7_SQ_SQ_NSC_11hip_rocprim7__merge17predicate_wrapperIxxNSC_4lessIxEEEEEE10hipError_tPvRmT0_T1_T2_T3_T4_T5_mmT6_P12ihipStream_tbEUlT_E0_NS1_11comp_targetILNS1_3genE10ELNS1_11target_archE1200ELNS1_3gpuE4ELNS1_3repE0EEENS1_30default_config_static_selectorELNS0_4arch9wavefront6targetE0EEEvS11_, .Lfunc_end584-_ZN7rocprim17ROCPRIM_400000_NS6detail17trampoline_kernelINS0_14default_configENS1_21merge_config_selectorINS0_5tupleIJxxEEENS0_10empty_typeEEEZNS1_10merge_implIS3_NS0_12zip_iteratorINS5_IJN6thrust23THRUST_200600_302600_NS6detail15normal_iteratorINSC_10device_ptrIKxEEEESI_EEEEESK_NSA_INS5_IJNSC_16discard_iteratorINSC_11use_defaultEEESN_EEEEEPS7_SQ_SQ_NSC_11hip_rocprim7__merge17predicate_wrapperIxxNSC_4lessIxEEEEEE10hipError_tPvRmT0_T1_T2_T3_T4_T5_mmT6_P12ihipStream_tbEUlT_E0_NS1_11comp_targetILNS1_3genE10ELNS1_11target_archE1200ELNS1_3gpuE4ELNS1_3repE0EEENS1_30default_config_static_selectorELNS0_4arch9wavefront6targetE0EEEvS11_
                                        ; -- End function
	.set _ZN7rocprim17ROCPRIM_400000_NS6detail17trampoline_kernelINS0_14default_configENS1_21merge_config_selectorINS0_5tupleIJxxEEENS0_10empty_typeEEEZNS1_10merge_implIS3_NS0_12zip_iteratorINS5_IJN6thrust23THRUST_200600_302600_NS6detail15normal_iteratorINSC_10device_ptrIKxEEEESI_EEEEESK_NSA_INS5_IJNSC_16discard_iteratorINSC_11use_defaultEEESN_EEEEEPS7_SQ_SQ_NSC_11hip_rocprim7__merge17predicate_wrapperIxxNSC_4lessIxEEEEEE10hipError_tPvRmT0_T1_T2_T3_T4_T5_mmT6_P12ihipStream_tbEUlT_E0_NS1_11comp_targetILNS1_3genE10ELNS1_11target_archE1200ELNS1_3gpuE4ELNS1_3repE0EEENS1_30default_config_static_selectorELNS0_4arch9wavefront6targetE0EEEvS11_.num_vgpr, 0
	.set _ZN7rocprim17ROCPRIM_400000_NS6detail17trampoline_kernelINS0_14default_configENS1_21merge_config_selectorINS0_5tupleIJxxEEENS0_10empty_typeEEEZNS1_10merge_implIS3_NS0_12zip_iteratorINS5_IJN6thrust23THRUST_200600_302600_NS6detail15normal_iteratorINSC_10device_ptrIKxEEEESI_EEEEESK_NSA_INS5_IJNSC_16discard_iteratorINSC_11use_defaultEEESN_EEEEEPS7_SQ_SQ_NSC_11hip_rocprim7__merge17predicate_wrapperIxxNSC_4lessIxEEEEEE10hipError_tPvRmT0_T1_T2_T3_T4_T5_mmT6_P12ihipStream_tbEUlT_E0_NS1_11comp_targetILNS1_3genE10ELNS1_11target_archE1200ELNS1_3gpuE4ELNS1_3repE0EEENS1_30default_config_static_selectorELNS0_4arch9wavefront6targetE0EEEvS11_.num_agpr, 0
	.set _ZN7rocprim17ROCPRIM_400000_NS6detail17trampoline_kernelINS0_14default_configENS1_21merge_config_selectorINS0_5tupleIJxxEEENS0_10empty_typeEEEZNS1_10merge_implIS3_NS0_12zip_iteratorINS5_IJN6thrust23THRUST_200600_302600_NS6detail15normal_iteratorINSC_10device_ptrIKxEEEESI_EEEEESK_NSA_INS5_IJNSC_16discard_iteratorINSC_11use_defaultEEESN_EEEEEPS7_SQ_SQ_NSC_11hip_rocprim7__merge17predicate_wrapperIxxNSC_4lessIxEEEEEE10hipError_tPvRmT0_T1_T2_T3_T4_T5_mmT6_P12ihipStream_tbEUlT_E0_NS1_11comp_targetILNS1_3genE10ELNS1_11target_archE1200ELNS1_3gpuE4ELNS1_3repE0EEENS1_30default_config_static_selectorELNS0_4arch9wavefront6targetE0EEEvS11_.numbered_sgpr, 0
	.set _ZN7rocprim17ROCPRIM_400000_NS6detail17trampoline_kernelINS0_14default_configENS1_21merge_config_selectorINS0_5tupleIJxxEEENS0_10empty_typeEEEZNS1_10merge_implIS3_NS0_12zip_iteratorINS5_IJN6thrust23THRUST_200600_302600_NS6detail15normal_iteratorINSC_10device_ptrIKxEEEESI_EEEEESK_NSA_INS5_IJNSC_16discard_iteratorINSC_11use_defaultEEESN_EEEEEPS7_SQ_SQ_NSC_11hip_rocprim7__merge17predicate_wrapperIxxNSC_4lessIxEEEEEE10hipError_tPvRmT0_T1_T2_T3_T4_T5_mmT6_P12ihipStream_tbEUlT_E0_NS1_11comp_targetILNS1_3genE10ELNS1_11target_archE1200ELNS1_3gpuE4ELNS1_3repE0EEENS1_30default_config_static_selectorELNS0_4arch9wavefront6targetE0EEEvS11_.num_named_barrier, 0
	.set _ZN7rocprim17ROCPRIM_400000_NS6detail17trampoline_kernelINS0_14default_configENS1_21merge_config_selectorINS0_5tupleIJxxEEENS0_10empty_typeEEEZNS1_10merge_implIS3_NS0_12zip_iteratorINS5_IJN6thrust23THRUST_200600_302600_NS6detail15normal_iteratorINSC_10device_ptrIKxEEEESI_EEEEESK_NSA_INS5_IJNSC_16discard_iteratorINSC_11use_defaultEEESN_EEEEEPS7_SQ_SQ_NSC_11hip_rocprim7__merge17predicate_wrapperIxxNSC_4lessIxEEEEEE10hipError_tPvRmT0_T1_T2_T3_T4_T5_mmT6_P12ihipStream_tbEUlT_E0_NS1_11comp_targetILNS1_3genE10ELNS1_11target_archE1200ELNS1_3gpuE4ELNS1_3repE0EEENS1_30default_config_static_selectorELNS0_4arch9wavefront6targetE0EEEvS11_.private_seg_size, 0
	.set _ZN7rocprim17ROCPRIM_400000_NS6detail17trampoline_kernelINS0_14default_configENS1_21merge_config_selectorINS0_5tupleIJxxEEENS0_10empty_typeEEEZNS1_10merge_implIS3_NS0_12zip_iteratorINS5_IJN6thrust23THRUST_200600_302600_NS6detail15normal_iteratorINSC_10device_ptrIKxEEEESI_EEEEESK_NSA_INS5_IJNSC_16discard_iteratorINSC_11use_defaultEEESN_EEEEEPS7_SQ_SQ_NSC_11hip_rocprim7__merge17predicate_wrapperIxxNSC_4lessIxEEEEEE10hipError_tPvRmT0_T1_T2_T3_T4_T5_mmT6_P12ihipStream_tbEUlT_E0_NS1_11comp_targetILNS1_3genE10ELNS1_11target_archE1200ELNS1_3gpuE4ELNS1_3repE0EEENS1_30default_config_static_selectorELNS0_4arch9wavefront6targetE0EEEvS11_.uses_vcc, 0
	.set _ZN7rocprim17ROCPRIM_400000_NS6detail17trampoline_kernelINS0_14default_configENS1_21merge_config_selectorINS0_5tupleIJxxEEENS0_10empty_typeEEEZNS1_10merge_implIS3_NS0_12zip_iteratorINS5_IJN6thrust23THRUST_200600_302600_NS6detail15normal_iteratorINSC_10device_ptrIKxEEEESI_EEEEESK_NSA_INS5_IJNSC_16discard_iteratorINSC_11use_defaultEEESN_EEEEEPS7_SQ_SQ_NSC_11hip_rocprim7__merge17predicate_wrapperIxxNSC_4lessIxEEEEEE10hipError_tPvRmT0_T1_T2_T3_T4_T5_mmT6_P12ihipStream_tbEUlT_E0_NS1_11comp_targetILNS1_3genE10ELNS1_11target_archE1200ELNS1_3gpuE4ELNS1_3repE0EEENS1_30default_config_static_selectorELNS0_4arch9wavefront6targetE0EEEvS11_.uses_flat_scratch, 0
	.set _ZN7rocprim17ROCPRIM_400000_NS6detail17trampoline_kernelINS0_14default_configENS1_21merge_config_selectorINS0_5tupleIJxxEEENS0_10empty_typeEEEZNS1_10merge_implIS3_NS0_12zip_iteratorINS5_IJN6thrust23THRUST_200600_302600_NS6detail15normal_iteratorINSC_10device_ptrIKxEEEESI_EEEEESK_NSA_INS5_IJNSC_16discard_iteratorINSC_11use_defaultEEESN_EEEEEPS7_SQ_SQ_NSC_11hip_rocprim7__merge17predicate_wrapperIxxNSC_4lessIxEEEEEE10hipError_tPvRmT0_T1_T2_T3_T4_T5_mmT6_P12ihipStream_tbEUlT_E0_NS1_11comp_targetILNS1_3genE10ELNS1_11target_archE1200ELNS1_3gpuE4ELNS1_3repE0EEENS1_30default_config_static_selectorELNS0_4arch9wavefront6targetE0EEEvS11_.has_dyn_sized_stack, 0
	.set _ZN7rocprim17ROCPRIM_400000_NS6detail17trampoline_kernelINS0_14default_configENS1_21merge_config_selectorINS0_5tupleIJxxEEENS0_10empty_typeEEEZNS1_10merge_implIS3_NS0_12zip_iteratorINS5_IJN6thrust23THRUST_200600_302600_NS6detail15normal_iteratorINSC_10device_ptrIKxEEEESI_EEEEESK_NSA_INS5_IJNSC_16discard_iteratorINSC_11use_defaultEEESN_EEEEEPS7_SQ_SQ_NSC_11hip_rocprim7__merge17predicate_wrapperIxxNSC_4lessIxEEEEEE10hipError_tPvRmT0_T1_T2_T3_T4_T5_mmT6_P12ihipStream_tbEUlT_E0_NS1_11comp_targetILNS1_3genE10ELNS1_11target_archE1200ELNS1_3gpuE4ELNS1_3repE0EEENS1_30default_config_static_selectorELNS0_4arch9wavefront6targetE0EEEvS11_.has_recursion, 0
	.set _ZN7rocprim17ROCPRIM_400000_NS6detail17trampoline_kernelINS0_14default_configENS1_21merge_config_selectorINS0_5tupleIJxxEEENS0_10empty_typeEEEZNS1_10merge_implIS3_NS0_12zip_iteratorINS5_IJN6thrust23THRUST_200600_302600_NS6detail15normal_iteratorINSC_10device_ptrIKxEEEESI_EEEEESK_NSA_INS5_IJNSC_16discard_iteratorINSC_11use_defaultEEESN_EEEEEPS7_SQ_SQ_NSC_11hip_rocprim7__merge17predicate_wrapperIxxNSC_4lessIxEEEEEE10hipError_tPvRmT0_T1_T2_T3_T4_T5_mmT6_P12ihipStream_tbEUlT_E0_NS1_11comp_targetILNS1_3genE10ELNS1_11target_archE1200ELNS1_3gpuE4ELNS1_3repE0EEENS1_30default_config_static_selectorELNS0_4arch9wavefront6targetE0EEEvS11_.has_indirect_call, 0
	.section	.AMDGPU.csdata,"",@progbits
; Kernel info:
; codeLenInByte = 0
; TotalNumSgprs: 0
; NumVgprs: 0
; ScratchSize: 0
; MemoryBound: 0
; FloatMode: 240
; IeeeMode: 1
; LDSByteSize: 0 bytes/workgroup (compile time only)
; SGPRBlocks: 0
; VGPRBlocks: 0
; NumSGPRsForWavesPerEU: 1
; NumVGPRsForWavesPerEU: 1
; NamedBarCnt: 0
; Occupancy: 16
; WaveLimiterHint : 0
; COMPUTE_PGM_RSRC2:SCRATCH_EN: 0
; COMPUTE_PGM_RSRC2:USER_SGPR: 2
; COMPUTE_PGM_RSRC2:TRAP_HANDLER: 0
; COMPUTE_PGM_RSRC2:TGID_X_EN: 1
; COMPUTE_PGM_RSRC2:TGID_Y_EN: 0
; COMPUTE_PGM_RSRC2:TGID_Z_EN: 0
; COMPUTE_PGM_RSRC2:TIDIG_COMP_CNT: 0
	.section	.text._ZN7rocprim17ROCPRIM_400000_NS6detail17trampoline_kernelINS0_14default_configENS1_21merge_config_selectorINS0_5tupleIJxxEEENS0_10empty_typeEEEZNS1_10merge_implIS3_NS0_12zip_iteratorINS5_IJN6thrust23THRUST_200600_302600_NS6detail15normal_iteratorINSC_10device_ptrIKxEEEESI_EEEEESK_NSA_INS5_IJNSC_16discard_iteratorINSC_11use_defaultEEESN_EEEEEPS7_SQ_SQ_NSC_11hip_rocprim7__merge17predicate_wrapperIxxNSC_4lessIxEEEEEE10hipError_tPvRmT0_T1_T2_T3_T4_T5_mmT6_P12ihipStream_tbEUlT_E0_NS1_11comp_targetILNS1_3genE9ELNS1_11target_archE1100ELNS1_3gpuE3ELNS1_3repE0EEENS1_30default_config_static_selectorELNS0_4arch9wavefront6targetE0EEEvS11_,"axG",@progbits,_ZN7rocprim17ROCPRIM_400000_NS6detail17trampoline_kernelINS0_14default_configENS1_21merge_config_selectorINS0_5tupleIJxxEEENS0_10empty_typeEEEZNS1_10merge_implIS3_NS0_12zip_iteratorINS5_IJN6thrust23THRUST_200600_302600_NS6detail15normal_iteratorINSC_10device_ptrIKxEEEESI_EEEEESK_NSA_INS5_IJNSC_16discard_iteratorINSC_11use_defaultEEESN_EEEEEPS7_SQ_SQ_NSC_11hip_rocprim7__merge17predicate_wrapperIxxNSC_4lessIxEEEEEE10hipError_tPvRmT0_T1_T2_T3_T4_T5_mmT6_P12ihipStream_tbEUlT_E0_NS1_11comp_targetILNS1_3genE9ELNS1_11target_archE1100ELNS1_3gpuE3ELNS1_3repE0EEENS1_30default_config_static_selectorELNS0_4arch9wavefront6targetE0EEEvS11_,comdat
	.protected	_ZN7rocprim17ROCPRIM_400000_NS6detail17trampoline_kernelINS0_14default_configENS1_21merge_config_selectorINS0_5tupleIJxxEEENS0_10empty_typeEEEZNS1_10merge_implIS3_NS0_12zip_iteratorINS5_IJN6thrust23THRUST_200600_302600_NS6detail15normal_iteratorINSC_10device_ptrIKxEEEESI_EEEEESK_NSA_INS5_IJNSC_16discard_iteratorINSC_11use_defaultEEESN_EEEEEPS7_SQ_SQ_NSC_11hip_rocprim7__merge17predicate_wrapperIxxNSC_4lessIxEEEEEE10hipError_tPvRmT0_T1_T2_T3_T4_T5_mmT6_P12ihipStream_tbEUlT_E0_NS1_11comp_targetILNS1_3genE9ELNS1_11target_archE1100ELNS1_3gpuE3ELNS1_3repE0EEENS1_30default_config_static_selectorELNS0_4arch9wavefront6targetE0EEEvS11_ ; -- Begin function _ZN7rocprim17ROCPRIM_400000_NS6detail17trampoline_kernelINS0_14default_configENS1_21merge_config_selectorINS0_5tupleIJxxEEENS0_10empty_typeEEEZNS1_10merge_implIS3_NS0_12zip_iteratorINS5_IJN6thrust23THRUST_200600_302600_NS6detail15normal_iteratorINSC_10device_ptrIKxEEEESI_EEEEESK_NSA_INS5_IJNSC_16discard_iteratorINSC_11use_defaultEEESN_EEEEEPS7_SQ_SQ_NSC_11hip_rocprim7__merge17predicate_wrapperIxxNSC_4lessIxEEEEEE10hipError_tPvRmT0_T1_T2_T3_T4_T5_mmT6_P12ihipStream_tbEUlT_E0_NS1_11comp_targetILNS1_3genE9ELNS1_11target_archE1100ELNS1_3gpuE3ELNS1_3repE0EEENS1_30default_config_static_selectorELNS0_4arch9wavefront6targetE0EEEvS11_
	.globl	_ZN7rocprim17ROCPRIM_400000_NS6detail17trampoline_kernelINS0_14default_configENS1_21merge_config_selectorINS0_5tupleIJxxEEENS0_10empty_typeEEEZNS1_10merge_implIS3_NS0_12zip_iteratorINS5_IJN6thrust23THRUST_200600_302600_NS6detail15normal_iteratorINSC_10device_ptrIKxEEEESI_EEEEESK_NSA_INS5_IJNSC_16discard_iteratorINSC_11use_defaultEEESN_EEEEEPS7_SQ_SQ_NSC_11hip_rocprim7__merge17predicate_wrapperIxxNSC_4lessIxEEEEEE10hipError_tPvRmT0_T1_T2_T3_T4_T5_mmT6_P12ihipStream_tbEUlT_E0_NS1_11comp_targetILNS1_3genE9ELNS1_11target_archE1100ELNS1_3gpuE3ELNS1_3repE0EEENS1_30default_config_static_selectorELNS0_4arch9wavefront6targetE0EEEvS11_
	.p2align	8
	.type	_ZN7rocprim17ROCPRIM_400000_NS6detail17trampoline_kernelINS0_14default_configENS1_21merge_config_selectorINS0_5tupleIJxxEEENS0_10empty_typeEEEZNS1_10merge_implIS3_NS0_12zip_iteratorINS5_IJN6thrust23THRUST_200600_302600_NS6detail15normal_iteratorINSC_10device_ptrIKxEEEESI_EEEEESK_NSA_INS5_IJNSC_16discard_iteratorINSC_11use_defaultEEESN_EEEEEPS7_SQ_SQ_NSC_11hip_rocprim7__merge17predicate_wrapperIxxNSC_4lessIxEEEEEE10hipError_tPvRmT0_T1_T2_T3_T4_T5_mmT6_P12ihipStream_tbEUlT_E0_NS1_11comp_targetILNS1_3genE9ELNS1_11target_archE1100ELNS1_3gpuE3ELNS1_3repE0EEENS1_30default_config_static_selectorELNS0_4arch9wavefront6targetE0EEEvS11_,@function
_ZN7rocprim17ROCPRIM_400000_NS6detail17trampoline_kernelINS0_14default_configENS1_21merge_config_selectorINS0_5tupleIJxxEEENS0_10empty_typeEEEZNS1_10merge_implIS3_NS0_12zip_iteratorINS5_IJN6thrust23THRUST_200600_302600_NS6detail15normal_iteratorINSC_10device_ptrIKxEEEESI_EEEEESK_NSA_INS5_IJNSC_16discard_iteratorINSC_11use_defaultEEESN_EEEEEPS7_SQ_SQ_NSC_11hip_rocprim7__merge17predicate_wrapperIxxNSC_4lessIxEEEEEE10hipError_tPvRmT0_T1_T2_T3_T4_T5_mmT6_P12ihipStream_tbEUlT_E0_NS1_11comp_targetILNS1_3genE9ELNS1_11target_archE1100ELNS1_3gpuE3ELNS1_3repE0EEENS1_30default_config_static_selectorELNS0_4arch9wavefront6targetE0EEEvS11_: ; @_ZN7rocprim17ROCPRIM_400000_NS6detail17trampoline_kernelINS0_14default_configENS1_21merge_config_selectorINS0_5tupleIJxxEEENS0_10empty_typeEEEZNS1_10merge_implIS3_NS0_12zip_iteratorINS5_IJN6thrust23THRUST_200600_302600_NS6detail15normal_iteratorINSC_10device_ptrIKxEEEESI_EEEEESK_NSA_INS5_IJNSC_16discard_iteratorINSC_11use_defaultEEESN_EEEEEPS7_SQ_SQ_NSC_11hip_rocprim7__merge17predicate_wrapperIxxNSC_4lessIxEEEEEE10hipError_tPvRmT0_T1_T2_T3_T4_T5_mmT6_P12ihipStream_tbEUlT_E0_NS1_11comp_targetILNS1_3genE9ELNS1_11target_archE1100ELNS1_3gpuE3ELNS1_3repE0EEENS1_30default_config_static_selectorELNS0_4arch9wavefront6targetE0EEEvS11_
; %bb.0:
	.section	.rodata,"a",@progbits
	.p2align	6, 0x0
	.amdhsa_kernel _ZN7rocprim17ROCPRIM_400000_NS6detail17trampoline_kernelINS0_14default_configENS1_21merge_config_selectorINS0_5tupleIJxxEEENS0_10empty_typeEEEZNS1_10merge_implIS3_NS0_12zip_iteratorINS5_IJN6thrust23THRUST_200600_302600_NS6detail15normal_iteratorINSC_10device_ptrIKxEEEESI_EEEEESK_NSA_INS5_IJNSC_16discard_iteratorINSC_11use_defaultEEESN_EEEEEPS7_SQ_SQ_NSC_11hip_rocprim7__merge17predicate_wrapperIxxNSC_4lessIxEEEEEE10hipError_tPvRmT0_T1_T2_T3_T4_T5_mmT6_P12ihipStream_tbEUlT_E0_NS1_11comp_targetILNS1_3genE9ELNS1_11target_archE1100ELNS1_3gpuE3ELNS1_3repE0EEENS1_30default_config_static_selectorELNS0_4arch9wavefront6targetE0EEEvS11_
		.amdhsa_group_segment_fixed_size 0
		.amdhsa_private_segment_fixed_size 0
		.amdhsa_kernarg_size 128
		.amdhsa_user_sgpr_count 2
		.amdhsa_user_sgpr_dispatch_ptr 0
		.amdhsa_user_sgpr_queue_ptr 0
		.amdhsa_user_sgpr_kernarg_segment_ptr 1
		.amdhsa_user_sgpr_dispatch_id 0
		.amdhsa_user_sgpr_kernarg_preload_length 0
		.amdhsa_user_sgpr_kernarg_preload_offset 0
		.amdhsa_user_sgpr_private_segment_size 0
		.amdhsa_wavefront_size32 1
		.amdhsa_uses_dynamic_stack 0
		.amdhsa_enable_private_segment 0
		.amdhsa_system_sgpr_workgroup_id_x 1
		.amdhsa_system_sgpr_workgroup_id_y 0
		.amdhsa_system_sgpr_workgroup_id_z 0
		.amdhsa_system_sgpr_workgroup_info 0
		.amdhsa_system_vgpr_workitem_id 0
		.amdhsa_next_free_vgpr 1
		.amdhsa_next_free_sgpr 1
		.amdhsa_named_barrier_count 0
		.amdhsa_reserve_vcc 0
		.amdhsa_float_round_mode_32 0
		.amdhsa_float_round_mode_16_64 0
		.amdhsa_float_denorm_mode_32 3
		.amdhsa_float_denorm_mode_16_64 3
		.amdhsa_fp16_overflow 0
		.amdhsa_memory_ordered 1
		.amdhsa_forward_progress 1
		.amdhsa_inst_pref_size 0
		.amdhsa_round_robin_scheduling 0
		.amdhsa_exception_fp_ieee_invalid_op 0
		.amdhsa_exception_fp_denorm_src 0
		.amdhsa_exception_fp_ieee_div_zero 0
		.amdhsa_exception_fp_ieee_overflow 0
		.amdhsa_exception_fp_ieee_underflow 0
		.amdhsa_exception_fp_ieee_inexact 0
		.amdhsa_exception_int_div_zero 0
	.end_amdhsa_kernel
	.section	.text._ZN7rocprim17ROCPRIM_400000_NS6detail17trampoline_kernelINS0_14default_configENS1_21merge_config_selectorINS0_5tupleIJxxEEENS0_10empty_typeEEEZNS1_10merge_implIS3_NS0_12zip_iteratorINS5_IJN6thrust23THRUST_200600_302600_NS6detail15normal_iteratorINSC_10device_ptrIKxEEEESI_EEEEESK_NSA_INS5_IJNSC_16discard_iteratorINSC_11use_defaultEEESN_EEEEEPS7_SQ_SQ_NSC_11hip_rocprim7__merge17predicate_wrapperIxxNSC_4lessIxEEEEEE10hipError_tPvRmT0_T1_T2_T3_T4_T5_mmT6_P12ihipStream_tbEUlT_E0_NS1_11comp_targetILNS1_3genE9ELNS1_11target_archE1100ELNS1_3gpuE3ELNS1_3repE0EEENS1_30default_config_static_selectorELNS0_4arch9wavefront6targetE0EEEvS11_,"axG",@progbits,_ZN7rocprim17ROCPRIM_400000_NS6detail17trampoline_kernelINS0_14default_configENS1_21merge_config_selectorINS0_5tupleIJxxEEENS0_10empty_typeEEEZNS1_10merge_implIS3_NS0_12zip_iteratorINS5_IJN6thrust23THRUST_200600_302600_NS6detail15normal_iteratorINSC_10device_ptrIKxEEEESI_EEEEESK_NSA_INS5_IJNSC_16discard_iteratorINSC_11use_defaultEEESN_EEEEEPS7_SQ_SQ_NSC_11hip_rocprim7__merge17predicate_wrapperIxxNSC_4lessIxEEEEEE10hipError_tPvRmT0_T1_T2_T3_T4_T5_mmT6_P12ihipStream_tbEUlT_E0_NS1_11comp_targetILNS1_3genE9ELNS1_11target_archE1100ELNS1_3gpuE3ELNS1_3repE0EEENS1_30default_config_static_selectorELNS0_4arch9wavefront6targetE0EEEvS11_,comdat
.Lfunc_end585:
	.size	_ZN7rocprim17ROCPRIM_400000_NS6detail17trampoline_kernelINS0_14default_configENS1_21merge_config_selectorINS0_5tupleIJxxEEENS0_10empty_typeEEEZNS1_10merge_implIS3_NS0_12zip_iteratorINS5_IJN6thrust23THRUST_200600_302600_NS6detail15normal_iteratorINSC_10device_ptrIKxEEEESI_EEEEESK_NSA_INS5_IJNSC_16discard_iteratorINSC_11use_defaultEEESN_EEEEEPS7_SQ_SQ_NSC_11hip_rocprim7__merge17predicate_wrapperIxxNSC_4lessIxEEEEEE10hipError_tPvRmT0_T1_T2_T3_T4_T5_mmT6_P12ihipStream_tbEUlT_E0_NS1_11comp_targetILNS1_3genE9ELNS1_11target_archE1100ELNS1_3gpuE3ELNS1_3repE0EEENS1_30default_config_static_selectorELNS0_4arch9wavefront6targetE0EEEvS11_, .Lfunc_end585-_ZN7rocprim17ROCPRIM_400000_NS6detail17trampoline_kernelINS0_14default_configENS1_21merge_config_selectorINS0_5tupleIJxxEEENS0_10empty_typeEEEZNS1_10merge_implIS3_NS0_12zip_iteratorINS5_IJN6thrust23THRUST_200600_302600_NS6detail15normal_iteratorINSC_10device_ptrIKxEEEESI_EEEEESK_NSA_INS5_IJNSC_16discard_iteratorINSC_11use_defaultEEESN_EEEEEPS7_SQ_SQ_NSC_11hip_rocprim7__merge17predicate_wrapperIxxNSC_4lessIxEEEEEE10hipError_tPvRmT0_T1_T2_T3_T4_T5_mmT6_P12ihipStream_tbEUlT_E0_NS1_11comp_targetILNS1_3genE9ELNS1_11target_archE1100ELNS1_3gpuE3ELNS1_3repE0EEENS1_30default_config_static_selectorELNS0_4arch9wavefront6targetE0EEEvS11_
                                        ; -- End function
	.set _ZN7rocprim17ROCPRIM_400000_NS6detail17trampoline_kernelINS0_14default_configENS1_21merge_config_selectorINS0_5tupleIJxxEEENS0_10empty_typeEEEZNS1_10merge_implIS3_NS0_12zip_iteratorINS5_IJN6thrust23THRUST_200600_302600_NS6detail15normal_iteratorINSC_10device_ptrIKxEEEESI_EEEEESK_NSA_INS5_IJNSC_16discard_iteratorINSC_11use_defaultEEESN_EEEEEPS7_SQ_SQ_NSC_11hip_rocprim7__merge17predicate_wrapperIxxNSC_4lessIxEEEEEE10hipError_tPvRmT0_T1_T2_T3_T4_T5_mmT6_P12ihipStream_tbEUlT_E0_NS1_11comp_targetILNS1_3genE9ELNS1_11target_archE1100ELNS1_3gpuE3ELNS1_3repE0EEENS1_30default_config_static_selectorELNS0_4arch9wavefront6targetE0EEEvS11_.num_vgpr, 0
	.set _ZN7rocprim17ROCPRIM_400000_NS6detail17trampoline_kernelINS0_14default_configENS1_21merge_config_selectorINS0_5tupleIJxxEEENS0_10empty_typeEEEZNS1_10merge_implIS3_NS0_12zip_iteratorINS5_IJN6thrust23THRUST_200600_302600_NS6detail15normal_iteratorINSC_10device_ptrIKxEEEESI_EEEEESK_NSA_INS5_IJNSC_16discard_iteratorINSC_11use_defaultEEESN_EEEEEPS7_SQ_SQ_NSC_11hip_rocprim7__merge17predicate_wrapperIxxNSC_4lessIxEEEEEE10hipError_tPvRmT0_T1_T2_T3_T4_T5_mmT6_P12ihipStream_tbEUlT_E0_NS1_11comp_targetILNS1_3genE9ELNS1_11target_archE1100ELNS1_3gpuE3ELNS1_3repE0EEENS1_30default_config_static_selectorELNS0_4arch9wavefront6targetE0EEEvS11_.num_agpr, 0
	.set _ZN7rocprim17ROCPRIM_400000_NS6detail17trampoline_kernelINS0_14default_configENS1_21merge_config_selectorINS0_5tupleIJxxEEENS0_10empty_typeEEEZNS1_10merge_implIS3_NS0_12zip_iteratorINS5_IJN6thrust23THRUST_200600_302600_NS6detail15normal_iteratorINSC_10device_ptrIKxEEEESI_EEEEESK_NSA_INS5_IJNSC_16discard_iteratorINSC_11use_defaultEEESN_EEEEEPS7_SQ_SQ_NSC_11hip_rocprim7__merge17predicate_wrapperIxxNSC_4lessIxEEEEEE10hipError_tPvRmT0_T1_T2_T3_T4_T5_mmT6_P12ihipStream_tbEUlT_E0_NS1_11comp_targetILNS1_3genE9ELNS1_11target_archE1100ELNS1_3gpuE3ELNS1_3repE0EEENS1_30default_config_static_selectorELNS0_4arch9wavefront6targetE0EEEvS11_.numbered_sgpr, 0
	.set _ZN7rocprim17ROCPRIM_400000_NS6detail17trampoline_kernelINS0_14default_configENS1_21merge_config_selectorINS0_5tupleIJxxEEENS0_10empty_typeEEEZNS1_10merge_implIS3_NS0_12zip_iteratorINS5_IJN6thrust23THRUST_200600_302600_NS6detail15normal_iteratorINSC_10device_ptrIKxEEEESI_EEEEESK_NSA_INS5_IJNSC_16discard_iteratorINSC_11use_defaultEEESN_EEEEEPS7_SQ_SQ_NSC_11hip_rocprim7__merge17predicate_wrapperIxxNSC_4lessIxEEEEEE10hipError_tPvRmT0_T1_T2_T3_T4_T5_mmT6_P12ihipStream_tbEUlT_E0_NS1_11comp_targetILNS1_3genE9ELNS1_11target_archE1100ELNS1_3gpuE3ELNS1_3repE0EEENS1_30default_config_static_selectorELNS0_4arch9wavefront6targetE0EEEvS11_.num_named_barrier, 0
	.set _ZN7rocprim17ROCPRIM_400000_NS6detail17trampoline_kernelINS0_14default_configENS1_21merge_config_selectorINS0_5tupleIJxxEEENS0_10empty_typeEEEZNS1_10merge_implIS3_NS0_12zip_iteratorINS5_IJN6thrust23THRUST_200600_302600_NS6detail15normal_iteratorINSC_10device_ptrIKxEEEESI_EEEEESK_NSA_INS5_IJNSC_16discard_iteratorINSC_11use_defaultEEESN_EEEEEPS7_SQ_SQ_NSC_11hip_rocprim7__merge17predicate_wrapperIxxNSC_4lessIxEEEEEE10hipError_tPvRmT0_T1_T2_T3_T4_T5_mmT6_P12ihipStream_tbEUlT_E0_NS1_11comp_targetILNS1_3genE9ELNS1_11target_archE1100ELNS1_3gpuE3ELNS1_3repE0EEENS1_30default_config_static_selectorELNS0_4arch9wavefront6targetE0EEEvS11_.private_seg_size, 0
	.set _ZN7rocprim17ROCPRIM_400000_NS6detail17trampoline_kernelINS0_14default_configENS1_21merge_config_selectorINS0_5tupleIJxxEEENS0_10empty_typeEEEZNS1_10merge_implIS3_NS0_12zip_iteratorINS5_IJN6thrust23THRUST_200600_302600_NS6detail15normal_iteratorINSC_10device_ptrIKxEEEESI_EEEEESK_NSA_INS5_IJNSC_16discard_iteratorINSC_11use_defaultEEESN_EEEEEPS7_SQ_SQ_NSC_11hip_rocprim7__merge17predicate_wrapperIxxNSC_4lessIxEEEEEE10hipError_tPvRmT0_T1_T2_T3_T4_T5_mmT6_P12ihipStream_tbEUlT_E0_NS1_11comp_targetILNS1_3genE9ELNS1_11target_archE1100ELNS1_3gpuE3ELNS1_3repE0EEENS1_30default_config_static_selectorELNS0_4arch9wavefront6targetE0EEEvS11_.uses_vcc, 0
	.set _ZN7rocprim17ROCPRIM_400000_NS6detail17trampoline_kernelINS0_14default_configENS1_21merge_config_selectorINS0_5tupleIJxxEEENS0_10empty_typeEEEZNS1_10merge_implIS3_NS0_12zip_iteratorINS5_IJN6thrust23THRUST_200600_302600_NS6detail15normal_iteratorINSC_10device_ptrIKxEEEESI_EEEEESK_NSA_INS5_IJNSC_16discard_iteratorINSC_11use_defaultEEESN_EEEEEPS7_SQ_SQ_NSC_11hip_rocprim7__merge17predicate_wrapperIxxNSC_4lessIxEEEEEE10hipError_tPvRmT0_T1_T2_T3_T4_T5_mmT6_P12ihipStream_tbEUlT_E0_NS1_11comp_targetILNS1_3genE9ELNS1_11target_archE1100ELNS1_3gpuE3ELNS1_3repE0EEENS1_30default_config_static_selectorELNS0_4arch9wavefront6targetE0EEEvS11_.uses_flat_scratch, 0
	.set _ZN7rocprim17ROCPRIM_400000_NS6detail17trampoline_kernelINS0_14default_configENS1_21merge_config_selectorINS0_5tupleIJxxEEENS0_10empty_typeEEEZNS1_10merge_implIS3_NS0_12zip_iteratorINS5_IJN6thrust23THRUST_200600_302600_NS6detail15normal_iteratorINSC_10device_ptrIKxEEEESI_EEEEESK_NSA_INS5_IJNSC_16discard_iteratorINSC_11use_defaultEEESN_EEEEEPS7_SQ_SQ_NSC_11hip_rocprim7__merge17predicate_wrapperIxxNSC_4lessIxEEEEEE10hipError_tPvRmT0_T1_T2_T3_T4_T5_mmT6_P12ihipStream_tbEUlT_E0_NS1_11comp_targetILNS1_3genE9ELNS1_11target_archE1100ELNS1_3gpuE3ELNS1_3repE0EEENS1_30default_config_static_selectorELNS0_4arch9wavefront6targetE0EEEvS11_.has_dyn_sized_stack, 0
	.set _ZN7rocprim17ROCPRIM_400000_NS6detail17trampoline_kernelINS0_14default_configENS1_21merge_config_selectorINS0_5tupleIJxxEEENS0_10empty_typeEEEZNS1_10merge_implIS3_NS0_12zip_iteratorINS5_IJN6thrust23THRUST_200600_302600_NS6detail15normal_iteratorINSC_10device_ptrIKxEEEESI_EEEEESK_NSA_INS5_IJNSC_16discard_iteratorINSC_11use_defaultEEESN_EEEEEPS7_SQ_SQ_NSC_11hip_rocprim7__merge17predicate_wrapperIxxNSC_4lessIxEEEEEE10hipError_tPvRmT0_T1_T2_T3_T4_T5_mmT6_P12ihipStream_tbEUlT_E0_NS1_11comp_targetILNS1_3genE9ELNS1_11target_archE1100ELNS1_3gpuE3ELNS1_3repE0EEENS1_30default_config_static_selectorELNS0_4arch9wavefront6targetE0EEEvS11_.has_recursion, 0
	.set _ZN7rocprim17ROCPRIM_400000_NS6detail17trampoline_kernelINS0_14default_configENS1_21merge_config_selectorINS0_5tupleIJxxEEENS0_10empty_typeEEEZNS1_10merge_implIS3_NS0_12zip_iteratorINS5_IJN6thrust23THRUST_200600_302600_NS6detail15normal_iteratorINSC_10device_ptrIKxEEEESI_EEEEESK_NSA_INS5_IJNSC_16discard_iteratorINSC_11use_defaultEEESN_EEEEEPS7_SQ_SQ_NSC_11hip_rocprim7__merge17predicate_wrapperIxxNSC_4lessIxEEEEEE10hipError_tPvRmT0_T1_T2_T3_T4_T5_mmT6_P12ihipStream_tbEUlT_E0_NS1_11comp_targetILNS1_3genE9ELNS1_11target_archE1100ELNS1_3gpuE3ELNS1_3repE0EEENS1_30default_config_static_selectorELNS0_4arch9wavefront6targetE0EEEvS11_.has_indirect_call, 0
	.section	.AMDGPU.csdata,"",@progbits
; Kernel info:
; codeLenInByte = 0
; TotalNumSgprs: 0
; NumVgprs: 0
; ScratchSize: 0
; MemoryBound: 0
; FloatMode: 240
; IeeeMode: 1
; LDSByteSize: 0 bytes/workgroup (compile time only)
; SGPRBlocks: 0
; VGPRBlocks: 0
; NumSGPRsForWavesPerEU: 1
; NumVGPRsForWavesPerEU: 1
; NamedBarCnt: 0
; Occupancy: 16
; WaveLimiterHint : 0
; COMPUTE_PGM_RSRC2:SCRATCH_EN: 0
; COMPUTE_PGM_RSRC2:USER_SGPR: 2
; COMPUTE_PGM_RSRC2:TRAP_HANDLER: 0
; COMPUTE_PGM_RSRC2:TGID_X_EN: 1
; COMPUTE_PGM_RSRC2:TGID_Y_EN: 0
; COMPUTE_PGM_RSRC2:TGID_Z_EN: 0
; COMPUTE_PGM_RSRC2:TIDIG_COMP_CNT: 0
	.section	.text._ZN7rocprim17ROCPRIM_400000_NS6detail17trampoline_kernelINS0_14default_configENS1_21merge_config_selectorINS0_5tupleIJxxEEENS0_10empty_typeEEEZNS1_10merge_implIS3_NS0_12zip_iteratorINS5_IJN6thrust23THRUST_200600_302600_NS6detail15normal_iteratorINSC_10device_ptrIKxEEEESI_EEEEESK_NSA_INS5_IJNSC_16discard_iteratorINSC_11use_defaultEEESN_EEEEEPS7_SQ_SQ_NSC_11hip_rocprim7__merge17predicate_wrapperIxxNSC_4lessIxEEEEEE10hipError_tPvRmT0_T1_T2_T3_T4_T5_mmT6_P12ihipStream_tbEUlT_E0_NS1_11comp_targetILNS1_3genE8ELNS1_11target_archE1030ELNS1_3gpuE2ELNS1_3repE0EEENS1_30default_config_static_selectorELNS0_4arch9wavefront6targetE0EEEvS11_,"axG",@progbits,_ZN7rocprim17ROCPRIM_400000_NS6detail17trampoline_kernelINS0_14default_configENS1_21merge_config_selectorINS0_5tupleIJxxEEENS0_10empty_typeEEEZNS1_10merge_implIS3_NS0_12zip_iteratorINS5_IJN6thrust23THRUST_200600_302600_NS6detail15normal_iteratorINSC_10device_ptrIKxEEEESI_EEEEESK_NSA_INS5_IJNSC_16discard_iteratorINSC_11use_defaultEEESN_EEEEEPS7_SQ_SQ_NSC_11hip_rocprim7__merge17predicate_wrapperIxxNSC_4lessIxEEEEEE10hipError_tPvRmT0_T1_T2_T3_T4_T5_mmT6_P12ihipStream_tbEUlT_E0_NS1_11comp_targetILNS1_3genE8ELNS1_11target_archE1030ELNS1_3gpuE2ELNS1_3repE0EEENS1_30default_config_static_selectorELNS0_4arch9wavefront6targetE0EEEvS11_,comdat
	.protected	_ZN7rocprim17ROCPRIM_400000_NS6detail17trampoline_kernelINS0_14default_configENS1_21merge_config_selectorINS0_5tupleIJxxEEENS0_10empty_typeEEEZNS1_10merge_implIS3_NS0_12zip_iteratorINS5_IJN6thrust23THRUST_200600_302600_NS6detail15normal_iteratorINSC_10device_ptrIKxEEEESI_EEEEESK_NSA_INS5_IJNSC_16discard_iteratorINSC_11use_defaultEEESN_EEEEEPS7_SQ_SQ_NSC_11hip_rocprim7__merge17predicate_wrapperIxxNSC_4lessIxEEEEEE10hipError_tPvRmT0_T1_T2_T3_T4_T5_mmT6_P12ihipStream_tbEUlT_E0_NS1_11comp_targetILNS1_3genE8ELNS1_11target_archE1030ELNS1_3gpuE2ELNS1_3repE0EEENS1_30default_config_static_selectorELNS0_4arch9wavefront6targetE0EEEvS11_ ; -- Begin function _ZN7rocprim17ROCPRIM_400000_NS6detail17trampoline_kernelINS0_14default_configENS1_21merge_config_selectorINS0_5tupleIJxxEEENS0_10empty_typeEEEZNS1_10merge_implIS3_NS0_12zip_iteratorINS5_IJN6thrust23THRUST_200600_302600_NS6detail15normal_iteratorINSC_10device_ptrIKxEEEESI_EEEEESK_NSA_INS5_IJNSC_16discard_iteratorINSC_11use_defaultEEESN_EEEEEPS7_SQ_SQ_NSC_11hip_rocprim7__merge17predicate_wrapperIxxNSC_4lessIxEEEEEE10hipError_tPvRmT0_T1_T2_T3_T4_T5_mmT6_P12ihipStream_tbEUlT_E0_NS1_11comp_targetILNS1_3genE8ELNS1_11target_archE1030ELNS1_3gpuE2ELNS1_3repE0EEENS1_30default_config_static_selectorELNS0_4arch9wavefront6targetE0EEEvS11_
	.globl	_ZN7rocprim17ROCPRIM_400000_NS6detail17trampoline_kernelINS0_14default_configENS1_21merge_config_selectorINS0_5tupleIJxxEEENS0_10empty_typeEEEZNS1_10merge_implIS3_NS0_12zip_iteratorINS5_IJN6thrust23THRUST_200600_302600_NS6detail15normal_iteratorINSC_10device_ptrIKxEEEESI_EEEEESK_NSA_INS5_IJNSC_16discard_iteratorINSC_11use_defaultEEESN_EEEEEPS7_SQ_SQ_NSC_11hip_rocprim7__merge17predicate_wrapperIxxNSC_4lessIxEEEEEE10hipError_tPvRmT0_T1_T2_T3_T4_T5_mmT6_P12ihipStream_tbEUlT_E0_NS1_11comp_targetILNS1_3genE8ELNS1_11target_archE1030ELNS1_3gpuE2ELNS1_3repE0EEENS1_30default_config_static_selectorELNS0_4arch9wavefront6targetE0EEEvS11_
	.p2align	8
	.type	_ZN7rocprim17ROCPRIM_400000_NS6detail17trampoline_kernelINS0_14default_configENS1_21merge_config_selectorINS0_5tupleIJxxEEENS0_10empty_typeEEEZNS1_10merge_implIS3_NS0_12zip_iteratorINS5_IJN6thrust23THRUST_200600_302600_NS6detail15normal_iteratorINSC_10device_ptrIKxEEEESI_EEEEESK_NSA_INS5_IJNSC_16discard_iteratorINSC_11use_defaultEEESN_EEEEEPS7_SQ_SQ_NSC_11hip_rocprim7__merge17predicate_wrapperIxxNSC_4lessIxEEEEEE10hipError_tPvRmT0_T1_T2_T3_T4_T5_mmT6_P12ihipStream_tbEUlT_E0_NS1_11comp_targetILNS1_3genE8ELNS1_11target_archE1030ELNS1_3gpuE2ELNS1_3repE0EEENS1_30default_config_static_selectorELNS0_4arch9wavefront6targetE0EEEvS11_,@function
_ZN7rocprim17ROCPRIM_400000_NS6detail17trampoline_kernelINS0_14default_configENS1_21merge_config_selectorINS0_5tupleIJxxEEENS0_10empty_typeEEEZNS1_10merge_implIS3_NS0_12zip_iteratorINS5_IJN6thrust23THRUST_200600_302600_NS6detail15normal_iteratorINSC_10device_ptrIKxEEEESI_EEEEESK_NSA_INS5_IJNSC_16discard_iteratorINSC_11use_defaultEEESN_EEEEEPS7_SQ_SQ_NSC_11hip_rocprim7__merge17predicate_wrapperIxxNSC_4lessIxEEEEEE10hipError_tPvRmT0_T1_T2_T3_T4_T5_mmT6_P12ihipStream_tbEUlT_E0_NS1_11comp_targetILNS1_3genE8ELNS1_11target_archE1030ELNS1_3gpuE2ELNS1_3repE0EEENS1_30default_config_static_selectorELNS0_4arch9wavefront6targetE0EEEvS11_: ; @_ZN7rocprim17ROCPRIM_400000_NS6detail17trampoline_kernelINS0_14default_configENS1_21merge_config_selectorINS0_5tupleIJxxEEENS0_10empty_typeEEEZNS1_10merge_implIS3_NS0_12zip_iteratorINS5_IJN6thrust23THRUST_200600_302600_NS6detail15normal_iteratorINSC_10device_ptrIKxEEEESI_EEEEESK_NSA_INS5_IJNSC_16discard_iteratorINSC_11use_defaultEEESN_EEEEEPS7_SQ_SQ_NSC_11hip_rocprim7__merge17predicate_wrapperIxxNSC_4lessIxEEEEEE10hipError_tPvRmT0_T1_T2_T3_T4_T5_mmT6_P12ihipStream_tbEUlT_E0_NS1_11comp_targetILNS1_3genE8ELNS1_11target_archE1030ELNS1_3gpuE2ELNS1_3repE0EEENS1_30default_config_static_selectorELNS0_4arch9wavefront6targetE0EEEvS11_
; %bb.0:
	.section	.rodata,"a",@progbits
	.p2align	6, 0x0
	.amdhsa_kernel _ZN7rocprim17ROCPRIM_400000_NS6detail17trampoline_kernelINS0_14default_configENS1_21merge_config_selectorINS0_5tupleIJxxEEENS0_10empty_typeEEEZNS1_10merge_implIS3_NS0_12zip_iteratorINS5_IJN6thrust23THRUST_200600_302600_NS6detail15normal_iteratorINSC_10device_ptrIKxEEEESI_EEEEESK_NSA_INS5_IJNSC_16discard_iteratorINSC_11use_defaultEEESN_EEEEEPS7_SQ_SQ_NSC_11hip_rocprim7__merge17predicate_wrapperIxxNSC_4lessIxEEEEEE10hipError_tPvRmT0_T1_T2_T3_T4_T5_mmT6_P12ihipStream_tbEUlT_E0_NS1_11comp_targetILNS1_3genE8ELNS1_11target_archE1030ELNS1_3gpuE2ELNS1_3repE0EEENS1_30default_config_static_selectorELNS0_4arch9wavefront6targetE0EEEvS11_
		.amdhsa_group_segment_fixed_size 0
		.amdhsa_private_segment_fixed_size 0
		.amdhsa_kernarg_size 128
		.amdhsa_user_sgpr_count 2
		.amdhsa_user_sgpr_dispatch_ptr 0
		.amdhsa_user_sgpr_queue_ptr 0
		.amdhsa_user_sgpr_kernarg_segment_ptr 1
		.amdhsa_user_sgpr_dispatch_id 0
		.amdhsa_user_sgpr_kernarg_preload_length 0
		.amdhsa_user_sgpr_kernarg_preload_offset 0
		.amdhsa_user_sgpr_private_segment_size 0
		.amdhsa_wavefront_size32 1
		.amdhsa_uses_dynamic_stack 0
		.amdhsa_enable_private_segment 0
		.amdhsa_system_sgpr_workgroup_id_x 1
		.amdhsa_system_sgpr_workgroup_id_y 0
		.amdhsa_system_sgpr_workgroup_id_z 0
		.amdhsa_system_sgpr_workgroup_info 0
		.amdhsa_system_vgpr_workitem_id 0
		.amdhsa_next_free_vgpr 1
		.amdhsa_next_free_sgpr 1
		.amdhsa_named_barrier_count 0
		.amdhsa_reserve_vcc 0
		.amdhsa_float_round_mode_32 0
		.amdhsa_float_round_mode_16_64 0
		.amdhsa_float_denorm_mode_32 3
		.amdhsa_float_denorm_mode_16_64 3
		.amdhsa_fp16_overflow 0
		.amdhsa_memory_ordered 1
		.amdhsa_forward_progress 1
		.amdhsa_inst_pref_size 0
		.amdhsa_round_robin_scheduling 0
		.amdhsa_exception_fp_ieee_invalid_op 0
		.amdhsa_exception_fp_denorm_src 0
		.amdhsa_exception_fp_ieee_div_zero 0
		.amdhsa_exception_fp_ieee_overflow 0
		.amdhsa_exception_fp_ieee_underflow 0
		.amdhsa_exception_fp_ieee_inexact 0
		.amdhsa_exception_int_div_zero 0
	.end_amdhsa_kernel
	.section	.text._ZN7rocprim17ROCPRIM_400000_NS6detail17trampoline_kernelINS0_14default_configENS1_21merge_config_selectorINS0_5tupleIJxxEEENS0_10empty_typeEEEZNS1_10merge_implIS3_NS0_12zip_iteratorINS5_IJN6thrust23THRUST_200600_302600_NS6detail15normal_iteratorINSC_10device_ptrIKxEEEESI_EEEEESK_NSA_INS5_IJNSC_16discard_iteratorINSC_11use_defaultEEESN_EEEEEPS7_SQ_SQ_NSC_11hip_rocprim7__merge17predicate_wrapperIxxNSC_4lessIxEEEEEE10hipError_tPvRmT0_T1_T2_T3_T4_T5_mmT6_P12ihipStream_tbEUlT_E0_NS1_11comp_targetILNS1_3genE8ELNS1_11target_archE1030ELNS1_3gpuE2ELNS1_3repE0EEENS1_30default_config_static_selectorELNS0_4arch9wavefront6targetE0EEEvS11_,"axG",@progbits,_ZN7rocprim17ROCPRIM_400000_NS6detail17trampoline_kernelINS0_14default_configENS1_21merge_config_selectorINS0_5tupleIJxxEEENS0_10empty_typeEEEZNS1_10merge_implIS3_NS0_12zip_iteratorINS5_IJN6thrust23THRUST_200600_302600_NS6detail15normal_iteratorINSC_10device_ptrIKxEEEESI_EEEEESK_NSA_INS5_IJNSC_16discard_iteratorINSC_11use_defaultEEESN_EEEEEPS7_SQ_SQ_NSC_11hip_rocprim7__merge17predicate_wrapperIxxNSC_4lessIxEEEEEE10hipError_tPvRmT0_T1_T2_T3_T4_T5_mmT6_P12ihipStream_tbEUlT_E0_NS1_11comp_targetILNS1_3genE8ELNS1_11target_archE1030ELNS1_3gpuE2ELNS1_3repE0EEENS1_30default_config_static_selectorELNS0_4arch9wavefront6targetE0EEEvS11_,comdat
.Lfunc_end586:
	.size	_ZN7rocprim17ROCPRIM_400000_NS6detail17trampoline_kernelINS0_14default_configENS1_21merge_config_selectorINS0_5tupleIJxxEEENS0_10empty_typeEEEZNS1_10merge_implIS3_NS0_12zip_iteratorINS5_IJN6thrust23THRUST_200600_302600_NS6detail15normal_iteratorINSC_10device_ptrIKxEEEESI_EEEEESK_NSA_INS5_IJNSC_16discard_iteratorINSC_11use_defaultEEESN_EEEEEPS7_SQ_SQ_NSC_11hip_rocprim7__merge17predicate_wrapperIxxNSC_4lessIxEEEEEE10hipError_tPvRmT0_T1_T2_T3_T4_T5_mmT6_P12ihipStream_tbEUlT_E0_NS1_11comp_targetILNS1_3genE8ELNS1_11target_archE1030ELNS1_3gpuE2ELNS1_3repE0EEENS1_30default_config_static_selectorELNS0_4arch9wavefront6targetE0EEEvS11_, .Lfunc_end586-_ZN7rocprim17ROCPRIM_400000_NS6detail17trampoline_kernelINS0_14default_configENS1_21merge_config_selectorINS0_5tupleIJxxEEENS0_10empty_typeEEEZNS1_10merge_implIS3_NS0_12zip_iteratorINS5_IJN6thrust23THRUST_200600_302600_NS6detail15normal_iteratorINSC_10device_ptrIKxEEEESI_EEEEESK_NSA_INS5_IJNSC_16discard_iteratorINSC_11use_defaultEEESN_EEEEEPS7_SQ_SQ_NSC_11hip_rocprim7__merge17predicate_wrapperIxxNSC_4lessIxEEEEEE10hipError_tPvRmT0_T1_T2_T3_T4_T5_mmT6_P12ihipStream_tbEUlT_E0_NS1_11comp_targetILNS1_3genE8ELNS1_11target_archE1030ELNS1_3gpuE2ELNS1_3repE0EEENS1_30default_config_static_selectorELNS0_4arch9wavefront6targetE0EEEvS11_
                                        ; -- End function
	.set _ZN7rocprim17ROCPRIM_400000_NS6detail17trampoline_kernelINS0_14default_configENS1_21merge_config_selectorINS0_5tupleIJxxEEENS0_10empty_typeEEEZNS1_10merge_implIS3_NS0_12zip_iteratorINS5_IJN6thrust23THRUST_200600_302600_NS6detail15normal_iteratorINSC_10device_ptrIKxEEEESI_EEEEESK_NSA_INS5_IJNSC_16discard_iteratorINSC_11use_defaultEEESN_EEEEEPS7_SQ_SQ_NSC_11hip_rocprim7__merge17predicate_wrapperIxxNSC_4lessIxEEEEEE10hipError_tPvRmT0_T1_T2_T3_T4_T5_mmT6_P12ihipStream_tbEUlT_E0_NS1_11comp_targetILNS1_3genE8ELNS1_11target_archE1030ELNS1_3gpuE2ELNS1_3repE0EEENS1_30default_config_static_selectorELNS0_4arch9wavefront6targetE0EEEvS11_.num_vgpr, 0
	.set _ZN7rocprim17ROCPRIM_400000_NS6detail17trampoline_kernelINS0_14default_configENS1_21merge_config_selectorINS0_5tupleIJxxEEENS0_10empty_typeEEEZNS1_10merge_implIS3_NS0_12zip_iteratorINS5_IJN6thrust23THRUST_200600_302600_NS6detail15normal_iteratorINSC_10device_ptrIKxEEEESI_EEEEESK_NSA_INS5_IJNSC_16discard_iteratorINSC_11use_defaultEEESN_EEEEEPS7_SQ_SQ_NSC_11hip_rocprim7__merge17predicate_wrapperIxxNSC_4lessIxEEEEEE10hipError_tPvRmT0_T1_T2_T3_T4_T5_mmT6_P12ihipStream_tbEUlT_E0_NS1_11comp_targetILNS1_3genE8ELNS1_11target_archE1030ELNS1_3gpuE2ELNS1_3repE0EEENS1_30default_config_static_selectorELNS0_4arch9wavefront6targetE0EEEvS11_.num_agpr, 0
	.set _ZN7rocprim17ROCPRIM_400000_NS6detail17trampoline_kernelINS0_14default_configENS1_21merge_config_selectorINS0_5tupleIJxxEEENS0_10empty_typeEEEZNS1_10merge_implIS3_NS0_12zip_iteratorINS5_IJN6thrust23THRUST_200600_302600_NS6detail15normal_iteratorINSC_10device_ptrIKxEEEESI_EEEEESK_NSA_INS5_IJNSC_16discard_iteratorINSC_11use_defaultEEESN_EEEEEPS7_SQ_SQ_NSC_11hip_rocprim7__merge17predicate_wrapperIxxNSC_4lessIxEEEEEE10hipError_tPvRmT0_T1_T2_T3_T4_T5_mmT6_P12ihipStream_tbEUlT_E0_NS1_11comp_targetILNS1_3genE8ELNS1_11target_archE1030ELNS1_3gpuE2ELNS1_3repE0EEENS1_30default_config_static_selectorELNS0_4arch9wavefront6targetE0EEEvS11_.numbered_sgpr, 0
	.set _ZN7rocprim17ROCPRIM_400000_NS6detail17trampoline_kernelINS0_14default_configENS1_21merge_config_selectorINS0_5tupleIJxxEEENS0_10empty_typeEEEZNS1_10merge_implIS3_NS0_12zip_iteratorINS5_IJN6thrust23THRUST_200600_302600_NS6detail15normal_iteratorINSC_10device_ptrIKxEEEESI_EEEEESK_NSA_INS5_IJNSC_16discard_iteratorINSC_11use_defaultEEESN_EEEEEPS7_SQ_SQ_NSC_11hip_rocprim7__merge17predicate_wrapperIxxNSC_4lessIxEEEEEE10hipError_tPvRmT0_T1_T2_T3_T4_T5_mmT6_P12ihipStream_tbEUlT_E0_NS1_11comp_targetILNS1_3genE8ELNS1_11target_archE1030ELNS1_3gpuE2ELNS1_3repE0EEENS1_30default_config_static_selectorELNS0_4arch9wavefront6targetE0EEEvS11_.num_named_barrier, 0
	.set _ZN7rocprim17ROCPRIM_400000_NS6detail17trampoline_kernelINS0_14default_configENS1_21merge_config_selectorINS0_5tupleIJxxEEENS0_10empty_typeEEEZNS1_10merge_implIS3_NS0_12zip_iteratorINS5_IJN6thrust23THRUST_200600_302600_NS6detail15normal_iteratorINSC_10device_ptrIKxEEEESI_EEEEESK_NSA_INS5_IJNSC_16discard_iteratorINSC_11use_defaultEEESN_EEEEEPS7_SQ_SQ_NSC_11hip_rocprim7__merge17predicate_wrapperIxxNSC_4lessIxEEEEEE10hipError_tPvRmT0_T1_T2_T3_T4_T5_mmT6_P12ihipStream_tbEUlT_E0_NS1_11comp_targetILNS1_3genE8ELNS1_11target_archE1030ELNS1_3gpuE2ELNS1_3repE0EEENS1_30default_config_static_selectorELNS0_4arch9wavefront6targetE0EEEvS11_.private_seg_size, 0
	.set _ZN7rocprim17ROCPRIM_400000_NS6detail17trampoline_kernelINS0_14default_configENS1_21merge_config_selectorINS0_5tupleIJxxEEENS0_10empty_typeEEEZNS1_10merge_implIS3_NS0_12zip_iteratorINS5_IJN6thrust23THRUST_200600_302600_NS6detail15normal_iteratorINSC_10device_ptrIKxEEEESI_EEEEESK_NSA_INS5_IJNSC_16discard_iteratorINSC_11use_defaultEEESN_EEEEEPS7_SQ_SQ_NSC_11hip_rocprim7__merge17predicate_wrapperIxxNSC_4lessIxEEEEEE10hipError_tPvRmT0_T1_T2_T3_T4_T5_mmT6_P12ihipStream_tbEUlT_E0_NS1_11comp_targetILNS1_3genE8ELNS1_11target_archE1030ELNS1_3gpuE2ELNS1_3repE0EEENS1_30default_config_static_selectorELNS0_4arch9wavefront6targetE0EEEvS11_.uses_vcc, 0
	.set _ZN7rocprim17ROCPRIM_400000_NS6detail17trampoline_kernelINS0_14default_configENS1_21merge_config_selectorINS0_5tupleIJxxEEENS0_10empty_typeEEEZNS1_10merge_implIS3_NS0_12zip_iteratorINS5_IJN6thrust23THRUST_200600_302600_NS6detail15normal_iteratorINSC_10device_ptrIKxEEEESI_EEEEESK_NSA_INS5_IJNSC_16discard_iteratorINSC_11use_defaultEEESN_EEEEEPS7_SQ_SQ_NSC_11hip_rocprim7__merge17predicate_wrapperIxxNSC_4lessIxEEEEEE10hipError_tPvRmT0_T1_T2_T3_T4_T5_mmT6_P12ihipStream_tbEUlT_E0_NS1_11comp_targetILNS1_3genE8ELNS1_11target_archE1030ELNS1_3gpuE2ELNS1_3repE0EEENS1_30default_config_static_selectorELNS0_4arch9wavefront6targetE0EEEvS11_.uses_flat_scratch, 0
	.set _ZN7rocprim17ROCPRIM_400000_NS6detail17trampoline_kernelINS0_14default_configENS1_21merge_config_selectorINS0_5tupleIJxxEEENS0_10empty_typeEEEZNS1_10merge_implIS3_NS0_12zip_iteratorINS5_IJN6thrust23THRUST_200600_302600_NS6detail15normal_iteratorINSC_10device_ptrIKxEEEESI_EEEEESK_NSA_INS5_IJNSC_16discard_iteratorINSC_11use_defaultEEESN_EEEEEPS7_SQ_SQ_NSC_11hip_rocprim7__merge17predicate_wrapperIxxNSC_4lessIxEEEEEE10hipError_tPvRmT0_T1_T2_T3_T4_T5_mmT6_P12ihipStream_tbEUlT_E0_NS1_11comp_targetILNS1_3genE8ELNS1_11target_archE1030ELNS1_3gpuE2ELNS1_3repE0EEENS1_30default_config_static_selectorELNS0_4arch9wavefront6targetE0EEEvS11_.has_dyn_sized_stack, 0
	.set _ZN7rocprim17ROCPRIM_400000_NS6detail17trampoline_kernelINS0_14default_configENS1_21merge_config_selectorINS0_5tupleIJxxEEENS0_10empty_typeEEEZNS1_10merge_implIS3_NS0_12zip_iteratorINS5_IJN6thrust23THRUST_200600_302600_NS6detail15normal_iteratorINSC_10device_ptrIKxEEEESI_EEEEESK_NSA_INS5_IJNSC_16discard_iteratorINSC_11use_defaultEEESN_EEEEEPS7_SQ_SQ_NSC_11hip_rocprim7__merge17predicate_wrapperIxxNSC_4lessIxEEEEEE10hipError_tPvRmT0_T1_T2_T3_T4_T5_mmT6_P12ihipStream_tbEUlT_E0_NS1_11comp_targetILNS1_3genE8ELNS1_11target_archE1030ELNS1_3gpuE2ELNS1_3repE0EEENS1_30default_config_static_selectorELNS0_4arch9wavefront6targetE0EEEvS11_.has_recursion, 0
	.set _ZN7rocprim17ROCPRIM_400000_NS6detail17trampoline_kernelINS0_14default_configENS1_21merge_config_selectorINS0_5tupleIJxxEEENS0_10empty_typeEEEZNS1_10merge_implIS3_NS0_12zip_iteratorINS5_IJN6thrust23THRUST_200600_302600_NS6detail15normal_iteratorINSC_10device_ptrIKxEEEESI_EEEEESK_NSA_INS5_IJNSC_16discard_iteratorINSC_11use_defaultEEESN_EEEEEPS7_SQ_SQ_NSC_11hip_rocprim7__merge17predicate_wrapperIxxNSC_4lessIxEEEEEE10hipError_tPvRmT0_T1_T2_T3_T4_T5_mmT6_P12ihipStream_tbEUlT_E0_NS1_11comp_targetILNS1_3genE8ELNS1_11target_archE1030ELNS1_3gpuE2ELNS1_3repE0EEENS1_30default_config_static_selectorELNS0_4arch9wavefront6targetE0EEEvS11_.has_indirect_call, 0
	.section	.AMDGPU.csdata,"",@progbits
; Kernel info:
; codeLenInByte = 0
; TotalNumSgprs: 0
; NumVgprs: 0
; ScratchSize: 0
; MemoryBound: 0
; FloatMode: 240
; IeeeMode: 1
; LDSByteSize: 0 bytes/workgroup (compile time only)
; SGPRBlocks: 0
; VGPRBlocks: 0
; NumSGPRsForWavesPerEU: 1
; NumVGPRsForWavesPerEU: 1
; NamedBarCnt: 0
; Occupancy: 16
; WaveLimiterHint : 0
; COMPUTE_PGM_RSRC2:SCRATCH_EN: 0
; COMPUTE_PGM_RSRC2:USER_SGPR: 2
; COMPUTE_PGM_RSRC2:TRAP_HANDLER: 0
; COMPUTE_PGM_RSRC2:TGID_X_EN: 1
; COMPUTE_PGM_RSRC2:TGID_Y_EN: 0
; COMPUTE_PGM_RSRC2:TGID_Z_EN: 0
; COMPUTE_PGM_RSRC2:TIDIG_COMP_CNT: 0
	.section	.text._ZN7rocprim17ROCPRIM_400000_NS6detail17trampoline_kernelINS0_14default_configENS1_21merge_config_selectorINS0_5tupleIJiiEEENS0_10empty_typeEEEZNS1_10merge_implIS3_NS0_12zip_iteratorINS5_IJN6thrust23THRUST_200600_302600_NS6detail15normal_iteratorINSC_10device_ptrIKiEEEESI_EEEEESK_NSA_INS5_IJNSC_16discard_iteratorINSC_11use_defaultEEESN_EEEEEPS7_SQ_SQ_NSC_11hip_rocprim7__merge17predicate_wrapperIiiNSC_4lessIiEEEEEE10hipError_tPvRmT0_T1_T2_T3_T4_T5_mmT6_P12ihipStream_tbEUlT_E_NS1_11comp_targetILNS1_3genE0ELNS1_11target_archE4294967295ELNS1_3gpuE0ELNS1_3repE0EEENS1_30default_config_static_selectorELNS0_4arch9wavefront6targetE0EEEvS11_,"axG",@progbits,_ZN7rocprim17ROCPRIM_400000_NS6detail17trampoline_kernelINS0_14default_configENS1_21merge_config_selectorINS0_5tupleIJiiEEENS0_10empty_typeEEEZNS1_10merge_implIS3_NS0_12zip_iteratorINS5_IJN6thrust23THRUST_200600_302600_NS6detail15normal_iteratorINSC_10device_ptrIKiEEEESI_EEEEESK_NSA_INS5_IJNSC_16discard_iteratorINSC_11use_defaultEEESN_EEEEEPS7_SQ_SQ_NSC_11hip_rocprim7__merge17predicate_wrapperIiiNSC_4lessIiEEEEEE10hipError_tPvRmT0_T1_T2_T3_T4_T5_mmT6_P12ihipStream_tbEUlT_E_NS1_11comp_targetILNS1_3genE0ELNS1_11target_archE4294967295ELNS1_3gpuE0ELNS1_3repE0EEENS1_30default_config_static_selectorELNS0_4arch9wavefront6targetE0EEEvS11_,comdat
	.protected	_ZN7rocprim17ROCPRIM_400000_NS6detail17trampoline_kernelINS0_14default_configENS1_21merge_config_selectorINS0_5tupleIJiiEEENS0_10empty_typeEEEZNS1_10merge_implIS3_NS0_12zip_iteratorINS5_IJN6thrust23THRUST_200600_302600_NS6detail15normal_iteratorINSC_10device_ptrIKiEEEESI_EEEEESK_NSA_INS5_IJNSC_16discard_iteratorINSC_11use_defaultEEESN_EEEEEPS7_SQ_SQ_NSC_11hip_rocprim7__merge17predicate_wrapperIiiNSC_4lessIiEEEEEE10hipError_tPvRmT0_T1_T2_T3_T4_T5_mmT6_P12ihipStream_tbEUlT_E_NS1_11comp_targetILNS1_3genE0ELNS1_11target_archE4294967295ELNS1_3gpuE0ELNS1_3repE0EEENS1_30default_config_static_selectorELNS0_4arch9wavefront6targetE0EEEvS11_ ; -- Begin function _ZN7rocprim17ROCPRIM_400000_NS6detail17trampoline_kernelINS0_14default_configENS1_21merge_config_selectorINS0_5tupleIJiiEEENS0_10empty_typeEEEZNS1_10merge_implIS3_NS0_12zip_iteratorINS5_IJN6thrust23THRUST_200600_302600_NS6detail15normal_iteratorINSC_10device_ptrIKiEEEESI_EEEEESK_NSA_INS5_IJNSC_16discard_iteratorINSC_11use_defaultEEESN_EEEEEPS7_SQ_SQ_NSC_11hip_rocprim7__merge17predicate_wrapperIiiNSC_4lessIiEEEEEE10hipError_tPvRmT0_T1_T2_T3_T4_T5_mmT6_P12ihipStream_tbEUlT_E_NS1_11comp_targetILNS1_3genE0ELNS1_11target_archE4294967295ELNS1_3gpuE0ELNS1_3repE0EEENS1_30default_config_static_selectorELNS0_4arch9wavefront6targetE0EEEvS11_
	.globl	_ZN7rocprim17ROCPRIM_400000_NS6detail17trampoline_kernelINS0_14default_configENS1_21merge_config_selectorINS0_5tupleIJiiEEENS0_10empty_typeEEEZNS1_10merge_implIS3_NS0_12zip_iteratorINS5_IJN6thrust23THRUST_200600_302600_NS6detail15normal_iteratorINSC_10device_ptrIKiEEEESI_EEEEESK_NSA_INS5_IJNSC_16discard_iteratorINSC_11use_defaultEEESN_EEEEEPS7_SQ_SQ_NSC_11hip_rocprim7__merge17predicate_wrapperIiiNSC_4lessIiEEEEEE10hipError_tPvRmT0_T1_T2_T3_T4_T5_mmT6_P12ihipStream_tbEUlT_E_NS1_11comp_targetILNS1_3genE0ELNS1_11target_archE4294967295ELNS1_3gpuE0ELNS1_3repE0EEENS1_30default_config_static_selectorELNS0_4arch9wavefront6targetE0EEEvS11_
	.p2align	8
	.type	_ZN7rocprim17ROCPRIM_400000_NS6detail17trampoline_kernelINS0_14default_configENS1_21merge_config_selectorINS0_5tupleIJiiEEENS0_10empty_typeEEEZNS1_10merge_implIS3_NS0_12zip_iteratorINS5_IJN6thrust23THRUST_200600_302600_NS6detail15normal_iteratorINSC_10device_ptrIKiEEEESI_EEEEESK_NSA_INS5_IJNSC_16discard_iteratorINSC_11use_defaultEEESN_EEEEEPS7_SQ_SQ_NSC_11hip_rocprim7__merge17predicate_wrapperIiiNSC_4lessIiEEEEEE10hipError_tPvRmT0_T1_T2_T3_T4_T5_mmT6_P12ihipStream_tbEUlT_E_NS1_11comp_targetILNS1_3genE0ELNS1_11target_archE4294967295ELNS1_3gpuE0ELNS1_3repE0EEENS1_30default_config_static_selectorELNS0_4arch9wavefront6targetE0EEEvS11_,@function
_ZN7rocprim17ROCPRIM_400000_NS6detail17trampoline_kernelINS0_14default_configENS1_21merge_config_selectorINS0_5tupleIJiiEEENS0_10empty_typeEEEZNS1_10merge_implIS3_NS0_12zip_iteratorINS5_IJN6thrust23THRUST_200600_302600_NS6detail15normal_iteratorINSC_10device_ptrIKiEEEESI_EEEEESK_NSA_INS5_IJNSC_16discard_iteratorINSC_11use_defaultEEESN_EEEEEPS7_SQ_SQ_NSC_11hip_rocprim7__merge17predicate_wrapperIiiNSC_4lessIiEEEEEE10hipError_tPvRmT0_T1_T2_T3_T4_T5_mmT6_P12ihipStream_tbEUlT_E_NS1_11comp_targetILNS1_3genE0ELNS1_11target_archE4294967295ELNS1_3gpuE0ELNS1_3repE0EEENS1_30default_config_static_selectorELNS0_4arch9wavefront6targetE0EEEvS11_: ; @_ZN7rocprim17ROCPRIM_400000_NS6detail17trampoline_kernelINS0_14default_configENS1_21merge_config_selectorINS0_5tupleIJiiEEENS0_10empty_typeEEEZNS1_10merge_implIS3_NS0_12zip_iteratorINS5_IJN6thrust23THRUST_200600_302600_NS6detail15normal_iteratorINSC_10device_ptrIKiEEEESI_EEEEESK_NSA_INS5_IJNSC_16discard_iteratorINSC_11use_defaultEEESN_EEEEEPS7_SQ_SQ_NSC_11hip_rocprim7__merge17predicate_wrapperIiiNSC_4lessIiEEEEEE10hipError_tPvRmT0_T1_T2_T3_T4_T5_mmT6_P12ihipStream_tbEUlT_E_NS1_11comp_targetILNS1_3genE0ELNS1_11target_archE4294967295ELNS1_3gpuE0ELNS1_3repE0EEENS1_30default_config_static_selectorELNS0_4arch9wavefront6targetE0EEEvS11_
; %bb.0:
	s_clause 0x2
	s_load_b32 s4, s[0:1], 0x38
	s_load_b32 s2, s[0:1], 0x4c
	s_load_b128 s[8:11], s[0:1], 0x28
	s_getreg_b32 s7, hwreg(HW_REG_IB_STS2, 6, 4)
	s_wait_kmcnt 0x0
	s_cvt_f32_u32 s3, s4
	s_and_b32 s6, s2, 0xffff
	s_and_b32 s2, ttmp6, 15
	s_delay_alu instid0(SALU_CYCLE_1) | instskip(SKIP_1) | instid1(SALU_CYCLE_1)
	v_rcp_iflag_f32_e32 v1, s3
	s_bfe_u32 s3, ttmp6, 0x4000c
	s_add_co_i32 s3, s3, 1
	s_delay_alu instid0(SALU_CYCLE_1) | instskip(NEXT) | instid1(SALU_CYCLE_1)
	s_mul_i32 s3, ttmp9, s3
	s_add_co_i32 s2, s2, s3
	v_nop
	s_delay_alu instid0(TRANS32_DEP_1)
	v_readfirstlane_b32 s5, v1
	s_cmp_eq_u32 s7, 0
	s_cselect_b32 s7, ttmp9, s2
	s_sub_co_i32 s12, 0, s4
	s_mul_f32 s5, s5, 0x4f7ffffe
	s_add_nc_u64 s[2:3], s[10:11], s[8:9]
	v_mad_u32 v6, s7, s6, v0
	s_add_co_i32 s13, s4, s2
	s_cvt_u32_f32 s5, s5
	s_add_co_i32 s13, s13, -1
	s_delay_alu instid0(SALU_CYCLE_2) | instskip(NEXT) | instid1(SALU_CYCLE_1)
	s_mul_i32 s12, s12, s5
	s_mul_hi_u32 s12, s5, s12
	s_delay_alu instid0(SALU_CYCLE_1) | instskip(NEXT) | instid1(SALU_CYCLE_1)
	s_add_co_i32 s5, s5, s12
	s_mul_hi_u32 s5, s13, s5
	s_delay_alu instid0(SALU_CYCLE_1) | instskip(SKIP_2) | instid1(SALU_CYCLE_1)
	s_mul_i32 s12, s5, s4
	s_add_co_i32 s7, s5, 1
	s_sub_co_i32 s6, s13, s12
	s_sub_co_i32 s12, s6, s4
	s_cmp_ge_u32 s6, s4
	s_cselect_b32 s5, s7, s5
	s_cselect_b32 s6, s12, s6
	s_add_co_i32 s7, s5, 1
	s_cmp_ge_u32 s6, s4
	s_cselect_b32 s5, s7, s5
	s_delay_alu instid0(SALU_CYCLE_1)
	v_cmp_ge_u32_e32 vcc_lo, s5, v6
	s_and_saveexec_b32 s5, vcc_lo
	s_cbranch_execz .LBB587_6
; %bb.1:
	v_mul_lo_u32 v0, v6, s4
	v_mov_b32_e32 v1, 0
	s_load_b128 s[4:7], s[0:1], 0x0
	s_delay_alu instid0(VALU_DEP_1) | instskip(SKIP_1) | instid1(VALU_DEP_1)
	v_min_u64 v[4:5], v[0:1], s[2:3]
	s_mov_b32 s2, exec_lo
	v_max_u64 v[0:1], v[4:5], s[10:11]
	v_min_u64 v[2:3], v[4:5], s[8:9]
	s_delay_alu instid0(VALU_DEP_2) | instskip(NEXT) | instid1(VALU_DEP_1)
	v_sub_nc_u64_e64 v[0:1], v[0:1], s[10:11]
	v_cmpx_lt_u64_e64 v[0:1], v[2:3]
	s_cbranch_execz .LBB587_5
; %bb.2:
	s_wait_xcnt 0x0
	s_load_b64 s[0:1], s[0:1], 0x18
	s_wait_kmcnt 0x0
	v_lshl_add_u64 v[4:5], v[4:5], 2, s[0:1]
	s_mov_b32 s0, 0
.LBB587_3:                              ; =>This Inner Loop Header: Depth=1
	v_add_nc_u64_e32 v[8:9], v[2:3], v[0:1]
	s_delay_alu instid0(VALU_DEP_1) | instskip(NEXT) | instid1(VALU_DEP_1)
	v_lshrrev_b64 v[8:9], 1, v[8:9]
	v_lshlrev_b64_e32 v[10:11], 2, v[8:9]
	s_delay_alu instid0(VALU_DEP_1) | instskip(NEXT) | instid1(VALU_DEP_2)
	v_xor_b32_e32 v13, -1, v11
	v_xor_b32_e32 v12, -4, v10
	v_add_nc_u64_e32 v[10:11], s[6:7], v[10:11]
	s_delay_alu instid0(VALU_DEP_2)
	v_add_nc_u64_e32 v[12:13], v[4:5], v[12:13]
	global_load_b32 v7, v[10:11], off
	global_load_b32 v14, v[12:13], off
	s_wait_xcnt 0x1
	v_add_nc_u64_e32 v[10:11], 1, v[8:9]
	s_wait_loadcnt 0x0
	v_cmp_lt_i32_e32 vcc_lo, v14, v7
	v_dual_cndmask_b32 v3, v3, v9 :: v_dual_cndmask_b32 v2, v2, v8
	s_delay_alu instid0(VALU_DEP_3) | instskip(NEXT) | instid1(VALU_DEP_1)
	v_dual_cndmask_b32 v1, v11, v1 :: v_dual_cndmask_b32 v0, v10, v0
	v_cmp_ge_u64_e32 vcc_lo, v[0:1], v[2:3]
	s_or_b32 s0, vcc_lo, s0
	s_delay_alu instid0(SALU_CYCLE_1)
	s_and_not1_b32 exec_lo, exec_lo, s0
	s_cbranch_execnz .LBB587_3
; %bb.4:
	s_or_b32 exec_lo, exec_lo, s0
.LBB587_5:
	s_delay_alu instid0(SALU_CYCLE_1)
	s_or_b32 exec_lo, exec_lo, s2
	s_wait_kmcnt 0x0
	global_store_b32 v6, v0, s[4:5] scale_offset
.LBB587_6:
	s_endpgm
	.section	.rodata,"a",@progbits
	.p2align	6, 0x0
	.amdhsa_kernel _ZN7rocprim17ROCPRIM_400000_NS6detail17trampoline_kernelINS0_14default_configENS1_21merge_config_selectorINS0_5tupleIJiiEEENS0_10empty_typeEEEZNS1_10merge_implIS3_NS0_12zip_iteratorINS5_IJN6thrust23THRUST_200600_302600_NS6detail15normal_iteratorINSC_10device_ptrIKiEEEESI_EEEEESK_NSA_INS5_IJNSC_16discard_iteratorINSC_11use_defaultEEESN_EEEEEPS7_SQ_SQ_NSC_11hip_rocprim7__merge17predicate_wrapperIiiNSC_4lessIiEEEEEE10hipError_tPvRmT0_T1_T2_T3_T4_T5_mmT6_P12ihipStream_tbEUlT_E_NS1_11comp_targetILNS1_3genE0ELNS1_11target_archE4294967295ELNS1_3gpuE0ELNS1_3repE0EEENS1_30default_config_static_selectorELNS0_4arch9wavefront6targetE0EEEvS11_
		.amdhsa_group_segment_fixed_size 0
		.amdhsa_private_segment_fixed_size 0
		.amdhsa_kernarg_size 320
		.amdhsa_user_sgpr_count 2
		.amdhsa_user_sgpr_dispatch_ptr 0
		.amdhsa_user_sgpr_queue_ptr 0
		.amdhsa_user_sgpr_kernarg_segment_ptr 1
		.amdhsa_user_sgpr_dispatch_id 0
		.amdhsa_user_sgpr_kernarg_preload_length 0
		.amdhsa_user_sgpr_kernarg_preload_offset 0
		.amdhsa_user_sgpr_private_segment_size 0
		.amdhsa_wavefront_size32 1
		.amdhsa_uses_dynamic_stack 0
		.amdhsa_enable_private_segment 0
		.amdhsa_system_sgpr_workgroup_id_x 1
		.amdhsa_system_sgpr_workgroup_id_y 0
		.amdhsa_system_sgpr_workgroup_id_z 0
		.amdhsa_system_sgpr_workgroup_info 0
		.amdhsa_system_vgpr_workitem_id 0
		.amdhsa_next_free_vgpr 15
		.amdhsa_next_free_sgpr 14
		.amdhsa_named_barrier_count 0
		.amdhsa_reserve_vcc 1
		.amdhsa_float_round_mode_32 0
		.amdhsa_float_round_mode_16_64 0
		.amdhsa_float_denorm_mode_32 3
		.amdhsa_float_denorm_mode_16_64 3
		.amdhsa_fp16_overflow 0
		.amdhsa_memory_ordered 1
		.amdhsa_forward_progress 1
		.amdhsa_inst_pref_size 4
		.amdhsa_round_robin_scheduling 0
		.amdhsa_exception_fp_ieee_invalid_op 0
		.amdhsa_exception_fp_denorm_src 0
		.amdhsa_exception_fp_ieee_div_zero 0
		.amdhsa_exception_fp_ieee_overflow 0
		.amdhsa_exception_fp_ieee_underflow 0
		.amdhsa_exception_fp_ieee_inexact 0
		.amdhsa_exception_int_div_zero 0
	.end_amdhsa_kernel
	.section	.text._ZN7rocprim17ROCPRIM_400000_NS6detail17trampoline_kernelINS0_14default_configENS1_21merge_config_selectorINS0_5tupleIJiiEEENS0_10empty_typeEEEZNS1_10merge_implIS3_NS0_12zip_iteratorINS5_IJN6thrust23THRUST_200600_302600_NS6detail15normal_iteratorINSC_10device_ptrIKiEEEESI_EEEEESK_NSA_INS5_IJNSC_16discard_iteratorINSC_11use_defaultEEESN_EEEEEPS7_SQ_SQ_NSC_11hip_rocprim7__merge17predicate_wrapperIiiNSC_4lessIiEEEEEE10hipError_tPvRmT0_T1_T2_T3_T4_T5_mmT6_P12ihipStream_tbEUlT_E_NS1_11comp_targetILNS1_3genE0ELNS1_11target_archE4294967295ELNS1_3gpuE0ELNS1_3repE0EEENS1_30default_config_static_selectorELNS0_4arch9wavefront6targetE0EEEvS11_,"axG",@progbits,_ZN7rocprim17ROCPRIM_400000_NS6detail17trampoline_kernelINS0_14default_configENS1_21merge_config_selectorINS0_5tupleIJiiEEENS0_10empty_typeEEEZNS1_10merge_implIS3_NS0_12zip_iteratorINS5_IJN6thrust23THRUST_200600_302600_NS6detail15normal_iteratorINSC_10device_ptrIKiEEEESI_EEEEESK_NSA_INS5_IJNSC_16discard_iteratorINSC_11use_defaultEEESN_EEEEEPS7_SQ_SQ_NSC_11hip_rocprim7__merge17predicate_wrapperIiiNSC_4lessIiEEEEEE10hipError_tPvRmT0_T1_T2_T3_T4_T5_mmT6_P12ihipStream_tbEUlT_E_NS1_11comp_targetILNS1_3genE0ELNS1_11target_archE4294967295ELNS1_3gpuE0ELNS1_3repE0EEENS1_30default_config_static_selectorELNS0_4arch9wavefront6targetE0EEEvS11_,comdat
.Lfunc_end587:
	.size	_ZN7rocprim17ROCPRIM_400000_NS6detail17trampoline_kernelINS0_14default_configENS1_21merge_config_selectorINS0_5tupleIJiiEEENS0_10empty_typeEEEZNS1_10merge_implIS3_NS0_12zip_iteratorINS5_IJN6thrust23THRUST_200600_302600_NS6detail15normal_iteratorINSC_10device_ptrIKiEEEESI_EEEEESK_NSA_INS5_IJNSC_16discard_iteratorINSC_11use_defaultEEESN_EEEEEPS7_SQ_SQ_NSC_11hip_rocprim7__merge17predicate_wrapperIiiNSC_4lessIiEEEEEE10hipError_tPvRmT0_T1_T2_T3_T4_T5_mmT6_P12ihipStream_tbEUlT_E_NS1_11comp_targetILNS1_3genE0ELNS1_11target_archE4294967295ELNS1_3gpuE0ELNS1_3repE0EEENS1_30default_config_static_selectorELNS0_4arch9wavefront6targetE0EEEvS11_, .Lfunc_end587-_ZN7rocprim17ROCPRIM_400000_NS6detail17trampoline_kernelINS0_14default_configENS1_21merge_config_selectorINS0_5tupleIJiiEEENS0_10empty_typeEEEZNS1_10merge_implIS3_NS0_12zip_iteratorINS5_IJN6thrust23THRUST_200600_302600_NS6detail15normal_iteratorINSC_10device_ptrIKiEEEESI_EEEEESK_NSA_INS5_IJNSC_16discard_iteratorINSC_11use_defaultEEESN_EEEEEPS7_SQ_SQ_NSC_11hip_rocprim7__merge17predicate_wrapperIiiNSC_4lessIiEEEEEE10hipError_tPvRmT0_T1_T2_T3_T4_T5_mmT6_P12ihipStream_tbEUlT_E_NS1_11comp_targetILNS1_3genE0ELNS1_11target_archE4294967295ELNS1_3gpuE0ELNS1_3repE0EEENS1_30default_config_static_selectorELNS0_4arch9wavefront6targetE0EEEvS11_
                                        ; -- End function
	.set _ZN7rocprim17ROCPRIM_400000_NS6detail17trampoline_kernelINS0_14default_configENS1_21merge_config_selectorINS0_5tupleIJiiEEENS0_10empty_typeEEEZNS1_10merge_implIS3_NS0_12zip_iteratorINS5_IJN6thrust23THRUST_200600_302600_NS6detail15normal_iteratorINSC_10device_ptrIKiEEEESI_EEEEESK_NSA_INS5_IJNSC_16discard_iteratorINSC_11use_defaultEEESN_EEEEEPS7_SQ_SQ_NSC_11hip_rocprim7__merge17predicate_wrapperIiiNSC_4lessIiEEEEEE10hipError_tPvRmT0_T1_T2_T3_T4_T5_mmT6_P12ihipStream_tbEUlT_E_NS1_11comp_targetILNS1_3genE0ELNS1_11target_archE4294967295ELNS1_3gpuE0ELNS1_3repE0EEENS1_30default_config_static_selectorELNS0_4arch9wavefront6targetE0EEEvS11_.num_vgpr, 15
	.set _ZN7rocprim17ROCPRIM_400000_NS6detail17trampoline_kernelINS0_14default_configENS1_21merge_config_selectorINS0_5tupleIJiiEEENS0_10empty_typeEEEZNS1_10merge_implIS3_NS0_12zip_iteratorINS5_IJN6thrust23THRUST_200600_302600_NS6detail15normal_iteratorINSC_10device_ptrIKiEEEESI_EEEEESK_NSA_INS5_IJNSC_16discard_iteratorINSC_11use_defaultEEESN_EEEEEPS7_SQ_SQ_NSC_11hip_rocprim7__merge17predicate_wrapperIiiNSC_4lessIiEEEEEE10hipError_tPvRmT0_T1_T2_T3_T4_T5_mmT6_P12ihipStream_tbEUlT_E_NS1_11comp_targetILNS1_3genE0ELNS1_11target_archE4294967295ELNS1_3gpuE0ELNS1_3repE0EEENS1_30default_config_static_selectorELNS0_4arch9wavefront6targetE0EEEvS11_.num_agpr, 0
	.set _ZN7rocprim17ROCPRIM_400000_NS6detail17trampoline_kernelINS0_14default_configENS1_21merge_config_selectorINS0_5tupleIJiiEEENS0_10empty_typeEEEZNS1_10merge_implIS3_NS0_12zip_iteratorINS5_IJN6thrust23THRUST_200600_302600_NS6detail15normal_iteratorINSC_10device_ptrIKiEEEESI_EEEEESK_NSA_INS5_IJNSC_16discard_iteratorINSC_11use_defaultEEESN_EEEEEPS7_SQ_SQ_NSC_11hip_rocprim7__merge17predicate_wrapperIiiNSC_4lessIiEEEEEE10hipError_tPvRmT0_T1_T2_T3_T4_T5_mmT6_P12ihipStream_tbEUlT_E_NS1_11comp_targetILNS1_3genE0ELNS1_11target_archE4294967295ELNS1_3gpuE0ELNS1_3repE0EEENS1_30default_config_static_selectorELNS0_4arch9wavefront6targetE0EEEvS11_.numbered_sgpr, 14
	.set _ZN7rocprim17ROCPRIM_400000_NS6detail17trampoline_kernelINS0_14default_configENS1_21merge_config_selectorINS0_5tupleIJiiEEENS0_10empty_typeEEEZNS1_10merge_implIS3_NS0_12zip_iteratorINS5_IJN6thrust23THRUST_200600_302600_NS6detail15normal_iteratorINSC_10device_ptrIKiEEEESI_EEEEESK_NSA_INS5_IJNSC_16discard_iteratorINSC_11use_defaultEEESN_EEEEEPS7_SQ_SQ_NSC_11hip_rocprim7__merge17predicate_wrapperIiiNSC_4lessIiEEEEEE10hipError_tPvRmT0_T1_T2_T3_T4_T5_mmT6_P12ihipStream_tbEUlT_E_NS1_11comp_targetILNS1_3genE0ELNS1_11target_archE4294967295ELNS1_3gpuE0ELNS1_3repE0EEENS1_30default_config_static_selectorELNS0_4arch9wavefront6targetE0EEEvS11_.num_named_barrier, 0
	.set _ZN7rocprim17ROCPRIM_400000_NS6detail17trampoline_kernelINS0_14default_configENS1_21merge_config_selectorINS0_5tupleIJiiEEENS0_10empty_typeEEEZNS1_10merge_implIS3_NS0_12zip_iteratorINS5_IJN6thrust23THRUST_200600_302600_NS6detail15normal_iteratorINSC_10device_ptrIKiEEEESI_EEEEESK_NSA_INS5_IJNSC_16discard_iteratorINSC_11use_defaultEEESN_EEEEEPS7_SQ_SQ_NSC_11hip_rocprim7__merge17predicate_wrapperIiiNSC_4lessIiEEEEEE10hipError_tPvRmT0_T1_T2_T3_T4_T5_mmT6_P12ihipStream_tbEUlT_E_NS1_11comp_targetILNS1_3genE0ELNS1_11target_archE4294967295ELNS1_3gpuE0ELNS1_3repE0EEENS1_30default_config_static_selectorELNS0_4arch9wavefront6targetE0EEEvS11_.private_seg_size, 0
	.set _ZN7rocprim17ROCPRIM_400000_NS6detail17trampoline_kernelINS0_14default_configENS1_21merge_config_selectorINS0_5tupleIJiiEEENS0_10empty_typeEEEZNS1_10merge_implIS3_NS0_12zip_iteratorINS5_IJN6thrust23THRUST_200600_302600_NS6detail15normal_iteratorINSC_10device_ptrIKiEEEESI_EEEEESK_NSA_INS5_IJNSC_16discard_iteratorINSC_11use_defaultEEESN_EEEEEPS7_SQ_SQ_NSC_11hip_rocprim7__merge17predicate_wrapperIiiNSC_4lessIiEEEEEE10hipError_tPvRmT0_T1_T2_T3_T4_T5_mmT6_P12ihipStream_tbEUlT_E_NS1_11comp_targetILNS1_3genE0ELNS1_11target_archE4294967295ELNS1_3gpuE0ELNS1_3repE0EEENS1_30default_config_static_selectorELNS0_4arch9wavefront6targetE0EEEvS11_.uses_vcc, 1
	.set _ZN7rocprim17ROCPRIM_400000_NS6detail17trampoline_kernelINS0_14default_configENS1_21merge_config_selectorINS0_5tupleIJiiEEENS0_10empty_typeEEEZNS1_10merge_implIS3_NS0_12zip_iteratorINS5_IJN6thrust23THRUST_200600_302600_NS6detail15normal_iteratorINSC_10device_ptrIKiEEEESI_EEEEESK_NSA_INS5_IJNSC_16discard_iteratorINSC_11use_defaultEEESN_EEEEEPS7_SQ_SQ_NSC_11hip_rocprim7__merge17predicate_wrapperIiiNSC_4lessIiEEEEEE10hipError_tPvRmT0_T1_T2_T3_T4_T5_mmT6_P12ihipStream_tbEUlT_E_NS1_11comp_targetILNS1_3genE0ELNS1_11target_archE4294967295ELNS1_3gpuE0ELNS1_3repE0EEENS1_30default_config_static_selectorELNS0_4arch9wavefront6targetE0EEEvS11_.uses_flat_scratch, 0
	.set _ZN7rocprim17ROCPRIM_400000_NS6detail17trampoline_kernelINS0_14default_configENS1_21merge_config_selectorINS0_5tupleIJiiEEENS0_10empty_typeEEEZNS1_10merge_implIS3_NS0_12zip_iteratorINS5_IJN6thrust23THRUST_200600_302600_NS6detail15normal_iteratorINSC_10device_ptrIKiEEEESI_EEEEESK_NSA_INS5_IJNSC_16discard_iteratorINSC_11use_defaultEEESN_EEEEEPS7_SQ_SQ_NSC_11hip_rocprim7__merge17predicate_wrapperIiiNSC_4lessIiEEEEEE10hipError_tPvRmT0_T1_T2_T3_T4_T5_mmT6_P12ihipStream_tbEUlT_E_NS1_11comp_targetILNS1_3genE0ELNS1_11target_archE4294967295ELNS1_3gpuE0ELNS1_3repE0EEENS1_30default_config_static_selectorELNS0_4arch9wavefront6targetE0EEEvS11_.has_dyn_sized_stack, 0
	.set _ZN7rocprim17ROCPRIM_400000_NS6detail17trampoline_kernelINS0_14default_configENS1_21merge_config_selectorINS0_5tupleIJiiEEENS0_10empty_typeEEEZNS1_10merge_implIS3_NS0_12zip_iteratorINS5_IJN6thrust23THRUST_200600_302600_NS6detail15normal_iteratorINSC_10device_ptrIKiEEEESI_EEEEESK_NSA_INS5_IJNSC_16discard_iteratorINSC_11use_defaultEEESN_EEEEEPS7_SQ_SQ_NSC_11hip_rocprim7__merge17predicate_wrapperIiiNSC_4lessIiEEEEEE10hipError_tPvRmT0_T1_T2_T3_T4_T5_mmT6_P12ihipStream_tbEUlT_E_NS1_11comp_targetILNS1_3genE0ELNS1_11target_archE4294967295ELNS1_3gpuE0ELNS1_3repE0EEENS1_30default_config_static_selectorELNS0_4arch9wavefront6targetE0EEEvS11_.has_recursion, 0
	.set _ZN7rocprim17ROCPRIM_400000_NS6detail17trampoline_kernelINS0_14default_configENS1_21merge_config_selectorINS0_5tupleIJiiEEENS0_10empty_typeEEEZNS1_10merge_implIS3_NS0_12zip_iteratorINS5_IJN6thrust23THRUST_200600_302600_NS6detail15normal_iteratorINSC_10device_ptrIKiEEEESI_EEEEESK_NSA_INS5_IJNSC_16discard_iteratorINSC_11use_defaultEEESN_EEEEEPS7_SQ_SQ_NSC_11hip_rocprim7__merge17predicate_wrapperIiiNSC_4lessIiEEEEEE10hipError_tPvRmT0_T1_T2_T3_T4_T5_mmT6_P12ihipStream_tbEUlT_E_NS1_11comp_targetILNS1_3genE0ELNS1_11target_archE4294967295ELNS1_3gpuE0ELNS1_3repE0EEENS1_30default_config_static_selectorELNS0_4arch9wavefront6targetE0EEEvS11_.has_indirect_call, 0
	.section	.AMDGPU.csdata,"",@progbits
; Kernel info:
; codeLenInByte = 484
; TotalNumSgprs: 16
; NumVgprs: 15
; ScratchSize: 0
; MemoryBound: 0
; FloatMode: 240
; IeeeMode: 1
; LDSByteSize: 0 bytes/workgroup (compile time only)
; SGPRBlocks: 0
; VGPRBlocks: 0
; NumSGPRsForWavesPerEU: 16
; NumVGPRsForWavesPerEU: 15
; NamedBarCnt: 0
; Occupancy: 16
; WaveLimiterHint : 0
; COMPUTE_PGM_RSRC2:SCRATCH_EN: 0
; COMPUTE_PGM_RSRC2:USER_SGPR: 2
; COMPUTE_PGM_RSRC2:TRAP_HANDLER: 0
; COMPUTE_PGM_RSRC2:TGID_X_EN: 1
; COMPUTE_PGM_RSRC2:TGID_Y_EN: 0
; COMPUTE_PGM_RSRC2:TGID_Z_EN: 0
; COMPUTE_PGM_RSRC2:TIDIG_COMP_CNT: 0
	.section	.text._ZN7rocprim17ROCPRIM_400000_NS6detail17trampoline_kernelINS0_14default_configENS1_21merge_config_selectorINS0_5tupleIJiiEEENS0_10empty_typeEEEZNS1_10merge_implIS3_NS0_12zip_iteratorINS5_IJN6thrust23THRUST_200600_302600_NS6detail15normal_iteratorINSC_10device_ptrIKiEEEESI_EEEEESK_NSA_INS5_IJNSC_16discard_iteratorINSC_11use_defaultEEESN_EEEEEPS7_SQ_SQ_NSC_11hip_rocprim7__merge17predicate_wrapperIiiNSC_4lessIiEEEEEE10hipError_tPvRmT0_T1_T2_T3_T4_T5_mmT6_P12ihipStream_tbEUlT_E_NS1_11comp_targetILNS1_3genE5ELNS1_11target_archE942ELNS1_3gpuE9ELNS1_3repE0EEENS1_30default_config_static_selectorELNS0_4arch9wavefront6targetE0EEEvS11_,"axG",@progbits,_ZN7rocprim17ROCPRIM_400000_NS6detail17trampoline_kernelINS0_14default_configENS1_21merge_config_selectorINS0_5tupleIJiiEEENS0_10empty_typeEEEZNS1_10merge_implIS3_NS0_12zip_iteratorINS5_IJN6thrust23THRUST_200600_302600_NS6detail15normal_iteratorINSC_10device_ptrIKiEEEESI_EEEEESK_NSA_INS5_IJNSC_16discard_iteratorINSC_11use_defaultEEESN_EEEEEPS7_SQ_SQ_NSC_11hip_rocprim7__merge17predicate_wrapperIiiNSC_4lessIiEEEEEE10hipError_tPvRmT0_T1_T2_T3_T4_T5_mmT6_P12ihipStream_tbEUlT_E_NS1_11comp_targetILNS1_3genE5ELNS1_11target_archE942ELNS1_3gpuE9ELNS1_3repE0EEENS1_30default_config_static_selectorELNS0_4arch9wavefront6targetE0EEEvS11_,comdat
	.protected	_ZN7rocprim17ROCPRIM_400000_NS6detail17trampoline_kernelINS0_14default_configENS1_21merge_config_selectorINS0_5tupleIJiiEEENS0_10empty_typeEEEZNS1_10merge_implIS3_NS0_12zip_iteratorINS5_IJN6thrust23THRUST_200600_302600_NS6detail15normal_iteratorINSC_10device_ptrIKiEEEESI_EEEEESK_NSA_INS5_IJNSC_16discard_iteratorINSC_11use_defaultEEESN_EEEEEPS7_SQ_SQ_NSC_11hip_rocprim7__merge17predicate_wrapperIiiNSC_4lessIiEEEEEE10hipError_tPvRmT0_T1_T2_T3_T4_T5_mmT6_P12ihipStream_tbEUlT_E_NS1_11comp_targetILNS1_3genE5ELNS1_11target_archE942ELNS1_3gpuE9ELNS1_3repE0EEENS1_30default_config_static_selectorELNS0_4arch9wavefront6targetE0EEEvS11_ ; -- Begin function _ZN7rocprim17ROCPRIM_400000_NS6detail17trampoline_kernelINS0_14default_configENS1_21merge_config_selectorINS0_5tupleIJiiEEENS0_10empty_typeEEEZNS1_10merge_implIS3_NS0_12zip_iteratorINS5_IJN6thrust23THRUST_200600_302600_NS6detail15normal_iteratorINSC_10device_ptrIKiEEEESI_EEEEESK_NSA_INS5_IJNSC_16discard_iteratorINSC_11use_defaultEEESN_EEEEEPS7_SQ_SQ_NSC_11hip_rocprim7__merge17predicate_wrapperIiiNSC_4lessIiEEEEEE10hipError_tPvRmT0_T1_T2_T3_T4_T5_mmT6_P12ihipStream_tbEUlT_E_NS1_11comp_targetILNS1_3genE5ELNS1_11target_archE942ELNS1_3gpuE9ELNS1_3repE0EEENS1_30default_config_static_selectorELNS0_4arch9wavefront6targetE0EEEvS11_
	.globl	_ZN7rocprim17ROCPRIM_400000_NS6detail17trampoline_kernelINS0_14default_configENS1_21merge_config_selectorINS0_5tupleIJiiEEENS0_10empty_typeEEEZNS1_10merge_implIS3_NS0_12zip_iteratorINS5_IJN6thrust23THRUST_200600_302600_NS6detail15normal_iteratorINSC_10device_ptrIKiEEEESI_EEEEESK_NSA_INS5_IJNSC_16discard_iteratorINSC_11use_defaultEEESN_EEEEEPS7_SQ_SQ_NSC_11hip_rocprim7__merge17predicate_wrapperIiiNSC_4lessIiEEEEEE10hipError_tPvRmT0_T1_T2_T3_T4_T5_mmT6_P12ihipStream_tbEUlT_E_NS1_11comp_targetILNS1_3genE5ELNS1_11target_archE942ELNS1_3gpuE9ELNS1_3repE0EEENS1_30default_config_static_selectorELNS0_4arch9wavefront6targetE0EEEvS11_
	.p2align	8
	.type	_ZN7rocprim17ROCPRIM_400000_NS6detail17trampoline_kernelINS0_14default_configENS1_21merge_config_selectorINS0_5tupleIJiiEEENS0_10empty_typeEEEZNS1_10merge_implIS3_NS0_12zip_iteratorINS5_IJN6thrust23THRUST_200600_302600_NS6detail15normal_iteratorINSC_10device_ptrIKiEEEESI_EEEEESK_NSA_INS5_IJNSC_16discard_iteratorINSC_11use_defaultEEESN_EEEEEPS7_SQ_SQ_NSC_11hip_rocprim7__merge17predicate_wrapperIiiNSC_4lessIiEEEEEE10hipError_tPvRmT0_T1_T2_T3_T4_T5_mmT6_P12ihipStream_tbEUlT_E_NS1_11comp_targetILNS1_3genE5ELNS1_11target_archE942ELNS1_3gpuE9ELNS1_3repE0EEENS1_30default_config_static_selectorELNS0_4arch9wavefront6targetE0EEEvS11_,@function
_ZN7rocprim17ROCPRIM_400000_NS6detail17trampoline_kernelINS0_14default_configENS1_21merge_config_selectorINS0_5tupleIJiiEEENS0_10empty_typeEEEZNS1_10merge_implIS3_NS0_12zip_iteratorINS5_IJN6thrust23THRUST_200600_302600_NS6detail15normal_iteratorINSC_10device_ptrIKiEEEESI_EEEEESK_NSA_INS5_IJNSC_16discard_iteratorINSC_11use_defaultEEESN_EEEEEPS7_SQ_SQ_NSC_11hip_rocprim7__merge17predicate_wrapperIiiNSC_4lessIiEEEEEE10hipError_tPvRmT0_T1_T2_T3_T4_T5_mmT6_P12ihipStream_tbEUlT_E_NS1_11comp_targetILNS1_3genE5ELNS1_11target_archE942ELNS1_3gpuE9ELNS1_3repE0EEENS1_30default_config_static_selectorELNS0_4arch9wavefront6targetE0EEEvS11_: ; @_ZN7rocprim17ROCPRIM_400000_NS6detail17trampoline_kernelINS0_14default_configENS1_21merge_config_selectorINS0_5tupleIJiiEEENS0_10empty_typeEEEZNS1_10merge_implIS3_NS0_12zip_iteratorINS5_IJN6thrust23THRUST_200600_302600_NS6detail15normal_iteratorINSC_10device_ptrIKiEEEESI_EEEEESK_NSA_INS5_IJNSC_16discard_iteratorINSC_11use_defaultEEESN_EEEEEPS7_SQ_SQ_NSC_11hip_rocprim7__merge17predicate_wrapperIiiNSC_4lessIiEEEEEE10hipError_tPvRmT0_T1_T2_T3_T4_T5_mmT6_P12ihipStream_tbEUlT_E_NS1_11comp_targetILNS1_3genE5ELNS1_11target_archE942ELNS1_3gpuE9ELNS1_3repE0EEENS1_30default_config_static_selectorELNS0_4arch9wavefront6targetE0EEEvS11_
; %bb.0:
	.section	.rodata,"a",@progbits
	.p2align	6, 0x0
	.amdhsa_kernel _ZN7rocprim17ROCPRIM_400000_NS6detail17trampoline_kernelINS0_14default_configENS1_21merge_config_selectorINS0_5tupleIJiiEEENS0_10empty_typeEEEZNS1_10merge_implIS3_NS0_12zip_iteratorINS5_IJN6thrust23THRUST_200600_302600_NS6detail15normal_iteratorINSC_10device_ptrIKiEEEESI_EEEEESK_NSA_INS5_IJNSC_16discard_iteratorINSC_11use_defaultEEESN_EEEEEPS7_SQ_SQ_NSC_11hip_rocprim7__merge17predicate_wrapperIiiNSC_4lessIiEEEEEE10hipError_tPvRmT0_T1_T2_T3_T4_T5_mmT6_P12ihipStream_tbEUlT_E_NS1_11comp_targetILNS1_3genE5ELNS1_11target_archE942ELNS1_3gpuE9ELNS1_3repE0EEENS1_30default_config_static_selectorELNS0_4arch9wavefront6targetE0EEEvS11_
		.amdhsa_group_segment_fixed_size 0
		.amdhsa_private_segment_fixed_size 0
		.amdhsa_kernarg_size 64
		.amdhsa_user_sgpr_count 2
		.amdhsa_user_sgpr_dispatch_ptr 0
		.amdhsa_user_sgpr_queue_ptr 0
		.amdhsa_user_sgpr_kernarg_segment_ptr 1
		.amdhsa_user_sgpr_dispatch_id 0
		.amdhsa_user_sgpr_kernarg_preload_length 0
		.amdhsa_user_sgpr_kernarg_preload_offset 0
		.amdhsa_user_sgpr_private_segment_size 0
		.amdhsa_wavefront_size32 1
		.amdhsa_uses_dynamic_stack 0
		.amdhsa_enable_private_segment 0
		.amdhsa_system_sgpr_workgroup_id_x 1
		.amdhsa_system_sgpr_workgroup_id_y 0
		.amdhsa_system_sgpr_workgroup_id_z 0
		.amdhsa_system_sgpr_workgroup_info 0
		.amdhsa_system_vgpr_workitem_id 0
		.amdhsa_next_free_vgpr 1
		.amdhsa_next_free_sgpr 1
		.amdhsa_named_barrier_count 0
		.amdhsa_reserve_vcc 0
		.amdhsa_float_round_mode_32 0
		.amdhsa_float_round_mode_16_64 0
		.amdhsa_float_denorm_mode_32 3
		.amdhsa_float_denorm_mode_16_64 3
		.amdhsa_fp16_overflow 0
		.amdhsa_memory_ordered 1
		.amdhsa_forward_progress 1
		.amdhsa_inst_pref_size 0
		.amdhsa_round_robin_scheduling 0
		.amdhsa_exception_fp_ieee_invalid_op 0
		.amdhsa_exception_fp_denorm_src 0
		.amdhsa_exception_fp_ieee_div_zero 0
		.amdhsa_exception_fp_ieee_overflow 0
		.amdhsa_exception_fp_ieee_underflow 0
		.amdhsa_exception_fp_ieee_inexact 0
		.amdhsa_exception_int_div_zero 0
	.end_amdhsa_kernel
	.section	.text._ZN7rocprim17ROCPRIM_400000_NS6detail17trampoline_kernelINS0_14default_configENS1_21merge_config_selectorINS0_5tupleIJiiEEENS0_10empty_typeEEEZNS1_10merge_implIS3_NS0_12zip_iteratorINS5_IJN6thrust23THRUST_200600_302600_NS6detail15normal_iteratorINSC_10device_ptrIKiEEEESI_EEEEESK_NSA_INS5_IJNSC_16discard_iteratorINSC_11use_defaultEEESN_EEEEEPS7_SQ_SQ_NSC_11hip_rocprim7__merge17predicate_wrapperIiiNSC_4lessIiEEEEEE10hipError_tPvRmT0_T1_T2_T3_T4_T5_mmT6_P12ihipStream_tbEUlT_E_NS1_11comp_targetILNS1_3genE5ELNS1_11target_archE942ELNS1_3gpuE9ELNS1_3repE0EEENS1_30default_config_static_selectorELNS0_4arch9wavefront6targetE0EEEvS11_,"axG",@progbits,_ZN7rocprim17ROCPRIM_400000_NS6detail17trampoline_kernelINS0_14default_configENS1_21merge_config_selectorINS0_5tupleIJiiEEENS0_10empty_typeEEEZNS1_10merge_implIS3_NS0_12zip_iteratorINS5_IJN6thrust23THRUST_200600_302600_NS6detail15normal_iteratorINSC_10device_ptrIKiEEEESI_EEEEESK_NSA_INS5_IJNSC_16discard_iteratorINSC_11use_defaultEEESN_EEEEEPS7_SQ_SQ_NSC_11hip_rocprim7__merge17predicate_wrapperIiiNSC_4lessIiEEEEEE10hipError_tPvRmT0_T1_T2_T3_T4_T5_mmT6_P12ihipStream_tbEUlT_E_NS1_11comp_targetILNS1_3genE5ELNS1_11target_archE942ELNS1_3gpuE9ELNS1_3repE0EEENS1_30default_config_static_selectorELNS0_4arch9wavefront6targetE0EEEvS11_,comdat
.Lfunc_end588:
	.size	_ZN7rocprim17ROCPRIM_400000_NS6detail17trampoline_kernelINS0_14default_configENS1_21merge_config_selectorINS0_5tupleIJiiEEENS0_10empty_typeEEEZNS1_10merge_implIS3_NS0_12zip_iteratorINS5_IJN6thrust23THRUST_200600_302600_NS6detail15normal_iteratorINSC_10device_ptrIKiEEEESI_EEEEESK_NSA_INS5_IJNSC_16discard_iteratorINSC_11use_defaultEEESN_EEEEEPS7_SQ_SQ_NSC_11hip_rocprim7__merge17predicate_wrapperIiiNSC_4lessIiEEEEEE10hipError_tPvRmT0_T1_T2_T3_T4_T5_mmT6_P12ihipStream_tbEUlT_E_NS1_11comp_targetILNS1_3genE5ELNS1_11target_archE942ELNS1_3gpuE9ELNS1_3repE0EEENS1_30default_config_static_selectorELNS0_4arch9wavefront6targetE0EEEvS11_, .Lfunc_end588-_ZN7rocprim17ROCPRIM_400000_NS6detail17trampoline_kernelINS0_14default_configENS1_21merge_config_selectorINS0_5tupleIJiiEEENS0_10empty_typeEEEZNS1_10merge_implIS3_NS0_12zip_iteratorINS5_IJN6thrust23THRUST_200600_302600_NS6detail15normal_iteratorINSC_10device_ptrIKiEEEESI_EEEEESK_NSA_INS5_IJNSC_16discard_iteratorINSC_11use_defaultEEESN_EEEEEPS7_SQ_SQ_NSC_11hip_rocprim7__merge17predicate_wrapperIiiNSC_4lessIiEEEEEE10hipError_tPvRmT0_T1_T2_T3_T4_T5_mmT6_P12ihipStream_tbEUlT_E_NS1_11comp_targetILNS1_3genE5ELNS1_11target_archE942ELNS1_3gpuE9ELNS1_3repE0EEENS1_30default_config_static_selectorELNS0_4arch9wavefront6targetE0EEEvS11_
                                        ; -- End function
	.set _ZN7rocprim17ROCPRIM_400000_NS6detail17trampoline_kernelINS0_14default_configENS1_21merge_config_selectorINS0_5tupleIJiiEEENS0_10empty_typeEEEZNS1_10merge_implIS3_NS0_12zip_iteratorINS5_IJN6thrust23THRUST_200600_302600_NS6detail15normal_iteratorINSC_10device_ptrIKiEEEESI_EEEEESK_NSA_INS5_IJNSC_16discard_iteratorINSC_11use_defaultEEESN_EEEEEPS7_SQ_SQ_NSC_11hip_rocprim7__merge17predicate_wrapperIiiNSC_4lessIiEEEEEE10hipError_tPvRmT0_T1_T2_T3_T4_T5_mmT6_P12ihipStream_tbEUlT_E_NS1_11comp_targetILNS1_3genE5ELNS1_11target_archE942ELNS1_3gpuE9ELNS1_3repE0EEENS1_30default_config_static_selectorELNS0_4arch9wavefront6targetE0EEEvS11_.num_vgpr, 0
	.set _ZN7rocprim17ROCPRIM_400000_NS6detail17trampoline_kernelINS0_14default_configENS1_21merge_config_selectorINS0_5tupleIJiiEEENS0_10empty_typeEEEZNS1_10merge_implIS3_NS0_12zip_iteratorINS5_IJN6thrust23THRUST_200600_302600_NS6detail15normal_iteratorINSC_10device_ptrIKiEEEESI_EEEEESK_NSA_INS5_IJNSC_16discard_iteratorINSC_11use_defaultEEESN_EEEEEPS7_SQ_SQ_NSC_11hip_rocprim7__merge17predicate_wrapperIiiNSC_4lessIiEEEEEE10hipError_tPvRmT0_T1_T2_T3_T4_T5_mmT6_P12ihipStream_tbEUlT_E_NS1_11comp_targetILNS1_3genE5ELNS1_11target_archE942ELNS1_3gpuE9ELNS1_3repE0EEENS1_30default_config_static_selectorELNS0_4arch9wavefront6targetE0EEEvS11_.num_agpr, 0
	.set _ZN7rocprim17ROCPRIM_400000_NS6detail17trampoline_kernelINS0_14default_configENS1_21merge_config_selectorINS0_5tupleIJiiEEENS0_10empty_typeEEEZNS1_10merge_implIS3_NS0_12zip_iteratorINS5_IJN6thrust23THRUST_200600_302600_NS6detail15normal_iteratorINSC_10device_ptrIKiEEEESI_EEEEESK_NSA_INS5_IJNSC_16discard_iteratorINSC_11use_defaultEEESN_EEEEEPS7_SQ_SQ_NSC_11hip_rocprim7__merge17predicate_wrapperIiiNSC_4lessIiEEEEEE10hipError_tPvRmT0_T1_T2_T3_T4_T5_mmT6_P12ihipStream_tbEUlT_E_NS1_11comp_targetILNS1_3genE5ELNS1_11target_archE942ELNS1_3gpuE9ELNS1_3repE0EEENS1_30default_config_static_selectorELNS0_4arch9wavefront6targetE0EEEvS11_.numbered_sgpr, 0
	.set _ZN7rocprim17ROCPRIM_400000_NS6detail17trampoline_kernelINS0_14default_configENS1_21merge_config_selectorINS0_5tupleIJiiEEENS0_10empty_typeEEEZNS1_10merge_implIS3_NS0_12zip_iteratorINS5_IJN6thrust23THRUST_200600_302600_NS6detail15normal_iteratorINSC_10device_ptrIKiEEEESI_EEEEESK_NSA_INS5_IJNSC_16discard_iteratorINSC_11use_defaultEEESN_EEEEEPS7_SQ_SQ_NSC_11hip_rocprim7__merge17predicate_wrapperIiiNSC_4lessIiEEEEEE10hipError_tPvRmT0_T1_T2_T3_T4_T5_mmT6_P12ihipStream_tbEUlT_E_NS1_11comp_targetILNS1_3genE5ELNS1_11target_archE942ELNS1_3gpuE9ELNS1_3repE0EEENS1_30default_config_static_selectorELNS0_4arch9wavefront6targetE0EEEvS11_.num_named_barrier, 0
	.set _ZN7rocprim17ROCPRIM_400000_NS6detail17trampoline_kernelINS0_14default_configENS1_21merge_config_selectorINS0_5tupleIJiiEEENS0_10empty_typeEEEZNS1_10merge_implIS3_NS0_12zip_iteratorINS5_IJN6thrust23THRUST_200600_302600_NS6detail15normal_iteratorINSC_10device_ptrIKiEEEESI_EEEEESK_NSA_INS5_IJNSC_16discard_iteratorINSC_11use_defaultEEESN_EEEEEPS7_SQ_SQ_NSC_11hip_rocprim7__merge17predicate_wrapperIiiNSC_4lessIiEEEEEE10hipError_tPvRmT0_T1_T2_T3_T4_T5_mmT6_P12ihipStream_tbEUlT_E_NS1_11comp_targetILNS1_3genE5ELNS1_11target_archE942ELNS1_3gpuE9ELNS1_3repE0EEENS1_30default_config_static_selectorELNS0_4arch9wavefront6targetE0EEEvS11_.private_seg_size, 0
	.set _ZN7rocprim17ROCPRIM_400000_NS6detail17trampoline_kernelINS0_14default_configENS1_21merge_config_selectorINS0_5tupleIJiiEEENS0_10empty_typeEEEZNS1_10merge_implIS3_NS0_12zip_iteratorINS5_IJN6thrust23THRUST_200600_302600_NS6detail15normal_iteratorINSC_10device_ptrIKiEEEESI_EEEEESK_NSA_INS5_IJNSC_16discard_iteratorINSC_11use_defaultEEESN_EEEEEPS7_SQ_SQ_NSC_11hip_rocprim7__merge17predicate_wrapperIiiNSC_4lessIiEEEEEE10hipError_tPvRmT0_T1_T2_T3_T4_T5_mmT6_P12ihipStream_tbEUlT_E_NS1_11comp_targetILNS1_3genE5ELNS1_11target_archE942ELNS1_3gpuE9ELNS1_3repE0EEENS1_30default_config_static_selectorELNS0_4arch9wavefront6targetE0EEEvS11_.uses_vcc, 0
	.set _ZN7rocprim17ROCPRIM_400000_NS6detail17trampoline_kernelINS0_14default_configENS1_21merge_config_selectorINS0_5tupleIJiiEEENS0_10empty_typeEEEZNS1_10merge_implIS3_NS0_12zip_iteratorINS5_IJN6thrust23THRUST_200600_302600_NS6detail15normal_iteratorINSC_10device_ptrIKiEEEESI_EEEEESK_NSA_INS5_IJNSC_16discard_iteratorINSC_11use_defaultEEESN_EEEEEPS7_SQ_SQ_NSC_11hip_rocprim7__merge17predicate_wrapperIiiNSC_4lessIiEEEEEE10hipError_tPvRmT0_T1_T2_T3_T4_T5_mmT6_P12ihipStream_tbEUlT_E_NS1_11comp_targetILNS1_3genE5ELNS1_11target_archE942ELNS1_3gpuE9ELNS1_3repE0EEENS1_30default_config_static_selectorELNS0_4arch9wavefront6targetE0EEEvS11_.uses_flat_scratch, 0
	.set _ZN7rocprim17ROCPRIM_400000_NS6detail17trampoline_kernelINS0_14default_configENS1_21merge_config_selectorINS0_5tupleIJiiEEENS0_10empty_typeEEEZNS1_10merge_implIS3_NS0_12zip_iteratorINS5_IJN6thrust23THRUST_200600_302600_NS6detail15normal_iteratorINSC_10device_ptrIKiEEEESI_EEEEESK_NSA_INS5_IJNSC_16discard_iteratorINSC_11use_defaultEEESN_EEEEEPS7_SQ_SQ_NSC_11hip_rocprim7__merge17predicate_wrapperIiiNSC_4lessIiEEEEEE10hipError_tPvRmT0_T1_T2_T3_T4_T5_mmT6_P12ihipStream_tbEUlT_E_NS1_11comp_targetILNS1_3genE5ELNS1_11target_archE942ELNS1_3gpuE9ELNS1_3repE0EEENS1_30default_config_static_selectorELNS0_4arch9wavefront6targetE0EEEvS11_.has_dyn_sized_stack, 0
	.set _ZN7rocprim17ROCPRIM_400000_NS6detail17trampoline_kernelINS0_14default_configENS1_21merge_config_selectorINS0_5tupleIJiiEEENS0_10empty_typeEEEZNS1_10merge_implIS3_NS0_12zip_iteratorINS5_IJN6thrust23THRUST_200600_302600_NS6detail15normal_iteratorINSC_10device_ptrIKiEEEESI_EEEEESK_NSA_INS5_IJNSC_16discard_iteratorINSC_11use_defaultEEESN_EEEEEPS7_SQ_SQ_NSC_11hip_rocprim7__merge17predicate_wrapperIiiNSC_4lessIiEEEEEE10hipError_tPvRmT0_T1_T2_T3_T4_T5_mmT6_P12ihipStream_tbEUlT_E_NS1_11comp_targetILNS1_3genE5ELNS1_11target_archE942ELNS1_3gpuE9ELNS1_3repE0EEENS1_30default_config_static_selectorELNS0_4arch9wavefront6targetE0EEEvS11_.has_recursion, 0
	.set _ZN7rocprim17ROCPRIM_400000_NS6detail17trampoline_kernelINS0_14default_configENS1_21merge_config_selectorINS0_5tupleIJiiEEENS0_10empty_typeEEEZNS1_10merge_implIS3_NS0_12zip_iteratorINS5_IJN6thrust23THRUST_200600_302600_NS6detail15normal_iteratorINSC_10device_ptrIKiEEEESI_EEEEESK_NSA_INS5_IJNSC_16discard_iteratorINSC_11use_defaultEEESN_EEEEEPS7_SQ_SQ_NSC_11hip_rocprim7__merge17predicate_wrapperIiiNSC_4lessIiEEEEEE10hipError_tPvRmT0_T1_T2_T3_T4_T5_mmT6_P12ihipStream_tbEUlT_E_NS1_11comp_targetILNS1_3genE5ELNS1_11target_archE942ELNS1_3gpuE9ELNS1_3repE0EEENS1_30default_config_static_selectorELNS0_4arch9wavefront6targetE0EEEvS11_.has_indirect_call, 0
	.section	.AMDGPU.csdata,"",@progbits
; Kernel info:
; codeLenInByte = 0
; TotalNumSgprs: 0
; NumVgprs: 0
; ScratchSize: 0
; MemoryBound: 0
; FloatMode: 240
; IeeeMode: 1
; LDSByteSize: 0 bytes/workgroup (compile time only)
; SGPRBlocks: 0
; VGPRBlocks: 0
; NumSGPRsForWavesPerEU: 1
; NumVGPRsForWavesPerEU: 1
; NamedBarCnt: 0
; Occupancy: 16
; WaveLimiterHint : 0
; COMPUTE_PGM_RSRC2:SCRATCH_EN: 0
; COMPUTE_PGM_RSRC2:USER_SGPR: 2
; COMPUTE_PGM_RSRC2:TRAP_HANDLER: 0
; COMPUTE_PGM_RSRC2:TGID_X_EN: 1
; COMPUTE_PGM_RSRC2:TGID_Y_EN: 0
; COMPUTE_PGM_RSRC2:TGID_Z_EN: 0
; COMPUTE_PGM_RSRC2:TIDIG_COMP_CNT: 0
	.section	.text._ZN7rocprim17ROCPRIM_400000_NS6detail17trampoline_kernelINS0_14default_configENS1_21merge_config_selectorINS0_5tupleIJiiEEENS0_10empty_typeEEEZNS1_10merge_implIS3_NS0_12zip_iteratorINS5_IJN6thrust23THRUST_200600_302600_NS6detail15normal_iteratorINSC_10device_ptrIKiEEEESI_EEEEESK_NSA_INS5_IJNSC_16discard_iteratorINSC_11use_defaultEEESN_EEEEEPS7_SQ_SQ_NSC_11hip_rocprim7__merge17predicate_wrapperIiiNSC_4lessIiEEEEEE10hipError_tPvRmT0_T1_T2_T3_T4_T5_mmT6_P12ihipStream_tbEUlT_E_NS1_11comp_targetILNS1_3genE4ELNS1_11target_archE910ELNS1_3gpuE8ELNS1_3repE0EEENS1_30default_config_static_selectorELNS0_4arch9wavefront6targetE0EEEvS11_,"axG",@progbits,_ZN7rocprim17ROCPRIM_400000_NS6detail17trampoline_kernelINS0_14default_configENS1_21merge_config_selectorINS0_5tupleIJiiEEENS0_10empty_typeEEEZNS1_10merge_implIS3_NS0_12zip_iteratorINS5_IJN6thrust23THRUST_200600_302600_NS6detail15normal_iteratorINSC_10device_ptrIKiEEEESI_EEEEESK_NSA_INS5_IJNSC_16discard_iteratorINSC_11use_defaultEEESN_EEEEEPS7_SQ_SQ_NSC_11hip_rocprim7__merge17predicate_wrapperIiiNSC_4lessIiEEEEEE10hipError_tPvRmT0_T1_T2_T3_T4_T5_mmT6_P12ihipStream_tbEUlT_E_NS1_11comp_targetILNS1_3genE4ELNS1_11target_archE910ELNS1_3gpuE8ELNS1_3repE0EEENS1_30default_config_static_selectorELNS0_4arch9wavefront6targetE0EEEvS11_,comdat
	.protected	_ZN7rocprim17ROCPRIM_400000_NS6detail17trampoline_kernelINS0_14default_configENS1_21merge_config_selectorINS0_5tupleIJiiEEENS0_10empty_typeEEEZNS1_10merge_implIS3_NS0_12zip_iteratorINS5_IJN6thrust23THRUST_200600_302600_NS6detail15normal_iteratorINSC_10device_ptrIKiEEEESI_EEEEESK_NSA_INS5_IJNSC_16discard_iteratorINSC_11use_defaultEEESN_EEEEEPS7_SQ_SQ_NSC_11hip_rocprim7__merge17predicate_wrapperIiiNSC_4lessIiEEEEEE10hipError_tPvRmT0_T1_T2_T3_T4_T5_mmT6_P12ihipStream_tbEUlT_E_NS1_11comp_targetILNS1_3genE4ELNS1_11target_archE910ELNS1_3gpuE8ELNS1_3repE0EEENS1_30default_config_static_selectorELNS0_4arch9wavefront6targetE0EEEvS11_ ; -- Begin function _ZN7rocprim17ROCPRIM_400000_NS6detail17trampoline_kernelINS0_14default_configENS1_21merge_config_selectorINS0_5tupleIJiiEEENS0_10empty_typeEEEZNS1_10merge_implIS3_NS0_12zip_iteratorINS5_IJN6thrust23THRUST_200600_302600_NS6detail15normal_iteratorINSC_10device_ptrIKiEEEESI_EEEEESK_NSA_INS5_IJNSC_16discard_iteratorINSC_11use_defaultEEESN_EEEEEPS7_SQ_SQ_NSC_11hip_rocprim7__merge17predicate_wrapperIiiNSC_4lessIiEEEEEE10hipError_tPvRmT0_T1_T2_T3_T4_T5_mmT6_P12ihipStream_tbEUlT_E_NS1_11comp_targetILNS1_3genE4ELNS1_11target_archE910ELNS1_3gpuE8ELNS1_3repE0EEENS1_30default_config_static_selectorELNS0_4arch9wavefront6targetE0EEEvS11_
	.globl	_ZN7rocprim17ROCPRIM_400000_NS6detail17trampoline_kernelINS0_14default_configENS1_21merge_config_selectorINS0_5tupleIJiiEEENS0_10empty_typeEEEZNS1_10merge_implIS3_NS0_12zip_iteratorINS5_IJN6thrust23THRUST_200600_302600_NS6detail15normal_iteratorINSC_10device_ptrIKiEEEESI_EEEEESK_NSA_INS5_IJNSC_16discard_iteratorINSC_11use_defaultEEESN_EEEEEPS7_SQ_SQ_NSC_11hip_rocprim7__merge17predicate_wrapperIiiNSC_4lessIiEEEEEE10hipError_tPvRmT0_T1_T2_T3_T4_T5_mmT6_P12ihipStream_tbEUlT_E_NS1_11comp_targetILNS1_3genE4ELNS1_11target_archE910ELNS1_3gpuE8ELNS1_3repE0EEENS1_30default_config_static_selectorELNS0_4arch9wavefront6targetE0EEEvS11_
	.p2align	8
	.type	_ZN7rocprim17ROCPRIM_400000_NS6detail17trampoline_kernelINS0_14default_configENS1_21merge_config_selectorINS0_5tupleIJiiEEENS0_10empty_typeEEEZNS1_10merge_implIS3_NS0_12zip_iteratorINS5_IJN6thrust23THRUST_200600_302600_NS6detail15normal_iteratorINSC_10device_ptrIKiEEEESI_EEEEESK_NSA_INS5_IJNSC_16discard_iteratorINSC_11use_defaultEEESN_EEEEEPS7_SQ_SQ_NSC_11hip_rocprim7__merge17predicate_wrapperIiiNSC_4lessIiEEEEEE10hipError_tPvRmT0_T1_T2_T3_T4_T5_mmT6_P12ihipStream_tbEUlT_E_NS1_11comp_targetILNS1_3genE4ELNS1_11target_archE910ELNS1_3gpuE8ELNS1_3repE0EEENS1_30default_config_static_selectorELNS0_4arch9wavefront6targetE0EEEvS11_,@function
_ZN7rocprim17ROCPRIM_400000_NS6detail17trampoline_kernelINS0_14default_configENS1_21merge_config_selectorINS0_5tupleIJiiEEENS0_10empty_typeEEEZNS1_10merge_implIS3_NS0_12zip_iteratorINS5_IJN6thrust23THRUST_200600_302600_NS6detail15normal_iteratorINSC_10device_ptrIKiEEEESI_EEEEESK_NSA_INS5_IJNSC_16discard_iteratorINSC_11use_defaultEEESN_EEEEEPS7_SQ_SQ_NSC_11hip_rocprim7__merge17predicate_wrapperIiiNSC_4lessIiEEEEEE10hipError_tPvRmT0_T1_T2_T3_T4_T5_mmT6_P12ihipStream_tbEUlT_E_NS1_11comp_targetILNS1_3genE4ELNS1_11target_archE910ELNS1_3gpuE8ELNS1_3repE0EEENS1_30default_config_static_selectorELNS0_4arch9wavefront6targetE0EEEvS11_: ; @_ZN7rocprim17ROCPRIM_400000_NS6detail17trampoline_kernelINS0_14default_configENS1_21merge_config_selectorINS0_5tupleIJiiEEENS0_10empty_typeEEEZNS1_10merge_implIS3_NS0_12zip_iteratorINS5_IJN6thrust23THRUST_200600_302600_NS6detail15normal_iteratorINSC_10device_ptrIKiEEEESI_EEEEESK_NSA_INS5_IJNSC_16discard_iteratorINSC_11use_defaultEEESN_EEEEEPS7_SQ_SQ_NSC_11hip_rocprim7__merge17predicate_wrapperIiiNSC_4lessIiEEEEEE10hipError_tPvRmT0_T1_T2_T3_T4_T5_mmT6_P12ihipStream_tbEUlT_E_NS1_11comp_targetILNS1_3genE4ELNS1_11target_archE910ELNS1_3gpuE8ELNS1_3repE0EEENS1_30default_config_static_selectorELNS0_4arch9wavefront6targetE0EEEvS11_
; %bb.0:
	.section	.rodata,"a",@progbits
	.p2align	6, 0x0
	.amdhsa_kernel _ZN7rocprim17ROCPRIM_400000_NS6detail17trampoline_kernelINS0_14default_configENS1_21merge_config_selectorINS0_5tupleIJiiEEENS0_10empty_typeEEEZNS1_10merge_implIS3_NS0_12zip_iteratorINS5_IJN6thrust23THRUST_200600_302600_NS6detail15normal_iteratorINSC_10device_ptrIKiEEEESI_EEEEESK_NSA_INS5_IJNSC_16discard_iteratorINSC_11use_defaultEEESN_EEEEEPS7_SQ_SQ_NSC_11hip_rocprim7__merge17predicate_wrapperIiiNSC_4lessIiEEEEEE10hipError_tPvRmT0_T1_T2_T3_T4_T5_mmT6_P12ihipStream_tbEUlT_E_NS1_11comp_targetILNS1_3genE4ELNS1_11target_archE910ELNS1_3gpuE8ELNS1_3repE0EEENS1_30default_config_static_selectorELNS0_4arch9wavefront6targetE0EEEvS11_
		.amdhsa_group_segment_fixed_size 0
		.amdhsa_private_segment_fixed_size 0
		.amdhsa_kernarg_size 64
		.amdhsa_user_sgpr_count 2
		.amdhsa_user_sgpr_dispatch_ptr 0
		.amdhsa_user_sgpr_queue_ptr 0
		.amdhsa_user_sgpr_kernarg_segment_ptr 1
		.amdhsa_user_sgpr_dispatch_id 0
		.amdhsa_user_sgpr_kernarg_preload_length 0
		.amdhsa_user_sgpr_kernarg_preload_offset 0
		.amdhsa_user_sgpr_private_segment_size 0
		.amdhsa_wavefront_size32 1
		.amdhsa_uses_dynamic_stack 0
		.amdhsa_enable_private_segment 0
		.amdhsa_system_sgpr_workgroup_id_x 1
		.amdhsa_system_sgpr_workgroup_id_y 0
		.amdhsa_system_sgpr_workgroup_id_z 0
		.amdhsa_system_sgpr_workgroup_info 0
		.amdhsa_system_vgpr_workitem_id 0
		.amdhsa_next_free_vgpr 1
		.amdhsa_next_free_sgpr 1
		.amdhsa_named_barrier_count 0
		.amdhsa_reserve_vcc 0
		.amdhsa_float_round_mode_32 0
		.amdhsa_float_round_mode_16_64 0
		.amdhsa_float_denorm_mode_32 3
		.amdhsa_float_denorm_mode_16_64 3
		.amdhsa_fp16_overflow 0
		.amdhsa_memory_ordered 1
		.amdhsa_forward_progress 1
		.amdhsa_inst_pref_size 0
		.amdhsa_round_robin_scheduling 0
		.amdhsa_exception_fp_ieee_invalid_op 0
		.amdhsa_exception_fp_denorm_src 0
		.amdhsa_exception_fp_ieee_div_zero 0
		.amdhsa_exception_fp_ieee_overflow 0
		.amdhsa_exception_fp_ieee_underflow 0
		.amdhsa_exception_fp_ieee_inexact 0
		.amdhsa_exception_int_div_zero 0
	.end_amdhsa_kernel
	.section	.text._ZN7rocprim17ROCPRIM_400000_NS6detail17trampoline_kernelINS0_14default_configENS1_21merge_config_selectorINS0_5tupleIJiiEEENS0_10empty_typeEEEZNS1_10merge_implIS3_NS0_12zip_iteratorINS5_IJN6thrust23THRUST_200600_302600_NS6detail15normal_iteratorINSC_10device_ptrIKiEEEESI_EEEEESK_NSA_INS5_IJNSC_16discard_iteratorINSC_11use_defaultEEESN_EEEEEPS7_SQ_SQ_NSC_11hip_rocprim7__merge17predicate_wrapperIiiNSC_4lessIiEEEEEE10hipError_tPvRmT0_T1_T2_T3_T4_T5_mmT6_P12ihipStream_tbEUlT_E_NS1_11comp_targetILNS1_3genE4ELNS1_11target_archE910ELNS1_3gpuE8ELNS1_3repE0EEENS1_30default_config_static_selectorELNS0_4arch9wavefront6targetE0EEEvS11_,"axG",@progbits,_ZN7rocprim17ROCPRIM_400000_NS6detail17trampoline_kernelINS0_14default_configENS1_21merge_config_selectorINS0_5tupleIJiiEEENS0_10empty_typeEEEZNS1_10merge_implIS3_NS0_12zip_iteratorINS5_IJN6thrust23THRUST_200600_302600_NS6detail15normal_iteratorINSC_10device_ptrIKiEEEESI_EEEEESK_NSA_INS5_IJNSC_16discard_iteratorINSC_11use_defaultEEESN_EEEEEPS7_SQ_SQ_NSC_11hip_rocprim7__merge17predicate_wrapperIiiNSC_4lessIiEEEEEE10hipError_tPvRmT0_T1_T2_T3_T4_T5_mmT6_P12ihipStream_tbEUlT_E_NS1_11comp_targetILNS1_3genE4ELNS1_11target_archE910ELNS1_3gpuE8ELNS1_3repE0EEENS1_30default_config_static_selectorELNS0_4arch9wavefront6targetE0EEEvS11_,comdat
.Lfunc_end589:
	.size	_ZN7rocprim17ROCPRIM_400000_NS6detail17trampoline_kernelINS0_14default_configENS1_21merge_config_selectorINS0_5tupleIJiiEEENS0_10empty_typeEEEZNS1_10merge_implIS3_NS0_12zip_iteratorINS5_IJN6thrust23THRUST_200600_302600_NS6detail15normal_iteratorINSC_10device_ptrIKiEEEESI_EEEEESK_NSA_INS5_IJNSC_16discard_iteratorINSC_11use_defaultEEESN_EEEEEPS7_SQ_SQ_NSC_11hip_rocprim7__merge17predicate_wrapperIiiNSC_4lessIiEEEEEE10hipError_tPvRmT0_T1_T2_T3_T4_T5_mmT6_P12ihipStream_tbEUlT_E_NS1_11comp_targetILNS1_3genE4ELNS1_11target_archE910ELNS1_3gpuE8ELNS1_3repE0EEENS1_30default_config_static_selectorELNS0_4arch9wavefront6targetE0EEEvS11_, .Lfunc_end589-_ZN7rocprim17ROCPRIM_400000_NS6detail17trampoline_kernelINS0_14default_configENS1_21merge_config_selectorINS0_5tupleIJiiEEENS0_10empty_typeEEEZNS1_10merge_implIS3_NS0_12zip_iteratorINS5_IJN6thrust23THRUST_200600_302600_NS6detail15normal_iteratorINSC_10device_ptrIKiEEEESI_EEEEESK_NSA_INS5_IJNSC_16discard_iteratorINSC_11use_defaultEEESN_EEEEEPS7_SQ_SQ_NSC_11hip_rocprim7__merge17predicate_wrapperIiiNSC_4lessIiEEEEEE10hipError_tPvRmT0_T1_T2_T3_T4_T5_mmT6_P12ihipStream_tbEUlT_E_NS1_11comp_targetILNS1_3genE4ELNS1_11target_archE910ELNS1_3gpuE8ELNS1_3repE0EEENS1_30default_config_static_selectorELNS0_4arch9wavefront6targetE0EEEvS11_
                                        ; -- End function
	.set _ZN7rocprim17ROCPRIM_400000_NS6detail17trampoline_kernelINS0_14default_configENS1_21merge_config_selectorINS0_5tupleIJiiEEENS0_10empty_typeEEEZNS1_10merge_implIS3_NS0_12zip_iteratorINS5_IJN6thrust23THRUST_200600_302600_NS6detail15normal_iteratorINSC_10device_ptrIKiEEEESI_EEEEESK_NSA_INS5_IJNSC_16discard_iteratorINSC_11use_defaultEEESN_EEEEEPS7_SQ_SQ_NSC_11hip_rocprim7__merge17predicate_wrapperIiiNSC_4lessIiEEEEEE10hipError_tPvRmT0_T1_T2_T3_T4_T5_mmT6_P12ihipStream_tbEUlT_E_NS1_11comp_targetILNS1_3genE4ELNS1_11target_archE910ELNS1_3gpuE8ELNS1_3repE0EEENS1_30default_config_static_selectorELNS0_4arch9wavefront6targetE0EEEvS11_.num_vgpr, 0
	.set _ZN7rocprim17ROCPRIM_400000_NS6detail17trampoline_kernelINS0_14default_configENS1_21merge_config_selectorINS0_5tupleIJiiEEENS0_10empty_typeEEEZNS1_10merge_implIS3_NS0_12zip_iteratorINS5_IJN6thrust23THRUST_200600_302600_NS6detail15normal_iteratorINSC_10device_ptrIKiEEEESI_EEEEESK_NSA_INS5_IJNSC_16discard_iteratorINSC_11use_defaultEEESN_EEEEEPS7_SQ_SQ_NSC_11hip_rocprim7__merge17predicate_wrapperIiiNSC_4lessIiEEEEEE10hipError_tPvRmT0_T1_T2_T3_T4_T5_mmT6_P12ihipStream_tbEUlT_E_NS1_11comp_targetILNS1_3genE4ELNS1_11target_archE910ELNS1_3gpuE8ELNS1_3repE0EEENS1_30default_config_static_selectorELNS0_4arch9wavefront6targetE0EEEvS11_.num_agpr, 0
	.set _ZN7rocprim17ROCPRIM_400000_NS6detail17trampoline_kernelINS0_14default_configENS1_21merge_config_selectorINS0_5tupleIJiiEEENS0_10empty_typeEEEZNS1_10merge_implIS3_NS0_12zip_iteratorINS5_IJN6thrust23THRUST_200600_302600_NS6detail15normal_iteratorINSC_10device_ptrIKiEEEESI_EEEEESK_NSA_INS5_IJNSC_16discard_iteratorINSC_11use_defaultEEESN_EEEEEPS7_SQ_SQ_NSC_11hip_rocprim7__merge17predicate_wrapperIiiNSC_4lessIiEEEEEE10hipError_tPvRmT0_T1_T2_T3_T4_T5_mmT6_P12ihipStream_tbEUlT_E_NS1_11comp_targetILNS1_3genE4ELNS1_11target_archE910ELNS1_3gpuE8ELNS1_3repE0EEENS1_30default_config_static_selectorELNS0_4arch9wavefront6targetE0EEEvS11_.numbered_sgpr, 0
	.set _ZN7rocprim17ROCPRIM_400000_NS6detail17trampoline_kernelINS0_14default_configENS1_21merge_config_selectorINS0_5tupleIJiiEEENS0_10empty_typeEEEZNS1_10merge_implIS3_NS0_12zip_iteratorINS5_IJN6thrust23THRUST_200600_302600_NS6detail15normal_iteratorINSC_10device_ptrIKiEEEESI_EEEEESK_NSA_INS5_IJNSC_16discard_iteratorINSC_11use_defaultEEESN_EEEEEPS7_SQ_SQ_NSC_11hip_rocprim7__merge17predicate_wrapperIiiNSC_4lessIiEEEEEE10hipError_tPvRmT0_T1_T2_T3_T4_T5_mmT6_P12ihipStream_tbEUlT_E_NS1_11comp_targetILNS1_3genE4ELNS1_11target_archE910ELNS1_3gpuE8ELNS1_3repE0EEENS1_30default_config_static_selectorELNS0_4arch9wavefront6targetE0EEEvS11_.num_named_barrier, 0
	.set _ZN7rocprim17ROCPRIM_400000_NS6detail17trampoline_kernelINS0_14default_configENS1_21merge_config_selectorINS0_5tupleIJiiEEENS0_10empty_typeEEEZNS1_10merge_implIS3_NS0_12zip_iteratorINS5_IJN6thrust23THRUST_200600_302600_NS6detail15normal_iteratorINSC_10device_ptrIKiEEEESI_EEEEESK_NSA_INS5_IJNSC_16discard_iteratorINSC_11use_defaultEEESN_EEEEEPS7_SQ_SQ_NSC_11hip_rocprim7__merge17predicate_wrapperIiiNSC_4lessIiEEEEEE10hipError_tPvRmT0_T1_T2_T3_T4_T5_mmT6_P12ihipStream_tbEUlT_E_NS1_11comp_targetILNS1_3genE4ELNS1_11target_archE910ELNS1_3gpuE8ELNS1_3repE0EEENS1_30default_config_static_selectorELNS0_4arch9wavefront6targetE0EEEvS11_.private_seg_size, 0
	.set _ZN7rocprim17ROCPRIM_400000_NS6detail17trampoline_kernelINS0_14default_configENS1_21merge_config_selectorINS0_5tupleIJiiEEENS0_10empty_typeEEEZNS1_10merge_implIS3_NS0_12zip_iteratorINS5_IJN6thrust23THRUST_200600_302600_NS6detail15normal_iteratorINSC_10device_ptrIKiEEEESI_EEEEESK_NSA_INS5_IJNSC_16discard_iteratorINSC_11use_defaultEEESN_EEEEEPS7_SQ_SQ_NSC_11hip_rocprim7__merge17predicate_wrapperIiiNSC_4lessIiEEEEEE10hipError_tPvRmT0_T1_T2_T3_T4_T5_mmT6_P12ihipStream_tbEUlT_E_NS1_11comp_targetILNS1_3genE4ELNS1_11target_archE910ELNS1_3gpuE8ELNS1_3repE0EEENS1_30default_config_static_selectorELNS0_4arch9wavefront6targetE0EEEvS11_.uses_vcc, 0
	.set _ZN7rocprim17ROCPRIM_400000_NS6detail17trampoline_kernelINS0_14default_configENS1_21merge_config_selectorINS0_5tupleIJiiEEENS0_10empty_typeEEEZNS1_10merge_implIS3_NS0_12zip_iteratorINS5_IJN6thrust23THRUST_200600_302600_NS6detail15normal_iteratorINSC_10device_ptrIKiEEEESI_EEEEESK_NSA_INS5_IJNSC_16discard_iteratorINSC_11use_defaultEEESN_EEEEEPS7_SQ_SQ_NSC_11hip_rocprim7__merge17predicate_wrapperIiiNSC_4lessIiEEEEEE10hipError_tPvRmT0_T1_T2_T3_T4_T5_mmT6_P12ihipStream_tbEUlT_E_NS1_11comp_targetILNS1_3genE4ELNS1_11target_archE910ELNS1_3gpuE8ELNS1_3repE0EEENS1_30default_config_static_selectorELNS0_4arch9wavefront6targetE0EEEvS11_.uses_flat_scratch, 0
	.set _ZN7rocprim17ROCPRIM_400000_NS6detail17trampoline_kernelINS0_14default_configENS1_21merge_config_selectorINS0_5tupleIJiiEEENS0_10empty_typeEEEZNS1_10merge_implIS3_NS0_12zip_iteratorINS5_IJN6thrust23THRUST_200600_302600_NS6detail15normal_iteratorINSC_10device_ptrIKiEEEESI_EEEEESK_NSA_INS5_IJNSC_16discard_iteratorINSC_11use_defaultEEESN_EEEEEPS7_SQ_SQ_NSC_11hip_rocprim7__merge17predicate_wrapperIiiNSC_4lessIiEEEEEE10hipError_tPvRmT0_T1_T2_T3_T4_T5_mmT6_P12ihipStream_tbEUlT_E_NS1_11comp_targetILNS1_3genE4ELNS1_11target_archE910ELNS1_3gpuE8ELNS1_3repE0EEENS1_30default_config_static_selectorELNS0_4arch9wavefront6targetE0EEEvS11_.has_dyn_sized_stack, 0
	.set _ZN7rocprim17ROCPRIM_400000_NS6detail17trampoline_kernelINS0_14default_configENS1_21merge_config_selectorINS0_5tupleIJiiEEENS0_10empty_typeEEEZNS1_10merge_implIS3_NS0_12zip_iteratorINS5_IJN6thrust23THRUST_200600_302600_NS6detail15normal_iteratorINSC_10device_ptrIKiEEEESI_EEEEESK_NSA_INS5_IJNSC_16discard_iteratorINSC_11use_defaultEEESN_EEEEEPS7_SQ_SQ_NSC_11hip_rocprim7__merge17predicate_wrapperIiiNSC_4lessIiEEEEEE10hipError_tPvRmT0_T1_T2_T3_T4_T5_mmT6_P12ihipStream_tbEUlT_E_NS1_11comp_targetILNS1_3genE4ELNS1_11target_archE910ELNS1_3gpuE8ELNS1_3repE0EEENS1_30default_config_static_selectorELNS0_4arch9wavefront6targetE0EEEvS11_.has_recursion, 0
	.set _ZN7rocprim17ROCPRIM_400000_NS6detail17trampoline_kernelINS0_14default_configENS1_21merge_config_selectorINS0_5tupleIJiiEEENS0_10empty_typeEEEZNS1_10merge_implIS3_NS0_12zip_iteratorINS5_IJN6thrust23THRUST_200600_302600_NS6detail15normal_iteratorINSC_10device_ptrIKiEEEESI_EEEEESK_NSA_INS5_IJNSC_16discard_iteratorINSC_11use_defaultEEESN_EEEEEPS7_SQ_SQ_NSC_11hip_rocprim7__merge17predicate_wrapperIiiNSC_4lessIiEEEEEE10hipError_tPvRmT0_T1_T2_T3_T4_T5_mmT6_P12ihipStream_tbEUlT_E_NS1_11comp_targetILNS1_3genE4ELNS1_11target_archE910ELNS1_3gpuE8ELNS1_3repE0EEENS1_30default_config_static_selectorELNS0_4arch9wavefront6targetE0EEEvS11_.has_indirect_call, 0
	.section	.AMDGPU.csdata,"",@progbits
; Kernel info:
; codeLenInByte = 0
; TotalNumSgprs: 0
; NumVgprs: 0
; ScratchSize: 0
; MemoryBound: 0
; FloatMode: 240
; IeeeMode: 1
; LDSByteSize: 0 bytes/workgroup (compile time only)
; SGPRBlocks: 0
; VGPRBlocks: 0
; NumSGPRsForWavesPerEU: 1
; NumVGPRsForWavesPerEU: 1
; NamedBarCnt: 0
; Occupancy: 16
; WaveLimiterHint : 0
; COMPUTE_PGM_RSRC2:SCRATCH_EN: 0
; COMPUTE_PGM_RSRC2:USER_SGPR: 2
; COMPUTE_PGM_RSRC2:TRAP_HANDLER: 0
; COMPUTE_PGM_RSRC2:TGID_X_EN: 1
; COMPUTE_PGM_RSRC2:TGID_Y_EN: 0
; COMPUTE_PGM_RSRC2:TGID_Z_EN: 0
; COMPUTE_PGM_RSRC2:TIDIG_COMP_CNT: 0
	.section	.text._ZN7rocprim17ROCPRIM_400000_NS6detail17trampoline_kernelINS0_14default_configENS1_21merge_config_selectorINS0_5tupleIJiiEEENS0_10empty_typeEEEZNS1_10merge_implIS3_NS0_12zip_iteratorINS5_IJN6thrust23THRUST_200600_302600_NS6detail15normal_iteratorINSC_10device_ptrIKiEEEESI_EEEEESK_NSA_INS5_IJNSC_16discard_iteratorINSC_11use_defaultEEESN_EEEEEPS7_SQ_SQ_NSC_11hip_rocprim7__merge17predicate_wrapperIiiNSC_4lessIiEEEEEE10hipError_tPvRmT0_T1_T2_T3_T4_T5_mmT6_P12ihipStream_tbEUlT_E_NS1_11comp_targetILNS1_3genE3ELNS1_11target_archE908ELNS1_3gpuE7ELNS1_3repE0EEENS1_30default_config_static_selectorELNS0_4arch9wavefront6targetE0EEEvS11_,"axG",@progbits,_ZN7rocprim17ROCPRIM_400000_NS6detail17trampoline_kernelINS0_14default_configENS1_21merge_config_selectorINS0_5tupleIJiiEEENS0_10empty_typeEEEZNS1_10merge_implIS3_NS0_12zip_iteratorINS5_IJN6thrust23THRUST_200600_302600_NS6detail15normal_iteratorINSC_10device_ptrIKiEEEESI_EEEEESK_NSA_INS5_IJNSC_16discard_iteratorINSC_11use_defaultEEESN_EEEEEPS7_SQ_SQ_NSC_11hip_rocprim7__merge17predicate_wrapperIiiNSC_4lessIiEEEEEE10hipError_tPvRmT0_T1_T2_T3_T4_T5_mmT6_P12ihipStream_tbEUlT_E_NS1_11comp_targetILNS1_3genE3ELNS1_11target_archE908ELNS1_3gpuE7ELNS1_3repE0EEENS1_30default_config_static_selectorELNS0_4arch9wavefront6targetE0EEEvS11_,comdat
	.protected	_ZN7rocprim17ROCPRIM_400000_NS6detail17trampoline_kernelINS0_14default_configENS1_21merge_config_selectorINS0_5tupleIJiiEEENS0_10empty_typeEEEZNS1_10merge_implIS3_NS0_12zip_iteratorINS5_IJN6thrust23THRUST_200600_302600_NS6detail15normal_iteratorINSC_10device_ptrIKiEEEESI_EEEEESK_NSA_INS5_IJNSC_16discard_iteratorINSC_11use_defaultEEESN_EEEEEPS7_SQ_SQ_NSC_11hip_rocprim7__merge17predicate_wrapperIiiNSC_4lessIiEEEEEE10hipError_tPvRmT0_T1_T2_T3_T4_T5_mmT6_P12ihipStream_tbEUlT_E_NS1_11comp_targetILNS1_3genE3ELNS1_11target_archE908ELNS1_3gpuE7ELNS1_3repE0EEENS1_30default_config_static_selectorELNS0_4arch9wavefront6targetE0EEEvS11_ ; -- Begin function _ZN7rocprim17ROCPRIM_400000_NS6detail17trampoline_kernelINS0_14default_configENS1_21merge_config_selectorINS0_5tupleIJiiEEENS0_10empty_typeEEEZNS1_10merge_implIS3_NS0_12zip_iteratorINS5_IJN6thrust23THRUST_200600_302600_NS6detail15normal_iteratorINSC_10device_ptrIKiEEEESI_EEEEESK_NSA_INS5_IJNSC_16discard_iteratorINSC_11use_defaultEEESN_EEEEEPS7_SQ_SQ_NSC_11hip_rocprim7__merge17predicate_wrapperIiiNSC_4lessIiEEEEEE10hipError_tPvRmT0_T1_T2_T3_T4_T5_mmT6_P12ihipStream_tbEUlT_E_NS1_11comp_targetILNS1_3genE3ELNS1_11target_archE908ELNS1_3gpuE7ELNS1_3repE0EEENS1_30default_config_static_selectorELNS0_4arch9wavefront6targetE0EEEvS11_
	.globl	_ZN7rocprim17ROCPRIM_400000_NS6detail17trampoline_kernelINS0_14default_configENS1_21merge_config_selectorINS0_5tupleIJiiEEENS0_10empty_typeEEEZNS1_10merge_implIS3_NS0_12zip_iteratorINS5_IJN6thrust23THRUST_200600_302600_NS6detail15normal_iteratorINSC_10device_ptrIKiEEEESI_EEEEESK_NSA_INS5_IJNSC_16discard_iteratorINSC_11use_defaultEEESN_EEEEEPS7_SQ_SQ_NSC_11hip_rocprim7__merge17predicate_wrapperIiiNSC_4lessIiEEEEEE10hipError_tPvRmT0_T1_T2_T3_T4_T5_mmT6_P12ihipStream_tbEUlT_E_NS1_11comp_targetILNS1_3genE3ELNS1_11target_archE908ELNS1_3gpuE7ELNS1_3repE0EEENS1_30default_config_static_selectorELNS0_4arch9wavefront6targetE0EEEvS11_
	.p2align	8
	.type	_ZN7rocprim17ROCPRIM_400000_NS6detail17trampoline_kernelINS0_14default_configENS1_21merge_config_selectorINS0_5tupleIJiiEEENS0_10empty_typeEEEZNS1_10merge_implIS3_NS0_12zip_iteratorINS5_IJN6thrust23THRUST_200600_302600_NS6detail15normal_iteratorINSC_10device_ptrIKiEEEESI_EEEEESK_NSA_INS5_IJNSC_16discard_iteratorINSC_11use_defaultEEESN_EEEEEPS7_SQ_SQ_NSC_11hip_rocprim7__merge17predicate_wrapperIiiNSC_4lessIiEEEEEE10hipError_tPvRmT0_T1_T2_T3_T4_T5_mmT6_P12ihipStream_tbEUlT_E_NS1_11comp_targetILNS1_3genE3ELNS1_11target_archE908ELNS1_3gpuE7ELNS1_3repE0EEENS1_30default_config_static_selectorELNS0_4arch9wavefront6targetE0EEEvS11_,@function
_ZN7rocprim17ROCPRIM_400000_NS6detail17trampoline_kernelINS0_14default_configENS1_21merge_config_selectorINS0_5tupleIJiiEEENS0_10empty_typeEEEZNS1_10merge_implIS3_NS0_12zip_iteratorINS5_IJN6thrust23THRUST_200600_302600_NS6detail15normal_iteratorINSC_10device_ptrIKiEEEESI_EEEEESK_NSA_INS5_IJNSC_16discard_iteratorINSC_11use_defaultEEESN_EEEEEPS7_SQ_SQ_NSC_11hip_rocprim7__merge17predicate_wrapperIiiNSC_4lessIiEEEEEE10hipError_tPvRmT0_T1_T2_T3_T4_T5_mmT6_P12ihipStream_tbEUlT_E_NS1_11comp_targetILNS1_3genE3ELNS1_11target_archE908ELNS1_3gpuE7ELNS1_3repE0EEENS1_30default_config_static_selectorELNS0_4arch9wavefront6targetE0EEEvS11_: ; @_ZN7rocprim17ROCPRIM_400000_NS6detail17trampoline_kernelINS0_14default_configENS1_21merge_config_selectorINS0_5tupleIJiiEEENS0_10empty_typeEEEZNS1_10merge_implIS3_NS0_12zip_iteratorINS5_IJN6thrust23THRUST_200600_302600_NS6detail15normal_iteratorINSC_10device_ptrIKiEEEESI_EEEEESK_NSA_INS5_IJNSC_16discard_iteratorINSC_11use_defaultEEESN_EEEEEPS7_SQ_SQ_NSC_11hip_rocprim7__merge17predicate_wrapperIiiNSC_4lessIiEEEEEE10hipError_tPvRmT0_T1_T2_T3_T4_T5_mmT6_P12ihipStream_tbEUlT_E_NS1_11comp_targetILNS1_3genE3ELNS1_11target_archE908ELNS1_3gpuE7ELNS1_3repE0EEENS1_30default_config_static_selectorELNS0_4arch9wavefront6targetE0EEEvS11_
; %bb.0:
	.section	.rodata,"a",@progbits
	.p2align	6, 0x0
	.amdhsa_kernel _ZN7rocprim17ROCPRIM_400000_NS6detail17trampoline_kernelINS0_14default_configENS1_21merge_config_selectorINS0_5tupleIJiiEEENS0_10empty_typeEEEZNS1_10merge_implIS3_NS0_12zip_iteratorINS5_IJN6thrust23THRUST_200600_302600_NS6detail15normal_iteratorINSC_10device_ptrIKiEEEESI_EEEEESK_NSA_INS5_IJNSC_16discard_iteratorINSC_11use_defaultEEESN_EEEEEPS7_SQ_SQ_NSC_11hip_rocprim7__merge17predicate_wrapperIiiNSC_4lessIiEEEEEE10hipError_tPvRmT0_T1_T2_T3_T4_T5_mmT6_P12ihipStream_tbEUlT_E_NS1_11comp_targetILNS1_3genE3ELNS1_11target_archE908ELNS1_3gpuE7ELNS1_3repE0EEENS1_30default_config_static_selectorELNS0_4arch9wavefront6targetE0EEEvS11_
		.amdhsa_group_segment_fixed_size 0
		.amdhsa_private_segment_fixed_size 0
		.amdhsa_kernarg_size 64
		.amdhsa_user_sgpr_count 2
		.amdhsa_user_sgpr_dispatch_ptr 0
		.amdhsa_user_sgpr_queue_ptr 0
		.amdhsa_user_sgpr_kernarg_segment_ptr 1
		.amdhsa_user_sgpr_dispatch_id 0
		.amdhsa_user_sgpr_kernarg_preload_length 0
		.amdhsa_user_sgpr_kernarg_preload_offset 0
		.amdhsa_user_sgpr_private_segment_size 0
		.amdhsa_wavefront_size32 1
		.amdhsa_uses_dynamic_stack 0
		.amdhsa_enable_private_segment 0
		.amdhsa_system_sgpr_workgroup_id_x 1
		.amdhsa_system_sgpr_workgroup_id_y 0
		.amdhsa_system_sgpr_workgroup_id_z 0
		.amdhsa_system_sgpr_workgroup_info 0
		.amdhsa_system_vgpr_workitem_id 0
		.amdhsa_next_free_vgpr 1
		.amdhsa_next_free_sgpr 1
		.amdhsa_named_barrier_count 0
		.amdhsa_reserve_vcc 0
		.amdhsa_float_round_mode_32 0
		.amdhsa_float_round_mode_16_64 0
		.amdhsa_float_denorm_mode_32 3
		.amdhsa_float_denorm_mode_16_64 3
		.amdhsa_fp16_overflow 0
		.amdhsa_memory_ordered 1
		.amdhsa_forward_progress 1
		.amdhsa_inst_pref_size 0
		.amdhsa_round_robin_scheduling 0
		.amdhsa_exception_fp_ieee_invalid_op 0
		.amdhsa_exception_fp_denorm_src 0
		.amdhsa_exception_fp_ieee_div_zero 0
		.amdhsa_exception_fp_ieee_overflow 0
		.amdhsa_exception_fp_ieee_underflow 0
		.amdhsa_exception_fp_ieee_inexact 0
		.amdhsa_exception_int_div_zero 0
	.end_amdhsa_kernel
	.section	.text._ZN7rocprim17ROCPRIM_400000_NS6detail17trampoline_kernelINS0_14default_configENS1_21merge_config_selectorINS0_5tupleIJiiEEENS0_10empty_typeEEEZNS1_10merge_implIS3_NS0_12zip_iteratorINS5_IJN6thrust23THRUST_200600_302600_NS6detail15normal_iteratorINSC_10device_ptrIKiEEEESI_EEEEESK_NSA_INS5_IJNSC_16discard_iteratorINSC_11use_defaultEEESN_EEEEEPS7_SQ_SQ_NSC_11hip_rocprim7__merge17predicate_wrapperIiiNSC_4lessIiEEEEEE10hipError_tPvRmT0_T1_T2_T3_T4_T5_mmT6_P12ihipStream_tbEUlT_E_NS1_11comp_targetILNS1_3genE3ELNS1_11target_archE908ELNS1_3gpuE7ELNS1_3repE0EEENS1_30default_config_static_selectorELNS0_4arch9wavefront6targetE0EEEvS11_,"axG",@progbits,_ZN7rocprim17ROCPRIM_400000_NS6detail17trampoline_kernelINS0_14default_configENS1_21merge_config_selectorINS0_5tupleIJiiEEENS0_10empty_typeEEEZNS1_10merge_implIS3_NS0_12zip_iteratorINS5_IJN6thrust23THRUST_200600_302600_NS6detail15normal_iteratorINSC_10device_ptrIKiEEEESI_EEEEESK_NSA_INS5_IJNSC_16discard_iteratorINSC_11use_defaultEEESN_EEEEEPS7_SQ_SQ_NSC_11hip_rocprim7__merge17predicate_wrapperIiiNSC_4lessIiEEEEEE10hipError_tPvRmT0_T1_T2_T3_T4_T5_mmT6_P12ihipStream_tbEUlT_E_NS1_11comp_targetILNS1_3genE3ELNS1_11target_archE908ELNS1_3gpuE7ELNS1_3repE0EEENS1_30default_config_static_selectorELNS0_4arch9wavefront6targetE0EEEvS11_,comdat
.Lfunc_end590:
	.size	_ZN7rocprim17ROCPRIM_400000_NS6detail17trampoline_kernelINS0_14default_configENS1_21merge_config_selectorINS0_5tupleIJiiEEENS0_10empty_typeEEEZNS1_10merge_implIS3_NS0_12zip_iteratorINS5_IJN6thrust23THRUST_200600_302600_NS6detail15normal_iteratorINSC_10device_ptrIKiEEEESI_EEEEESK_NSA_INS5_IJNSC_16discard_iteratorINSC_11use_defaultEEESN_EEEEEPS7_SQ_SQ_NSC_11hip_rocprim7__merge17predicate_wrapperIiiNSC_4lessIiEEEEEE10hipError_tPvRmT0_T1_T2_T3_T4_T5_mmT6_P12ihipStream_tbEUlT_E_NS1_11comp_targetILNS1_3genE3ELNS1_11target_archE908ELNS1_3gpuE7ELNS1_3repE0EEENS1_30default_config_static_selectorELNS0_4arch9wavefront6targetE0EEEvS11_, .Lfunc_end590-_ZN7rocprim17ROCPRIM_400000_NS6detail17trampoline_kernelINS0_14default_configENS1_21merge_config_selectorINS0_5tupleIJiiEEENS0_10empty_typeEEEZNS1_10merge_implIS3_NS0_12zip_iteratorINS5_IJN6thrust23THRUST_200600_302600_NS6detail15normal_iteratorINSC_10device_ptrIKiEEEESI_EEEEESK_NSA_INS5_IJNSC_16discard_iteratorINSC_11use_defaultEEESN_EEEEEPS7_SQ_SQ_NSC_11hip_rocprim7__merge17predicate_wrapperIiiNSC_4lessIiEEEEEE10hipError_tPvRmT0_T1_T2_T3_T4_T5_mmT6_P12ihipStream_tbEUlT_E_NS1_11comp_targetILNS1_3genE3ELNS1_11target_archE908ELNS1_3gpuE7ELNS1_3repE0EEENS1_30default_config_static_selectorELNS0_4arch9wavefront6targetE0EEEvS11_
                                        ; -- End function
	.set _ZN7rocprim17ROCPRIM_400000_NS6detail17trampoline_kernelINS0_14default_configENS1_21merge_config_selectorINS0_5tupleIJiiEEENS0_10empty_typeEEEZNS1_10merge_implIS3_NS0_12zip_iteratorINS5_IJN6thrust23THRUST_200600_302600_NS6detail15normal_iteratorINSC_10device_ptrIKiEEEESI_EEEEESK_NSA_INS5_IJNSC_16discard_iteratorINSC_11use_defaultEEESN_EEEEEPS7_SQ_SQ_NSC_11hip_rocprim7__merge17predicate_wrapperIiiNSC_4lessIiEEEEEE10hipError_tPvRmT0_T1_T2_T3_T4_T5_mmT6_P12ihipStream_tbEUlT_E_NS1_11comp_targetILNS1_3genE3ELNS1_11target_archE908ELNS1_3gpuE7ELNS1_3repE0EEENS1_30default_config_static_selectorELNS0_4arch9wavefront6targetE0EEEvS11_.num_vgpr, 0
	.set _ZN7rocprim17ROCPRIM_400000_NS6detail17trampoline_kernelINS0_14default_configENS1_21merge_config_selectorINS0_5tupleIJiiEEENS0_10empty_typeEEEZNS1_10merge_implIS3_NS0_12zip_iteratorINS5_IJN6thrust23THRUST_200600_302600_NS6detail15normal_iteratorINSC_10device_ptrIKiEEEESI_EEEEESK_NSA_INS5_IJNSC_16discard_iteratorINSC_11use_defaultEEESN_EEEEEPS7_SQ_SQ_NSC_11hip_rocprim7__merge17predicate_wrapperIiiNSC_4lessIiEEEEEE10hipError_tPvRmT0_T1_T2_T3_T4_T5_mmT6_P12ihipStream_tbEUlT_E_NS1_11comp_targetILNS1_3genE3ELNS1_11target_archE908ELNS1_3gpuE7ELNS1_3repE0EEENS1_30default_config_static_selectorELNS0_4arch9wavefront6targetE0EEEvS11_.num_agpr, 0
	.set _ZN7rocprim17ROCPRIM_400000_NS6detail17trampoline_kernelINS0_14default_configENS1_21merge_config_selectorINS0_5tupleIJiiEEENS0_10empty_typeEEEZNS1_10merge_implIS3_NS0_12zip_iteratorINS5_IJN6thrust23THRUST_200600_302600_NS6detail15normal_iteratorINSC_10device_ptrIKiEEEESI_EEEEESK_NSA_INS5_IJNSC_16discard_iteratorINSC_11use_defaultEEESN_EEEEEPS7_SQ_SQ_NSC_11hip_rocprim7__merge17predicate_wrapperIiiNSC_4lessIiEEEEEE10hipError_tPvRmT0_T1_T2_T3_T4_T5_mmT6_P12ihipStream_tbEUlT_E_NS1_11comp_targetILNS1_3genE3ELNS1_11target_archE908ELNS1_3gpuE7ELNS1_3repE0EEENS1_30default_config_static_selectorELNS0_4arch9wavefront6targetE0EEEvS11_.numbered_sgpr, 0
	.set _ZN7rocprim17ROCPRIM_400000_NS6detail17trampoline_kernelINS0_14default_configENS1_21merge_config_selectorINS0_5tupleIJiiEEENS0_10empty_typeEEEZNS1_10merge_implIS3_NS0_12zip_iteratorINS5_IJN6thrust23THRUST_200600_302600_NS6detail15normal_iteratorINSC_10device_ptrIKiEEEESI_EEEEESK_NSA_INS5_IJNSC_16discard_iteratorINSC_11use_defaultEEESN_EEEEEPS7_SQ_SQ_NSC_11hip_rocprim7__merge17predicate_wrapperIiiNSC_4lessIiEEEEEE10hipError_tPvRmT0_T1_T2_T3_T4_T5_mmT6_P12ihipStream_tbEUlT_E_NS1_11comp_targetILNS1_3genE3ELNS1_11target_archE908ELNS1_3gpuE7ELNS1_3repE0EEENS1_30default_config_static_selectorELNS0_4arch9wavefront6targetE0EEEvS11_.num_named_barrier, 0
	.set _ZN7rocprim17ROCPRIM_400000_NS6detail17trampoline_kernelINS0_14default_configENS1_21merge_config_selectorINS0_5tupleIJiiEEENS0_10empty_typeEEEZNS1_10merge_implIS3_NS0_12zip_iteratorINS5_IJN6thrust23THRUST_200600_302600_NS6detail15normal_iteratorINSC_10device_ptrIKiEEEESI_EEEEESK_NSA_INS5_IJNSC_16discard_iteratorINSC_11use_defaultEEESN_EEEEEPS7_SQ_SQ_NSC_11hip_rocprim7__merge17predicate_wrapperIiiNSC_4lessIiEEEEEE10hipError_tPvRmT0_T1_T2_T3_T4_T5_mmT6_P12ihipStream_tbEUlT_E_NS1_11comp_targetILNS1_3genE3ELNS1_11target_archE908ELNS1_3gpuE7ELNS1_3repE0EEENS1_30default_config_static_selectorELNS0_4arch9wavefront6targetE0EEEvS11_.private_seg_size, 0
	.set _ZN7rocprim17ROCPRIM_400000_NS6detail17trampoline_kernelINS0_14default_configENS1_21merge_config_selectorINS0_5tupleIJiiEEENS0_10empty_typeEEEZNS1_10merge_implIS3_NS0_12zip_iteratorINS5_IJN6thrust23THRUST_200600_302600_NS6detail15normal_iteratorINSC_10device_ptrIKiEEEESI_EEEEESK_NSA_INS5_IJNSC_16discard_iteratorINSC_11use_defaultEEESN_EEEEEPS7_SQ_SQ_NSC_11hip_rocprim7__merge17predicate_wrapperIiiNSC_4lessIiEEEEEE10hipError_tPvRmT0_T1_T2_T3_T4_T5_mmT6_P12ihipStream_tbEUlT_E_NS1_11comp_targetILNS1_3genE3ELNS1_11target_archE908ELNS1_3gpuE7ELNS1_3repE0EEENS1_30default_config_static_selectorELNS0_4arch9wavefront6targetE0EEEvS11_.uses_vcc, 0
	.set _ZN7rocprim17ROCPRIM_400000_NS6detail17trampoline_kernelINS0_14default_configENS1_21merge_config_selectorINS0_5tupleIJiiEEENS0_10empty_typeEEEZNS1_10merge_implIS3_NS0_12zip_iteratorINS5_IJN6thrust23THRUST_200600_302600_NS6detail15normal_iteratorINSC_10device_ptrIKiEEEESI_EEEEESK_NSA_INS5_IJNSC_16discard_iteratorINSC_11use_defaultEEESN_EEEEEPS7_SQ_SQ_NSC_11hip_rocprim7__merge17predicate_wrapperIiiNSC_4lessIiEEEEEE10hipError_tPvRmT0_T1_T2_T3_T4_T5_mmT6_P12ihipStream_tbEUlT_E_NS1_11comp_targetILNS1_3genE3ELNS1_11target_archE908ELNS1_3gpuE7ELNS1_3repE0EEENS1_30default_config_static_selectorELNS0_4arch9wavefront6targetE0EEEvS11_.uses_flat_scratch, 0
	.set _ZN7rocprim17ROCPRIM_400000_NS6detail17trampoline_kernelINS0_14default_configENS1_21merge_config_selectorINS0_5tupleIJiiEEENS0_10empty_typeEEEZNS1_10merge_implIS3_NS0_12zip_iteratorINS5_IJN6thrust23THRUST_200600_302600_NS6detail15normal_iteratorINSC_10device_ptrIKiEEEESI_EEEEESK_NSA_INS5_IJNSC_16discard_iteratorINSC_11use_defaultEEESN_EEEEEPS7_SQ_SQ_NSC_11hip_rocprim7__merge17predicate_wrapperIiiNSC_4lessIiEEEEEE10hipError_tPvRmT0_T1_T2_T3_T4_T5_mmT6_P12ihipStream_tbEUlT_E_NS1_11comp_targetILNS1_3genE3ELNS1_11target_archE908ELNS1_3gpuE7ELNS1_3repE0EEENS1_30default_config_static_selectorELNS0_4arch9wavefront6targetE0EEEvS11_.has_dyn_sized_stack, 0
	.set _ZN7rocprim17ROCPRIM_400000_NS6detail17trampoline_kernelINS0_14default_configENS1_21merge_config_selectorINS0_5tupleIJiiEEENS0_10empty_typeEEEZNS1_10merge_implIS3_NS0_12zip_iteratorINS5_IJN6thrust23THRUST_200600_302600_NS6detail15normal_iteratorINSC_10device_ptrIKiEEEESI_EEEEESK_NSA_INS5_IJNSC_16discard_iteratorINSC_11use_defaultEEESN_EEEEEPS7_SQ_SQ_NSC_11hip_rocprim7__merge17predicate_wrapperIiiNSC_4lessIiEEEEEE10hipError_tPvRmT0_T1_T2_T3_T4_T5_mmT6_P12ihipStream_tbEUlT_E_NS1_11comp_targetILNS1_3genE3ELNS1_11target_archE908ELNS1_3gpuE7ELNS1_3repE0EEENS1_30default_config_static_selectorELNS0_4arch9wavefront6targetE0EEEvS11_.has_recursion, 0
	.set _ZN7rocprim17ROCPRIM_400000_NS6detail17trampoline_kernelINS0_14default_configENS1_21merge_config_selectorINS0_5tupleIJiiEEENS0_10empty_typeEEEZNS1_10merge_implIS3_NS0_12zip_iteratorINS5_IJN6thrust23THRUST_200600_302600_NS6detail15normal_iteratorINSC_10device_ptrIKiEEEESI_EEEEESK_NSA_INS5_IJNSC_16discard_iteratorINSC_11use_defaultEEESN_EEEEEPS7_SQ_SQ_NSC_11hip_rocprim7__merge17predicate_wrapperIiiNSC_4lessIiEEEEEE10hipError_tPvRmT0_T1_T2_T3_T4_T5_mmT6_P12ihipStream_tbEUlT_E_NS1_11comp_targetILNS1_3genE3ELNS1_11target_archE908ELNS1_3gpuE7ELNS1_3repE0EEENS1_30default_config_static_selectorELNS0_4arch9wavefront6targetE0EEEvS11_.has_indirect_call, 0
	.section	.AMDGPU.csdata,"",@progbits
; Kernel info:
; codeLenInByte = 0
; TotalNumSgprs: 0
; NumVgprs: 0
; ScratchSize: 0
; MemoryBound: 0
; FloatMode: 240
; IeeeMode: 1
; LDSByteSize: 0 bytes/workgroup (compile time only)
; SGPRBlocks: 0
; VGPRBlocks: 0
; NumSGPRsForWavesPerEU: 1
; NumVGPRsForWavesPerEU: 1
; NamedBarCnt: 0
; Occupancy: 16
; WaveLimiterHint : 0
; COMPUTE_PGM_RSRC2:SCRATCH_EN: 0
; COMPUTE_PGM_RSRC2:USER_SGPR: 2
; COMPUTE_PGM_RSRC2:TRAP_HANDLER: 0
; COMPUTE_PGM_RSRC2:TGID_X_EN: 1
; COMPUTE_PGM_RSRC2:TGID_Y_EN: 0
; COMPUTE_PGM_RSRC2:TGID_Z_EN: 0
; COMPUTE_PGM_RSRC2:TIDIG_COMP_CNT: 0
	.section	.text._ZN7rocprim17ROCPRIM_400000_NS6detail17trampoline_kernelINS0_14default_configENS1_21merge_config_selectorINS0_5tupleIJiiEEENS0_10empty_typeEEEZNS1_10merge_implIS3_NS0_12zip_iteratorINS5_IJN6thrust23THRUST_200600_302600_NS6detail15normal_iteratorINSC_10device_ptrIKiEEEESI_EEEEESK_NSA_INS5_IJNSC_16discard_iteratorINSC_11use_defaultEEESN_EEEEEPS7_SQ_SQ_NSC_11hip_rocprim7__merge17predicate_wrapperIiiNSC_4lessIiEEEEEE10hipError_tPvRmT0_T1_T2_T3_T4_T5_mmT6_P12ihipStream_tbEUlT_E_NS1_11comp_targetILNS1_3genE2ELNS1_11target_archE906ELNS1_3gpuE6ELNS1_3repE0EEENS1_30default_config_static_selectorELNS0_4arch9wavefront6targetE0EEEvS11_,"axG",@progbits,_ZN7rocprim17ROCPRIM_400000_NS6detail17trampoline_kernelINS0_14default_configENS1_21merge_config_selectorINS0_5tupleIJiiEEENS0_10empty_typeEEEZNS1_10merge_implIS3_NS0_12zip_iteratorINS5_IJN6thrust23THRUST_200600_302600_NS6detail15normal_iteratorINSC_10device_ptrIKiEEEESI_EEEEESK_NSA_INS5_IJNSC_16discard_iteratorINSC_11use_defaultEEESN_EEEEEPS7_SQ_SQ_NSC_11hip_rocprim7__merge17predicate_wrapperIiiNSC_4lessIiEEEEEE10hipError_tPvRmT0_T1_T2_T3_T4_T5_mmT6_P12ihipStream_tbEUlT_E_NS1_11comp_targetILNS1_3genE2ELNS1_11target_archE906ELNS1_3gpuE6ELNS1_3repE0EEENS1_30default_config_static_selectorELNS0_4arch9wavefront6targetE0EEEvS11_,comdat
	.protected	_ZN7rocprim17ROCPRIM_400000_NS6detail17trampoline_kernelINS0_14default_configENS1_21merge_config_selectorINS0_5tupleIJiiEEENS0_10empty_typeEEEZNS1_10merge_implIS3_NS0_12zip_iteratorINS5_IJN6thrust23THRUST_200600_302600_NS6detail15normal_iteratorINSC_10device_ptrIKiEEEESI_EEEEESK_NSA_INS5_IJNSC_16discard_iteratorINSC_11use_defaultEEESN_EEEEEPS7_SQ_SQ_NSC_11hip_rocprim7__merge17predicate_wrapperIiiNSC_4lessIiEEEEEE10hipError_tPvRmT0_T1_T2_T3_T4_T5_mmT6_P12ihipStream_tbEUlT_E_NS1_11comp_targetILNS1_3genE2ELNS1_11target_archE906ELNS1_3gpuE6ELNS1_3repE0EEENS1_30default_config_static_selectorELNS0_4arch9wavefront6targetE0EEEvS11_ ; -- Begin function _ZN7rocprim17ROCPRIM_400000_NS6detail17trampoline_kernelINS0_14default_configENS1_21merge_config_selectorINS0_5tupleIJiiEEENS0_10empty_typeEEEZNS1_10merge_implIS3_NS0_12zip_iteratorINS5_IJN6thrust23THRUST_200600_302600_NS6detail15normal_iteratorINSC_10device_ptrIKiEEEESI_EEEEESK_NSA_INS5_IJNSC_16discard_iteratorINSC_11use_defaultEEESN_EEEEEPS7_SQ_SQ_NSC_11hip_rocprim7__merge17predicate_wrapperIiiNSC_4lessIiEEEEEE10hipError_tPvRmT0_T1_T2_T3_T4_T5_mmT6_P12ihipStream_tbEUlT_E_NS1_11comp_targetILNS1_3genE2ELNS1_11target_archE906ELNS1_3gpuE6ELNS1_3repE0EEENS1_30default_config_static_selectorELNS0_4arch9wavefront6targetE0EEEvS11_
	.globl	_ZN7rocprim17ROCPRIM_400000_NS6detail17trampoline_kernelINS0_14default_configENS1_21merge_config_selectorINS0_5tupleIJiiEEENS0_10empty_typeEEEZNS1_10merge_implIS3_NS0_12zip_iteratorINS5_IJN6thrust23THRUST_200600_302600_NS6detail15normal_iteratorINSC_10device_ptrIKiEEEESI_EEEEESK_NSA_INS5_IJNSC_16discard_iteratorINSC_11use_defaultEEESN_EEEEEPS7_SQ_SQ_NSC_11hip_rocprim7__merge17predicate_wrapperIiiNSC_4lessIiEEEEEE10hipError_tPvRmT0_T1_T2_T3_T4_T5_mmT6_P12ihipStream_tbEUlT_E_NS1_11comp_targetILNS1_3genE2ELNS1_11target_archE906ELNS1_3gpuE6ELNS1_3repE0EEENS1_30default_config_static_selectorELNS0_4arch9wavefront6targetE0EEEvS11_
	.p2align	8
	.type	_ZN7rocprim17ROCPRIM_400000_NS6detail17trampoline_kernelINS0_14default_configENS1_21merge_config_selectorINS0_5tupleIJiiEEENS0_10empty_typeEEEZNS1_10merge_implIS3_NS0_12zip_iteratorINS5_IJN6thrust23THRUST_200600_302600_NS6detail15normal_iteratorINSC_10device_ptrIKiEEEESI_EEEEESK_NSA_INS5_IJNSC_16discard_iteratorINSC_11use_defaultEEESN_EEEEEPS7_SQ_SQ_NSC_11hip_rocprim7__merge17predicate_wrapperIiiNSC_4lessIiEEEEEE10hipError_tPvRmT0_T1_T2_T3_T4_T5_mmT6_P12ihipStream_tbEUlT_E_NS1_11comp_targetILNS1_3genE2ELNS1_11target_archE906ELNS1_3gpuE6ELNS1_3repE0EEENS1_30default_config_static_selectorELNS0_4arch9wavefront6targetE0EEEvS11_,@function
_ZN7rocprim17ROCPRIM_400000_NS6detail17trampoline_kernelINS0_14default_configENS1_21merge_config_selectorINS0_5tupleIJiiEEENS0_10empty_typeEEEZNS1_10merge_implIS3_NS0_12zip_iteratorINS5_IJN6thrust23THRUST_200600_302600_NS6detail15normal_iteratorINSC_10device_ptrIKiEEEESI_EEEEESK_NSA_INS5_IJNSC_16discard_iteratorINSC_11use_defaultEEESN_EEEEEPS7_SQ_SQ_NSC_11hip_rocprim7__merge17predicate_wrapperIiiNSC_4lessIiEEEEEE10hipError_tPvRmT0_T1_T2_T3_T4_T5_mmT6_P12ihipStream_tbEUlT_E_NS1_11comp_targetILNS1_3genE2ELNS1_11target_archE906ELNS1_3gpuE6ELNS1_3repE0EEENS1_30default_config_static_selectorELNS0_4arch9wavefront6targetE0EEEvS11_: ; @_ZN7rocprim17ROCPRIM_400000_NS6detail17trampoline_kernelINS0_14default_configENS1_21merge_config_selectorINS0_5tupleIJiiEEENS0_10empty_typeEEEZNS1_10merge_implIS3_NS0_12zip_iteratorINS5_IJN6thrust23THRUST_200600_302600_NS6detail15normal_iteratorINSC_10device_ptrIKiEEEESI_EEEEESK_NSA_INS5_IJNSC_16discard_iteratorINSC_11use_defaultEEESN_EEEEEPS7_SQ_SQ_NSC_11hip_rocprim7__merge17predicate_wrapperIiiNSC_4lessIiEEEEEE10hipError_tPvRmT0_T1_T2_T3_T4_T5_mmT6_P12ihipStream_tbEUlT_E_NS1_11comp_targetILNS1_3genE2ELNS1_11target_archE906ELNS1_3gpuE6ELNS1_3repE0EEENS1_30default_config_static_selectorELNS0_4arch9wavefront6targetE0EEEvS11_
; %bb.0:
	.section	.rodata,"a",@progbits
	.p2align	6, 0x0
	.amdhsa_kernel _ZN7rocprim17ROCPRIM_400000_NS6detail17trampoline_kernelINS0_14default_configENS1_21merge_config_selectorINS0_5tupleIJiiEEENS0_10empty_typeEEEZNS1_10merge_implIS3_NS0_12zip_iteratorINS5_IJN6thrust23THRUST_200600_302600_NS6detail15normal_iteratorINSC_10device_ptrIKiEEEESI_EEEEESK_NSA_INS5_IJNSC_16discard_iteratorINSC_11use_defaultEEESN_EEEEEPS7_SQ_SQ_NSC_11hip_rocprim7__merge17predicate_wrapperIiiNSC_4lessIiEEEEEE10hipError_tPvRmT0_T1_T2_T3_T4_T5_mmT6_P12ihipStream_tbEUlT_E_NS1_11comp_targetILNS1_3genE2ELNS1_11target_archE906ELNS1_3gpuE6ELNS1_3repE0EEENS1_30default_config_static_selectorELNS0_4arch9wavefront6targetE0EEEvS11_
		.amdhsa_group_segment_fixed_size 0
		.amdhsa_private_segment_fixed_size 0
		.amdhsa_kernarg_size 64
		.amdhsa_user_sgpr_count 2
		.amdhsa_user_sgpr_dispatch_ptr 0
		.amdhsa_user_sgpr_queue_ptr 0
		.amdhsa_user_sgpr_kernarg_segment_ptr 1
		.amdhsa_user_sgpr_dispatch_id 0
		.amdhsa_user_sgpr_kernarg_preload_length 0
		.amdhsa_user_sgpr_kernarg_preload_offset 0
		.amdhsa_user_sgpr_private_segment_size 0
		.amdhsa_wavefront_size32 1
		.amdhsa_uses_dynamic_stack 0
		.amdhsa_enable_private_segment 0
		.amdhsa_system_sgpr_workgroup_id_x 1
		.amdhsa_system_sgpr_workgroup_id_y 0
		.amdhsa_system_sgpr_workgroup_id_z 0
		.amdhsa_system_sgpr_workgroup_info 0
		.amdhsa_system_vgpr_workitem_id 0
		.amdhsa_next_free_vgpr 1
		.amdhsa_next_free_sgpr 1
		.amdhsa_named_barrier_count 0
		.amdhsa_reserve_vcc 0
		.amdhsa_float_round_mode_32 0
		.amdhsa_float_round_mode_16_64 0
		.amdhsa_float_denorm_mode_32 3
		.amdhsa_float_denorm_mode_16_64 3
		.amdhsa_fp16_overflow 0
		.amdhsa_memory_ordered 1
		.amdhsa_forward_progress 1
		.amdhsa_inst_pref_size 0
		.amdhsa_round_robin_scheduling 0
		.amdhsa_exception_fp_ieee_invalid_op 0
		.amdhsa_exception_fp_denorm_src 0
		.amdhsa_exception_fp_ieee_div_zero 0
		.amdhsa_exception_fp_ieee_overflow 0
		.amdhsa_exception_fp_ieee_underflow 0
		.amdhsa_exception_fp_ieee_inexact 0
		.amdhsa_exception_int_div_zero 0
	.end_amdhsa_kernel
	.section	.text._ZN7rocprim17ROCPRIM_400000_NS6detail17trampoline_kernelINS0_14default_configENS1_21merge_config_selectorINS0_5tupleIJiiEEENS0_10empty_typeEEEZNS1_10merge_implIS3_NS0_12zip_iteratorINS5_IJN6thrust23THRUST_200600_302600_NS6detail15normal_iteratorINSC_10device_ptrIKiEEEESI_EEEEESK_NSA_INS5_IJNSC_16discard_iteratorINSC_11use_defaultEEESN_EEEEEPS7_SQ_SQ_NSC_11hip_rocprim7__merge17predicate_wrapperIiiNSC_4lessIiEEEEEE10hipError_tPvRmT0_T1_T2_T3_T4_T5_mmT6_P12ihipStream_tbEUlT_E_NS1_11comp_targetILNS1_3genE2ELNS1_11target_archE906ELNS1_3gpuE6ELNS1_3repE0EEENS1_30default_config_static_selectorELNS0_4arch9wavefront6targetE0EEEvS11_,"axG",@progbits,_ZN7rocprim17ROCPRIM_400000_NS6detail17trampoline_kernelINS0_14default_configENS1_21merge_config_selectorINS0_5tupleIJiiEEENS0_10empty_typeEEEZNS1_10merge_implIS3_NS0_12zip_iteratorINS5_IJN6thrust23THRUST_200600_302600_NS6detail15normal_iteratorINSC_10device_ptrIKiEEEESI_EEEEESK_NSA_INS5_IJNSC_16discard_iteratorINSC_11use_defaultEEESN_EEEEEPS7_SQ_SQ_NSC_11hip_rocprim7__merge17predicate_wrapperIiiNSC_4lessIiEEEEEE10hipError_tPvRmT0_T1_T2_T3_T4_T5_mmT6_P12ihipStream_tbEUlT_E_NS1_11comp_targetILNS1_3genE2ELNS1_11target_archE906ELNS1_3gpuE6ELNS1_3repE0EEENS1_30default_config_static_selectorELNS0_4arch9wavefront6targetE0EEEvS11_,comdat
.Lfunc_end591:
	.size	_ZN7rocprim17ROCPRIM_400000_NS6detail17trampoline_kernelINS0_14default_configENS1_21merge_config_selectorINS0_5tupleIJiiEEENS0_10empty_typeEEEZNS1_10merge_implIS3_NS0_12zip_iteratorINS5_IJN6thrust23THRUST_200600_302600_NS6detail15normal_iteratorINSC_10device_ptrIKiEEEESI_EEEEESK_NSA_INS5_IJNSC_16discard_iteratorINSC_11use_defaultEEESN_EEEEEPS7_SQ_SQ_NSC_11hip_rocprim7__merge17predicate_wrapperIiiNSC_4lessIiEEEEEE10hipError_tPvRmT0_T1_T2_T3_T4_T5_mmT6_P12ihipStream_tbEUlT_E_NS1_11comp_targetILNS1_3genE2ELNS1_11target_archE906ELNS1_3gpuE6ELNS1_3repE0EEENS1_30default_config_static_selectorELNS0_4arch9wavefront6targetE0EEEvS11_, .Lfunc_end591-_ZN7rocprim17ROCPRIM_400000_NS6detail17trampoline_kernelINS0_14default_configENS1_21merge_config_selectorINS0_5tupleIJiiEEENS0_10empty_typeEEEZNS1_10merge_implIS3_NS0_12zip_iteratorINS5_IJN6thrust23THRUST_200600_302600_NS6detail15normal_iteratorINSC_10device_ptrIKiEEEESI_EEEEESK_NSA_INS5_IJNSC_16discard_iteratorINSC_11use_defaultEEESN_EEEEEPS7_SQ_SQ_NSC_11hip_rocprim7__merge17predicate_wrapperIiiNSC_4lessIiEEEEEE10hipError_tPvRmT0_T1_T2_T3_T4_T5_mmT6_P12ihipStream_tbEUlT_E_NS1_11comp_targetILNS1_3genE2ELNS1_11target_archE906ELNS1_3gpuE6ELNS1_3repE0EEENS1_30default_config_static_selectorELNS0_4arch9wavefront6targetE0EEEvS11_
                                        ; -- End function
	.set _ZN7rocprim17ROCPRIM_400000_NS6detail17trampoline_kernelINS0_14default_configENS1_21merge_config_selectorINS0_5tupleIJiiEEENS0_10empty_typeEEEZNS1_10merge_implIS3_NS0_12zip_iteratorINS5_IJN6thrust23THRUST_200600_302600_NS6detail15normal_iteratorINSC_10device_ptrIKiEEEESI_EEEEESK_NSA_INS5_IJNSC_16discard_iteratorINSC_11use_defaultEEESN_EEEEEPS7_SQ_SQ_NSC_11hip_rocprim7__merge17predicate_wrapperIiiNSC_4lessIiEEEEEE10hipError_tPvRmT0_T1_T2_T3_T4_T5_mmT6_P12ihipStream_tbEUlT_E_NS1_11comp_targetILNS1_3genE2ELNS1_11target_archE906ELNS1_3gpuE6ELNS1_3repE0EEENS1_30default_config_static_selectorELNS0_4arch9wavefront6targetE0EEEvS11_.num_vgpr, 0
	.set _ZN7rocprim17ROCPRIM_400000_NS6detail17trampoline_kernelINS0_14default_configENS1_21merge_config_selectorINS0_5tupleIJiiEEENS0_10empty_typeEEEZNS1_10merge_implIS3_NS0_12zip_iteratorINS5_IJN6thrust23THRUST_200600_302600_NS6detail15normal_iteratorINSC_10device_ptrIKiEEEESI_EEEEESK_NSA_INS5_IJNSC_16discard_iteratorINSC_11use_defaultEEESN_EEEEEPS7_SQ_SQ_NSC_11hip_rocprim7__merge17predicate_wrapperIiiNSC_4lessIiEEEEEE10hipError_tPvRmT0_T1_T2_T3_T4_T5_mmT6_P12ihipStream_tbEUlT_E_NS1_11comp_targetILNS1_3genE2ELNS1_11target_archE906ELNS1_3gpuE6ELNS1_3repE0EEENS1_30default_config_static_selectorELNS0_4arch9wavefront6targetE0EEEvS11_.num_agpr, 0
	.set _ZN7rocprim17ROCPRIM_400000_NS6detail17trampoline_kernelINS0_14default_configENS1_21merge_config_selectorINS0_5tupleIJiiEEENS0_10empty_typeEEEZNS1_10merge_implIS3_NS0_12zip_iteratorINS5_IJN6thrust23THRUST_200600_302600_NS6detail15normal_iteratorINSC_10device_ptrIKiEEEESI_EEEEESK_NSA_INS5_IJNSC_16discard_iteratorINSC_11use_defaultEEESN_EEEEEPS7_SQ_SQ_NSC_11hip_rocprim7__merge17predicate_wrapperIiiNSC_4lessIiEEEEEE10hipError_tPvRmT0_T1_T2_T3_T4_T5_mmT6_P12ihipStream_tbEUlT_E_NS1_11comp_targetILNS1_3genE2ELNS1_11target_archE906ELNS1_3gpuE6ELNS1_3repE0EEENS1_30default_config_static_selectorELNS0_4arch9wavefront6targetE0EEEvS11_.numbered_sgpr, 0
	.set _ZN7rocprim17ROCPRIM_400000_NS6detail17trampoline_kernelINS0_14default_configENS1_21merge_config_selectorINS0_5tupleIJiiEEENS0_10empty_typeEEEZNS1_10merge_implIS3_NS0_12zip_iteratorINS5_IJN6thrust23THRUST_200600_302600_NS6detail15normal_iteratorINSC_10device_ptrIKiEEEESI_EEEEESK_NSA_INS5_IJNSC_16discard_iteratorINSC_11use_defaultEEESN_EEEEEPS7_SQ_SQ_NSC_11hip_rocprim7__merge17predicate_wrapperIiiNSC_4lessIiEEEEEE10hipError_tPvRmT0_T1_T2_T3_T4_T5_mmT6_P12ihipStream_tbEUlT_E_NS1_11comp_targetILNS1_3genE2ELNS1_11target_archE906ELNS1_3gpuE6ELNS1_3repE0EEENS1_30default_config_static_selectorELNS0_4arch9wavefront6targetE0EEEvS11_.num_named_barrier, 0
	.set _ZN7rocprim17ROCPRIM_400000_NS6detail17trampoline_kernelINS0_14default_configENS1_21merge_config_selectorINS0_5tupleIJiiEEENS0_10empty_typeEEEZNS1_10merge_implIS3_NS0_12zip_iteratorINS5_IJN6thrust23THRUST_200600_302600_NS6detail15normal_iteratorINSC_10device_ptrIKiEEEESI_EEEEESK_NSA_INS5_IJNSC_16discard_iteratorINSC_11use_defaultEEESN_EEEEEPS7_SQ_SQ_NSC_11hip_rocprim7__merge17predicate_wrapperIiiNSC_4lessIiEEEEEE10hipError_tPvRmT0_T1_T2_T3_T4_T5_mmT6_P12ihipStream_tbEUlT_E_NS1_11comp_targetILNS1_3genE2ELNS1_11target_archE906ELNS1_3gpuE6ELNS1_3repE0EEENS1_30default_config_static_selectorELNS0_4arch9wavefront6targetE0EEEvS11_.private_seg_size, 0
	.set _ZN7rocprim17ROCPRIM_400000_NS6detail17trampoline_kernelINS0_14default_configENS1_21merge_config_selectorINS0_5tupleIJiiEEENS0_10empty_typeEEEZNS1_10merge_implIS3_NS0_12zip_iteratorINS5_IJN6thrust23THRUST_200600_302600_NS6detail15normal_iteratorINSC_10device_ptrIKiEEEESI_EEEEESK_NSA_INS5_IJNSC_16discard_iteratorINSC_11use_defaultEEESN_EEEEEPS7_SQ_SQ_NSC_11hip_rocprim7__merge17predicate_wrapperIiiNSC_4lessIiEEEEEE10hipError_tPvRmT0_T1_T2_T3_T4_T5_mmT6_P12ihipStream_tbEUlT_E_NS1_11comp_targetILNS1_3genE2ELNS1_11target_archE906ELNS1_3gpuE6ELNS1_3repE0EEENS1_30default_config_static_selectorELNS0_4arch9wavefront6targetE0EEEvS11_.uses_vcc, 0
	.set _ZN7rocprim17ROCPRIM_400000_NS6detail17trampoline_kernelINS0_14default_configENS1_21merge_config_selectorINS0_5tupleIJiiEEENS0_10empty_typeEEEZNS1_10merge_implIS3_NS0_12zip_iteratorINS5_IJN6thrust23THRUST_200600_302600_NS6detail15normal_iteratorINSC_10device_ptrIKiEEEESI_EEEEESK_NSA_INS5_IJNSC_16discard_iteratorINSC_11use_defaultEEESN_EEEEEPS7_SQ_SQ_NSC_11hip_rocprim7__merge17predicate_wrapperIiiNSC_4lessIiEEEEEE10hipError_tPvRmT0_T1_T2_T3_T4_T5_mmT6_P12ihipStream_tbEUlT_E_NS1_11comp_targetILNS1_3genE2ELNS1_11target_archE906ELNS1_3gpuE6ELNS1_3repE0EEENS1_30default_config_static_selectorELNS0_4arch9wavefront6targetE0EEEvS11_.uses_flat_scratch, 0
	.set _ZN7rocprim17ROCPRIM_400000_NS6detail17trampoline_kernelINS0_14default_configENS1_21merge_config_selectorINS0_5tupleIJiiEEENS0_10empty_typeEEEZNS1_10merge_implIS3_NS0_12zip_iteratorINS5_IJN6thrust23THRUST_200600_302600_NS6detail15normal_iteratorINSC_10device_ptrIKiEEEESI_EEEEESK_NSA_INS5_IJNSC_16discard_iteratorINSC_11use_defaultEEESN_EEEEEPS7_SQ_SQ_NSC_11hip_rocprim7__merge17predicate_wrapperIiiNSC_4lessIiEEEEEE10hipError_tPvRmT0_T1_T2_T3_T4_T5_mmT6_P12ihipStream_tbEUlT_E_NS1_11comp_targetILNS1_3genE2ELNS1_11target_archE906ELNS1_3gpuE6ELNS1_3repE0EEENS1_30default_config_static_selectorELNS0_4arch9wavefront6targetE0EEEvS11_.has_dyn_sized_stack, 0
	.set _ZN7rocprim17ROCPRIM_400000_NS6detail17trampoline_kernelINS0_14default_configENS1_21merge_config_selectorINS0_5tupleIJiiEEENS0_10empty_typeEEEZNS1_10merge_implIS3_NS0_12zip_iteratorINS5_IJN6thrust23THRUST_200600_302600_NS6detail15normal_iteratorINSC_10device_ptrIKiEEEESI_EEEEESK_NSA_INS5_IJNSC_16discard_iteratorINSC_11use_defaultEEESN_EEEEEPS7_SQ_SQ_NSC_11hip_rocprim7__merge17predicate_wrapperIiiNSC_4lessIiEEEEEE10hipError_tPvRmT0_T1_T2_T3_T4_T5_mmT6_P12ihipStream_tbEUlT_E_NS1_11comp_targetILNS1_3genE2ELNS1_11target_archE906ELNS1_3gpuE6ELNS1_3repE0EEENS1_30default_config_static_selectorELNS0_4arch9wavefront6targetE0EEEvS11_.has_recursion, 0
	.set _ZN7rocprim17ROCPRIM_400000_NS6detail17trampoline_kernelINS0_14default_configENS1_21merge_config_selectorINS0_5tupleIJiiEEENS0_10empty_typeEEEZNS1_10merge_implIS3_NS0_12zip_iteratorINS5_IJN6thrust23THRUST_200600_302600_NS6detail15normal_iteratorINSC_10device_ptrIKiEEEESI_EEEEESK_NSA_INS5_IJNSC_16discard_iteratorINSC_11use_defaultEEESN_EEEEEPS7_SQ_SQ_NSC_11hip_rocprim7__merge17predicate_wrapperIiiNSC_4lessIiEEEEEE10hipError_tPvRmT0_T1_T2_T3_T4_T5_mmT6_P12ihipStream_tbEUlT_E_NS1_11comp_targetILNS1_3genE2ELNS1_11target_archE906ELNS1_3gpuE6ELNS1_3repE0EEENS1_30default_config_static_selectorELNS0_4arch9wavefront6targetE0EEEvS11_.has_indirect_call, 0
	.section	.AMDGPU.csdata,"",@progbits
; Kernel info:
; codeLenInByte = 0
; TotalNumSgprs: 0
; NumVgprs: 0
; ScratchSize: 0
; MemoryBound: 0
; FloatMode: 240
; IeeeMode: 1
; LDSByteSize: 0 bytes/workgroup (compile time only)
; SGPRBlocks: 0
; VGPRBlocks: 0
; NumSGPRsForWavesPerEU: 1
; NumVGPRsForWavesPerEU: 1
; NamedBarCnt: 0
; Occupancy: 16
; WaveLimiterHint : 0
; COMPUTE_PGM_RSRC2:SCRATCH_EN: 0
; COMPUTE_PGM_RSRC2:USER_SGPR: 2
; COMPUTE_PGM_RSRC2:TRAP_HANDLER: 0
; COMPUTE_PGM_RSRC2:TGID_X_EN: 1
; COMPUTE_PGM_RSRC2:TGID_Y_EN: 0
; COMPUTE_PGM_RSRC2:TGID_Z_EN: 0
; COMPUTE_PGM_RSRC2:TIDIG_COMP_CNT: 0
	.section	.text._ZN7rocprim17ROCPRIM_400000_NS6detail17trampoline_kernelINS0_14default_configENS1_21merge_config_selectorINS0_5tupleIJiiEEENS0_10empty_typeEEEZNS1_10merge_implIS3_NS0_12zip_iteratorINS5_IJN6thrust23THRUST_200600_302600_NS6detail15normal_iteratorINSC_10device_ptrIKiEEEESI_EEEEESK_NSA_INS5_IJNSC_16discard_iteratorINSC_11use_defaultEEESN_EEEEEPS7_SQ_SQ_NSC_11hip_rocprim7__merge17predicate_wrapperIiiNSC_4lessIiEEEEEE10hipError_tPvRmT0_T1_T2_T3_T4_T5_mmT6_P12ihipStream_tbEUlT_E_NS1_11comp_targetILNS1_3genE10ELNS1_11target_archE1201ELNS1_3gpuE5ELNS1_3repE0EEENS1_30default_config_static_selectorELNS0_4arch9wavefront6targetE0EEEvS11_,"axG",@progbits,_ZN7rocprim17ROCPRIM_400000_NS6detail17trampoline_kernelINS0_14default_configENS1_21merge_config_selectorINS0_5tupleIJiiEEENS0_10empty_typeEEEZNS1_10merge_implIS3_NS0_12zip_iteratorINS5_IJN6thrust23THRUST_200600_302600_NS6detail15normal_iteratorINSC_10device_ptrIKiEEEESI_EEEEESK_NSA_INS5_IJNSC_16discard_iteratorINSC_11use_defaultEEESN_EEEEEPS7_SQ_SQ_NSC_11hip_rocprim7__merge17predicate_wrapperIiiNSC_4lessIiEEEEEE10hipError_tPvRmT0_T1_T2_T3_T4_T5_mmT6_P12ihipStream_tbEUlT_E_NS1_11comp_targetILNS1_3genE10ELNS1_11target_archE1201ELNS1_3gpuE5ELNS1_3repE0EEENS1_30default_config_static_selectorELNS0_4arch9wavefront6targetE0EEEvS11_,comdat
	.protected	_ZN7rocprim17ROCPRIM_400000_NS6detail17trampoline_kernelINS0_14default_configENS1_21merge_config_selectorINS0_5tupleIJiiEEENS0_10empty_typeEEEZNS1_10merge_implIS3_NS0_12zip_iteratorINS5_IJN6thrust23THRUST_200600_302600_NS6detail15normal_iteratorINSC_10device_ptrIKiEEEESI_EEEEESK_NSA_INS5_IJNSC_16discard_iteratorINSC_11use_defaultEEESN_EEEEEPS7_SQ_SQ_NSC_11hip_rocprim7__merge17predicate_wrapperIiiNSC_4lessIiEEEEEE10hipError_tPvRmT0_T1_T2_T3_T4_T5_mmT6_P12ihipStream_tbEUlT_E_NS1_11comp_targetILNS1_3genE10ELNS1_11target_archE1201ELNS1_3gpuE5ELNS1_3repE0EEENS1_30default_config_static_selectorELNS0_4arch9wavefront6targetE0EEEvS11_ ; -- Begin function _ZN7rocprim17ROCPRIM_400000_NS6detail17trampoline_kernelINS0_14default_configENS1_21merge_config_selectorINS0_5tupleIJiiEEENS0_10empty_typeEEEZNS1_10merge_implIS3_NS0_12zip_iteratorINS5_IJN6thrust23THRUST_200600_302600_NS6detail15normal_iteratorINSC_10device_ptrIKiEEEESI_EEEEESK_NSA_INS5_IJNSC_16discard_iteratorINSC_11use_defaultEEESN_EEEEEPS7_SQ_SQ_NSC_11hip_rocprim7__merge17predicate_wrapperIiiNSC_4lessIiEEEEEE10hipError_tPvRmT0_T1_T2_T3_T4_T5_mmT6_P12ihipStream_tbEUlT_E_NS1_11comp_targetILNS1_3genE10ELNS1_11target_archE1201ELNS1_3gpuE5ELNS1_3repE0EEENS1_30default_config_static_selectorELNS0_4arch9wavefront6targetE0EEEvS11_
	.globl	_ZN7rocprim17ROCPRIM_400000_NS6detail17trampoline_kernelINS0_14default_configENS1_21merge_config_selectorINS0_5tupleIJiiEEENS0_10empty_typeEEEZNS1_10merge_implIS3_NS0_12zip_iteratorINS5_IJN6thrust23THRUST_200600_302600_NS6detail15normal_iteratorINSC_10device_ptrIKiEEEESI_EEEEESK_NSA_INS5_IJNSC_16discard_iteratorINSC_11use_defaultEEESN_EEEEEPS7_SQ_SQ_NSC_11hip_rocprim7__merge17predicate_wrapperIiiNSC_4lessIiEEEEEE10hipError_tPvRmT0_T1_T2_T3_T4_T5_mmT6_P12ihipStream_tbEUlT_E_NS1_11comp_targetILNS1_3genE10ELNS1_11target_archE1201ELNS1_3gpuE5ELNS1_3repE0EEENS1_30default_config_static_selectorELNS0_4arch9wavefront6targetE0EEEvS11_
	.p2align	8
	.type	_ZN7rocprim17ROCPRIM_400000_NS6detail17trampoline_kernelINS0_14default_configENS1_21merge_config_selectorINS0_5tupleIJiiEEENS0_10empty_typeEEEZNS1_10merge_implIS3_NS0_12zip_iteratorINS5_IJN6thrust23THRUST_200600_302600_NS6detail15normal_iteratorINSC_10device_ptrIKiEEEESI_EEEEESK_NSA_INS5_IJNSC_16discard_iteratorINSC_11use_defaultEEESN_EEEEEPS7_SQ_SQ_NSC_11hip_rocprim7__merge17predicate_wrapperIiiNSC_4lessIiEEEEEE10hipError_tPvRmT0_T1_T2_T3_T4_T5_mmT6_P12ihipStream_tbEUlT_E_NS1_11comp_targetILNS1_3genE10ELNS1_11target_archE1201ELNS1_3gpuE5ELNS1_3repE0EEENS1_30default_config_static_selectorELNS0_4arch9wavefront6targetE0EEEvS11_,@function
_ZN7rocprim17ROCPRIM_400000_NS6detail17trampoline_kernelINS0_14default_configENS1_21merge_config_selectorINS0_5tupleIJiiEEENS0_10empty_typeEEEZNS1_10merge_implIS3_NS0_12zip_iteratorINS5_IJN6thrust23THRUST_200600_302600_NS6detail15normal_iteratorINSC_10device_ptrIKiEEEESI_EEEEESK_NSA_INS5_IJNSC_16discard_iteratorINSC_11use_defaultEEESN_EEEEEPS7_SQ_SQ_NSC_11hip_rocprim7__merge17predicate_wrapperIiiNSC_4lessIiEEEEEE10hipError_tPvRmT0_T1_T2_T3_T4_T5_mmT6_P12ihipStream_tbEUlT_E_NS1_11comp_targetILNS1_3genE10ELNS1_11target_archE1201ELNS1_3gpuE5ELNS1_3repE0EEENS1_30default_config_static_selectorELNS0_4arch9wavefront6targetE0EEEvS11_: ; @_ZN7rocprim17ROCPRIM_400000_NS6detail17trampoline_kernelINS0_14default_configENS1_21merge_config_selectorINS0_5tupleIJiiEEENS0_10empty_typeEEEZNS1_10merge_implIS3_NS0_12zip_iteratorINS5_IJN6thrust23THRUST_200600_302600_NS6detail15normal_iteratorINSC_10device_ptrIKiEEEESI_EEEEESK_NSA_INS5_IJNSC_16discard_iteratorINSC_11use_defaultEEESN_EEEEEPS7_SQ_SQ_NSC_11hip_rocprim7__merge17predicate_wrapperIiiNSC_4lessIiEEEEEE10hipError_tPvRmT0_T1_T2_T3_T4_T5_mmT6_P12ihipStream_tbEUlT_E_NS1_11comp_targetILNS1_3genE10ELNS1_11target_archE1201ELNS1_3gpuE5ELNS1_3repE0EEENS1_30default_config_static_selectorELNS0_4arch9wavefront6targetE0EEEvS11_
; %bb.0:
	.section	.rodata,"a",@progbits
	.p2align	6, 0x0
	.amdhsa_kernel _ZN7rocprim17ROCPRIM_400000_NS6detail17trampoline_kernelINS0_14default_configENS1_21merge_config_selectorINS0_5tupleIJiiEEENS0_10empty_typeEEEZNS1_10merge_implIS3_NS0_12zip_iteratorINS5_IJN6thrust23THRUST_200600_302600_NS6detail15normal_iteratorINSC_10device_ptrIKiEEEESI_EEEEESK_NSA_INS5_IJNSC_16discard_iteratorINSC_11use_defaultEEESN_EEEEEPS7_SQ_SQ_NSC_11hip_rocprim7__merge17predicate_wrapperIiiNSC_4lessIiEEEEEE10hipError_tPvRmT0_T1_T2_T3_T4_T5_mmT6_P12ihipStream_tbEUlT_E_NS1_11comp_targetILNS1_3genE10ELNS1_11target_archE1201ELNS1_3gpuE5ELNS1_3repE0EEENS1_30default_config_static_selectorELNS0_4arch9wavefront6targetE0EEEvS11_
		.amdhsa_group_segment_fixed_size 0
		.amdhsa_private_segment_fixed_size 0
		.amdhsa_kernarg_size 64
		.amdhsa_user_sgpr_count 2
		.amdhsa_user_sgpr_dispatch_ptr 0
		.amdhsa_user_sgpr_queue_ptr 0
		.amdhsa_user_sgpr_kernarg_segment_ptr 1
		.amdhsa_user_sgpr_dispatch_id 0
		.amdhsa_user_sgpr_kernarg_preload_length 0
		.amdhsa_user_sgpr_kernarg_preload_offset 0
		.amdhsa_user_sgpr_private_segment_size 0
		.amdhsa_wavefront_size32 1
		.amdhsa_uses_dynamic_stack 0
		.amdhsa_enable_private_segment 0
		.amdhsa_system_sgpr_workgroup_id_x 1
		.amdhsa_system_sgpr_workgroup_id_y 0
		.amdhsa_system_sgpr_workgroup_id_z 0
		.amdhsa_system_sgpr_workgroup_info 0
		.amdhsa_system_vgpr_workitem_id 0
		.amdhsa_next_free_vgpr 1
		.amdhsa_next_free_sgpr 1
		.amdhsa_named_barrier_count 0
		.amdhsa_reserve_vcc 0
		.amdhsa_float_round_mode_32 0
		.amdhsa_float_round_mode_16_64 0
		.amdhsa_float_denorm_mode_32 3
		.amdhsa_float_denorm_mode_16_64 3
		.amdhsa_fp16_overflow 0
		.amdhsa_memory_ordered 1
		.amdhsa_forward_progress 1
		.amdhsa_inst_pref_size 0
		.amdhsa_round_robin_scheduling 0
		.amdhsa_exception_fp_ieee_invalid_op 0
		.amdhsa_exception_fp_denorm_src 0
		.amdhsa_exception_fp_ieee_div_zero 0
		.amdhsa_exception_fp_ieee_overflow 0
		.amdhsa_exception_fp_ieee_underflow 0
		.amdhsa_exception_fp_ieee_inexact 0
		.amdhsa_exception_int_div_zero 0
	.end_amdhsa_kernel
	.section	.text._ZN7rocprim17ROCPRIM_400000_NS6detail17trampoline_kernelINS0_14default_configENS1_21merge_config_selectorINS0_5tupleIJiiEEENS0_10empty_typeEEEZNS1_10merge_implIS3_NS0_12zip_iteratorINS5_IJN6thrust23THRUST_200600_302600_NS6detail15normal_iteratorINSC_10device_ptrIKiEEEESI_EEEEESK_NSA_INS5_IJNSC_16discard_iteratorINSC_11use_defaultEEESN_EEEEEPS7_SQ_SQ_NSC_11hip_rocprim7__merge17predicate_wrapperIiiNSC_4lessIiEEEEEE10hipError_tPvRmT0_T1_T2_T3_T4_T5_mmT6_P12ihipStream_tbEUlT_E_NS1_11comp_targetILNS1_3genE10ELNS1_11target_archE1201ELNS1_3gpuE5ELNS1_3repE0EEENS1_30default_config_static_selectorELNS0_4arch9wavefront6targetE0EEEvS11_,"axG",@progbits,_ZN7rocprim17ROCPRIM_400000_NS6detail17trampoline_kernelINS0_14default_configENS1_21merge_config_selectorINS0_5tupleIJiiEEENS0_10empty_typeEEEZNS1_10merge_implIS3_NS0_12zip_iteratorINS5_IJN6thrust23THRUST_200600_302600_NS6detail15normal_iteratorINSC_10device_ptrIKiEEEESI_EEEEESK_NSA_INS5_IJNSC_16discard_iteratorINSC_11use_defaultEEESN_EEEEEPS7_SQ_SQ_NSC_11hip_rocprim7__merge17predicate_wrapperIiiNSC_4lessIiEEEEEE10hipError_tPvRmT0_T1_T2_T3_T4_T5_mmT6_P12ihipStream_tbEUlT_E_NS1_11comp_targetILNS1_3genE10ELNS1_11target_archE1201ELNS1_3gpuE5ELNS1_3repE0EEENS1_30default_config_static_selectorELNS0_4arch9wavefront6targetE0EEEvS11_,comdat
.Lfunc_end592:
	.size	_ZN7rocprim17ROCPRIM_400000_NS6detail17trampoline_kernelINS0_14default_configENS1_21merge_config_selectorINS0_5tupleIJiiEEENS0_10empty_typeEEEZNS1_10merge_implIS3_NS0_12zip_iteratorINS5_IJN6thrust23THRUST_200600_302600_NS6detail15normal_iteratorINSC_10device_ptrIKiEEEESI_EEEEESK_NSA_INS5_IJNSC_16discard_iteratorINSC_11use_defaultEEESN_EEEEEPS7_SQ_SQ_NSC_11hip_rocprim7__merge17predicate_wrapperIiiNSC_4lessIiEEEEEE10hipError_tPvRmT0_T1_T2_T3_T4_T5_mmT6_P12ihipStream_tbEUlT_E_NS1_11comp_targetILNS1_3genE10ELNS1_11target_archE1201ELNS1_3gpuE5ELNS1_3repE0EEENS1_30default_config_static_selectorELNS0_4arch9wavefront6targetE0EEEvS11_, .Lfunc_end592-_ZN7rocprim17ROCPRIM_400000_NS6detail17trampoline_kernelINS0_14default_configENS1_21merge_config_selectorINS0_5tupleIJiiEEENS0_10empty_typeEEEZNS1_10merge_implIS3_NS0_12zip_iteratorINS5_IJN6thrust23THRUST_200600_302600_NS6detail15normal_iteratorINSC_10device_ptrIKiEEEESI_EEEEESK_NSA_INS5_IJNSC_16discard_iteratorINSC_11use_defaultEEESN_EEEEEPS7_SQ_SQ_NSC_11hip_rocprim7__merge17predicate_wrapperIiiNSC_4lessIiEEEEEE10hipError_tPvRmT0_T1_T2_T3_T4_T5_mmT6_P12ihipStream_tbEUlT_E_NS1_11comp_targetILNS1_3genE10ELNS1_11target_archE1201ELNS1_3gpuE5ELNS1_3repE0EEENS1_30default_config_static_selectorELNS0_4arch9wavefront6targetE0EEEvS11_
                                        ; -- End function
	.set _ZN7rocprim17ROCPRIM_400000_NS6detail17trampoline_kernelINS0_14default_configENS1_21merge_config_selectorINS0_5tupleIJiiEEENS0_10empty_typeEEEZNS1_10merge_implIS3_NS0_12zip_iteratorINS5_IJN6thrust23THRUST_200600_302600_NS6detail15normal_iteratorINSC_10device_ptrIKiEEEESI_EEEEESK_NSA_INS5_IJNSC_16discard_iteratorINSC_11use_defaultEEESN_EEEEEPS7_SQ_SQ_NSC_11hip_rocprim7__merge17predicate_wrapperIiiNSC_4lessIiEEEEEE10hipError_tPvRmT0_T1_T2_T3_T4_T5_mmT6_P12ihipStream_tbEUlT_E_NS1_11comp_targetILNS1_3genE10ELNS1_11target_archE1201ELNS1_3gpuE5ELNS1_3repE0EEENS1_30default_config_static_selectorELNS0_4arch9wavefront6targetE0EEEvS11_.num_vgpr, 0
	.set _ZN7rocprim17ROCPRIM_400000_NS6detail17trampoline_kernelINS0_14default_configENS1_21merge_config_selectorINS0_5tupleIJiiEEENS0_10empty_typeEEEZNS1_10merge_implIS3_NS0_12zip_iteratorINS5_IJN6thrust23THRUST_200600_302600_NS6detail15normal_iteratorINSC_10device_ptrIKiEEEESI_EEEEESK_NSA_INS5_IJNSC_16discard_iteratorINSC_11use_defaultEEESN_EEEEEPS7_SQ_SQ_NSC_11hip_rocprim7__merge17predicate_wrapperIiiNSC_4lessIiEEEEEE10hipError_tPvRmT0_T1_T2_T3_T4_T5_mmT6_P12ihipStream_tbEUlT_E_NS1_11comp_targetILNS1_3genE10ELNS1_11target_archE1201ELNS1_3gpuE5ELNS1_3repE0EEENS1_30default_config_static_selectorELNS0_4arch9wavefront6targetE0EEEvS11_.num_agpr, 0
	.set _ZN7rocprim17ROCPRIM_400000_NS6detail17trampoline_kernelINS0_14default_configENS1_21merge_config_selectorINS0_5tupleIJiiEEENS0_10empty_typeEEEZNS1_10merge_implIS3_NS0_12zip_iteratorINS5_IJN6thrust23THRUST_200600_302600_NS6detail15normal_iteratorINSC_10device_ptrIKiEEEESI_EEEEESK_NSA_INS5_IJNSC_16discard_iteratorINSC_11use_defaultEEESN_EEEEEPS7_SQ_SQ_NSC_11hip_rocprim7__merge17predicate_wrapperIiiNSC_4lessIiEEEEEE10hipError_tPvRmT0_T1_T2_T3_T4_T5_mmT6_P12ihipStream_tbEUlT_E_NS1_11comp_targetILNS1_3genE10ELNS1_11target_archE1201ELNS1_3gpuE5ELNS1_3repE0EEENS1_30default_config_static_selectorELNS0_4arch9wavefront6targetE0EEEvS11_.numbered_sgpr, 0
	.set _ZN7rocprim17ROCPRIM_400000_NS6detail17trampoline_kernelINS0_14default_configENS1_21merge_config_selectorINS0_5tupleIJiiEEENS0_10empty_typeEEEZNS1_10merge_implIS3_NS0_12zip_iteratorINS5_IJN6thrust23THRUST_200600_302600_NS6detail15normal_iteratorINSC_10device_ptrIKiEEEESI_EEEEESK_NSA_INS5_IJNSC_16discard_iteratorINSC_11use_defaultEEESN_EEEEEPS7_SQ_SQ_NSC_11hip_rocprim7__merge17predicate_wrapperIiiNSC_4lessIiEEEEEE10hipError_tPvRmT0_T1_T2_T3_T4_T5_mmT6_P12ihipStream_tbEUlT_E_NS1_11comp_targetILNS1_3genE10ELNS1_11target_archE1201ELNS1_3gpuE5ELNS1_3repE0EEENS1_30default_config_static_selectorELNS0_4arch9wavefront6targetE0EEEvS11_.num_named_barrier, 0
	.set _ZN7rocprim17ROCPRIM_400000_NS6detail17trampoline_kernelINS0_14default_configENS1_21merge_config_selectorINS0_5tupleIJiiEEENS0_10empty_typeEEEZNS1_10merge_implIS3_NS0_12zip_iteratorINS5_IJN6thrust23THRUST_200600_302600_NS6detail15normal_iteratorINSC_10device_ptrIKiEEEESI_EEEEESK_NSA_INS5_IJNSC_16discard_iteratorINSC_11use_defaultEEESN_EEEEEPS7_SQ_SQ_NSC_11hip_rocprim7__merge17predicate_wrapperIiiNSC_4lessIiEEEEEE10hipError_tPvRmT0_T1_T2_T3_T4_T5_mmT6_P12ihipStream_tbEUlT_E_NS1_11comp_targetILNS1_3genE10ELNS1_11target_archE1201ELNS1_3gpuE5ELNS1_3repE0EEENS1_30default_config_static_selectorELNS0_4arch9wavefront6targetE0EEEvS11_.private_seg_size, 0
	.set _ZN7rocprim17ROCPRIM_400000_NS6detail17trampoline_kernelINS0_14default_configENS1_21merge_config_selectorINS0_5tupleIJiiEEENS0_10empty_typeEEEZNS1_10merge_implIS3_NS0_12zip_iteratorINS5_IJN6thrust23THRUST_200600_302600_NS6detail15normal_iteratorINSC_10device_ptrIKiEEEESI_EEEEESK_NSA_INS5_IJNSC_16discard_iteratorINSC_11use_defaultEEESN_EEEEEPS7_SQ_SQ_NSC_11hip_rocprim7__merge17predicate_wrapperIiiNSC_4lessIiEEEEEE10hipError_tPvRmT0_T1_T2_T3_T4_T5_mmT6_P12ihipStream_tbEUlT_E_NS1_11comp_targetILNS1_3genE10ELNS1_11target_archE1201ELNS1_3gpuE5ELNS1_3repE0EEENS1_30default_config_static_selectorELNS0_4arch9wavefront6targetE0EEEvS11_.uses_vcc, 0
	.set _ZN7rocprim17ROCPRIM_400000_NS6detail17trampoline_kernelINS0_14default_configENS1_21merge_config_selectorINS0_5tupleIJiiEEENS0_10empty_typeEEEZNS1_10merge_implIS3_NS0_12zip_iteratorINS5_IJN6thrust23THRUST_200600_302600_NS6detail15normal_iteratorINSC_10device_ptrIKiEEEESI_EEEEESK_NSA_INS5_IJNSC_16discard_iteratorINSC_11use_defaultEEESN_EEEEEPS7_SQ_SQ_NSC_11hip_rocprim7__merge17predicate_wrapperIiiNSC_4lessIiEEEEEE10hipError_tPvRmT0_T1_T2_T3_T4_T5_mmT6_P12ihipStream_tbEUlT_E_NS1_11comp_targetILNS1_3genE10ELNS1_11target_archE1201ELNS1_3gpuE5ELNS1_3repE0EEENS1_30default_config_static_selectorELNS0_4arch9wavefront6targetE0EEEvS11_.uses_flat_scratch, 0
	.set _ZN7rocprim17ROCPRIM_400000_NS6detail17trampoline_kernelINS0_14default_configENS1_21merge_config_selectorINS0_5tupleIJiiEEENS0_10empty_typeEEEZNS1_10merge_implIS3_NS0_12zip_iteratorINS5_IJN6thrust23THRUST_200600_302600_NS6detail15normal_iteratorINSC_10device_ptrIKiEEEESI_EEEEESK_NSA_INS5_IJNSC_16discard_iteratorINSC_11use_defaultEEESN_EEEEEPS7_SQ_SQ_NSC_11hip_rocprim7__merge17predicate_wrapperIiiNSC_4lessIiEEEEEE10hipError_tPvRmT0_T1_T2_T3_T4_T5_mmT6_P12ihipStream_tbEUlT_E_NS1_11comp_targetILNS1_3genE10ELNS1_11target_archE1201ELNS1_3gpuE5ELNS1_3repE0EEENS1_30default_config_static_selectorELNS0_4arch9wavefront6targetE0EEEvS11_.has_dyn_sized_stack, 0
	.set _ZN7rocprim17ROCPRIM_400000_NS6detail17trampoline_kernelINS0_14default_configENS1_21merge_config_selectorINS0_5tupleIJiiEEENS0_10empty_typeEEEZNS1_10merge_implIS3_NS0_12zip_iteratorINS5_IJN6thrust23THRUST_200600_302600_NS6detail15normal_iteratorINSC_10device_ptrIKiEEEESI_EEEEESK_NSA_INS5_IJNSC_16discard_iteratorINSC_11use_defaultEEESN_EEEEEPS7_SQ_SQ_NSC_11hip_rocprim7__merge17predicate_wrapperIiiNSC_4lessIiEEEEEE10hipError_tPvRmT0_T1_T2_T3_T4_T5_mmT6_P12ihipStream_tbEUlT_E_NS1_11comp_targetILNS1_3genE10ELNS1_11target_archE1201ELNS1_3gpuE5ELNS1_3repE0EEENS1_30default_config_static_selectorELNS0_4arch9wavefront6targetE0EEEvS11_.has_recursion, 0
	.set _ZN7rocprim17ROCPRIM_400000_NS6detail17trampoline_kernelINS0_14default_configENS1_21merge_config_selectorINS0_5tupleIJiiEEENS0_10empty_typeEEEZNS1_10merge_implIS3_NS0_12zip_iteratorINS5_IJN6thrust23THRUST_200600_302600_NS6detail15normal_iteratorINSC_10device_ptrIKiEEEESI_EEEEESK_NSA_INS5_IJNSC_16discard_iteratorINSC_11use_defaultEEESN_EEEEEPS7_SQ_SQ_NSC_11hip_rocprim7__merge17predicate_wrapperIiiNSC_4lessIiEEEEEE10hipError_tPvRmT0_T1_T2_T3_T4_T5_mmT6_P12ihipStream_tbEUlT_E_NS1_11comp_targetILNS1_3genE10ELNS1_11target_archE1201ELNS1_3gpuE5ELNS1_3repE0EEENS1_30default_config_static_selectorELNS0_4arch9wavefront6targetE0EEEvS11_.has_indirect_call, 0
	.section	.AMDGPU.csdata,"",@progbits
; Kernel info:
; codeLenInByte = 0
; TotalNumSgprs: 0
; NumVgprs: 0
; ScratchSize: 0
; MemoryBound: 0
; FloatMode: 240
; IeeeMode: 1
; LDSByteSize: 0 bytes/workgroup (compile time only)
; SGPRBlocks: 0
; VGPRBlocks: 0
; NumSGPRsForWavesPerEU: 1
; NumVGPRsForWavesPerEU: 1
; NamedBarCnt: 0
; Occupancy: 16
; WaveLimiterHint : 0
; COMPUTE_PGM_RSRC2:SCRATCH_EN: 0
; COMPUTE_PGM_RSRC2:USER_SGPR: 2
; COMPUTE_PGM_RSRC2:TRAP_HANDLER: 0
; COMPUTE_PGM_RSRC2:TGID_X_EN: 1
; COMPUTE_PGM_RSRC2:TGID_Y_EN: 0
; COMPUTE_PGM_RSRC2:TGID_Z_EN: 0
; COMPUTE_PGM_RSRC2:TIDIG_COMP_CNT: 0
	.section	.text._ZN7rocprim17ROCPRIM_400000_NS6detail17trampoline_kernelINS0_14default_configENS1_21merge_config_selectorINS0_5tupleIJiiEEENS0_10empty_typeEEEZNS1_10merge_implIS3_NS0_12zip_iteratorINS5_IJN6thrust23THRUST_200600_302600_NS6detail15normal_iteratorINSC_10device_ptrIKiEEEESI_EEEEESK_NSA_INS5_IJNSC_16discard_iteratorINSC_11use_defaultEEESN_EEEEEPS7_SQ_SQ_NSC_11hip_rocprim7__merge17predicate_wrapperIiiNSC_4lessIiEEEEEE10hipError_tPvRmT0_T1_T2_T3_T4_T5_mmT6_P12ihipStream_tbEUlT_E_NS1_11comp_targetILNS1_3genE10ELNS1_11target_archE1200ELNS1_3gpuE4ELNS1_3repE0EEENS1_30default_config_static_selectorELNS0_4arch9wavefront6targetE0EEEvS11_,"axG",@progbits,_ZN7rocprim17ROCPRIM_400000_NS6detail17trampoline_kernelINS0_14default_configENS1_21merge_config_selectorINS0_5tupleIJiiEEENS0_10empty_typeEEEZNS1_10merge_implIS3_NS0_12zip_iteratorINS5_IJN6thrust23THRUST_200600_302600_NS6detail15normal_iteratorINSC_10device_ptrIKiEEEESI_EEEEESK_NSA_INS5_IJNSC_16discard_iteratorINSC_11use_defaultEEESN_EEEEEPS7_SQ_SQ_NSC_11hip_rocprim7__merge17predicate_wrapperIiiNSC_4lessIiEEEEEE10hipError_tPvRmT0_T1_T2_T3_T4_T5_mmT6_P12ihipStream_tbEUlT_E_NS1_11comp_targetILNS1_3genE10ELNS1_11target_archE1200ELNS1_3gpuE4ELNS1_3repE0EEENS1_30default_config_static_selectorELNS0_4arch9wavefront6targetE0EEEvS11_,comdat
	.protected	_ZN7rocprim17ROCPRIM_400000_NS6detail17trampoline_kernelINS0_14default_configENS1_21merge_config_selectorINS0_5tupleIJiiEEENS0_10empty_typeEEEZNS1_10merge_implIS3_NS0_12zip_iteratorINS5_IJN6thrust23THRUST_200600_302600_NS6detail15normal_iteratorINSC_10device_ptrIKiEEEESI_EEEEESK_NSA_INS5_IJNSC_16discard_iteratorINSC_11use_defaultEEESN_EEEEEPS7_SQ_SQ_NSC_11hip_rocprim7__merge17predicate_wrapperIiiNSC_4lessIiEEEEEE10hipError_tPvRmT0_T1_T2_T3_T4_T5_mmT6_P12ihipStream_tbEUlT_E_NS1_11comp_targetILNS1_3genE10ELNS1_11target_archE1200ELNS1_3gpuE4ELNS1_3repE0EEENS1_30default_config_static_selectorELNS0_4arch9wavefront6targetE0EEEvS11_ ; -- Begin function _ZN7rocprim17ROCPRIM_400000_NS6detail17trampoline_kernelINS0_14default_configENS1_21merge_config_selectorINS0_5tupleIJiiEEENS0_10empty_typeEEEZNS1_10merge_implIS3_NS0_12zip_iteratorINS5_IJN6thrust23THRUST_200600_302600_NS6detail15normal_iteratorINSC_10device_ptrIKiEEEESI_EEEEESK_NSA_INS5_IJNSC_16discard_iteratorINSC_11use_defaultEEESN_EEEEEPS7_SQ_SQ_NSC_11hip_rocprim7__merge17predicate_wrapperIiiNSC_4lessIiEEEEEE10hipError_tPvRmT0_T1_T2_T3_T4_T5_mmT6_P12ihipStream_tbEUlT_E_NS1_11comp_targetILNS1_3genE10ELNS1_11target_archE1200ELNS1_3gpuE4ELNS1_3repE0EEENS1_30default_config_static_selectorELNS0_4arch9wavefront6targetE0EEEvS11_
	.globl	_ZN7rocprim17ROCPRIM_400000_NS6detail17trampoline_kernelINS0_14default_configENS1_21merge_config_selectorINS0_5tupleIJiiEEENS0_10empty_typeEEEZNS1_10merge_implIS3_NS0_12zip_iteratorINS5_IJN6thrust23THRUST_200600_302600_NS6detail15normal_iteratorINSC_10device_ptrIKiEEEESI_EEEEESK_NSA_INS5_IJNSC_16discard_iteratorINSC_11use_defaultEEESN_EEEEEPS7_SQ_SQ_NSC_11hip_rocprim7__merge17predicate_wrapperIiiNSC_4lessIiEEEEEE10hipError_tPvRmT0_T1_T2_T3_T4_T5_mmT6_P12ihipStream_tbEUlT_E_NS1_11comp_targetILNS1_3genE10ELNS1_11target_archE1200ELNS1_3gpuE4ELNS1_3repE0EEENS1_30default_config_static_selectorELNS0_4arch9wavefront6targetE0EEEvS11_
	.p2align	8
	.type	_ZN7rocprim17ROCPRIM_400000_NS6detail17trampoline_kernelINS0_14default_configENS1_21merge_config_selectorINS0_5tupleIJiiEEENS0_10empty_typeEEEZNS1_10merge_implIS3_NS0_12zip_iteratorINS5_IJN6thrust23THRUST_200600_302600_NS6detail15normal_iteratorINSC_10device_ptrIKiEEEESI_EEEEESK_NSA_INS5_IJNSC_16discard_iteratorINSC_11use_defaultEEESN_EEEEEPS7_SQ_SQ_NSC_11hip_rocprim7__merge17predicate_wrapperIiiNSC_4lessIiEEEEEE10hipError_tPvRmT0_T1_T2_T3_T4_T5_mmT6_P12ihipStream_tbEUlT_E_NS1_11comp_targetILNS1_3genE10ELNS1_11target_archE1200ELNS1_3gpuE4ELNS1_3repE0EEENS1_30default_config_static_selectorELNS0_4arch9wavefront6targetE0EEEvS11_,@function
_ZN7rocprim17ROCPRIM_400000_NS6detail17trampoline_kernelINS0_14default_configENS1_21merge_config_selectorINS0_5tupleIJiiEEENS0_10empty_typeEEEZNS1_10merge_implIS3_NS0_12zip_iteratorINS5_IJN6thrust23THRUST_200600_302600_NS6detail15normal_iteratorINSC_10device_ptrIKiEEEESI_EEEEESK_NSA_INS5_IJNSC_16discard_iteratorINSC_11use_defaultEEESN_EEEEEPS7_SQ_SQ_NSC_11hip_rocprim7__merge17predicate_wrapperIiiNSC_4lessIiEEEEEE10hipError_tPvRmT0_T1_T2_T3_T4_T5_mmT6_P12ihipStream_tbEUlT_E_NS1_11comp_targetILNS1_3genE10ELNS1_11target_archE1200ELNS1_3gpuE4ELNS1_3repE0EEENS1_30default_config_static_selectorELNS0_4arch9wavefront6targetE0EEEvS11_: ; @_ZN7rocprim17ROCPRIM_400000_NS6detail17trampoline_kernelINS0_14default_configENS1_21merge_config_selectorINS0_5tupleIJiiEEENS0_10empty_typeEEEZNS1_10merge_implIS3_NS0_12zip_iteratorINS5_IJN6thrust23THRUST_200600_302600_NS6detail15normal_iteratorINSC_10device_ptrIKiEEEESI_EEEEESK_NSA_INS5_IJNSC_16discard_iteratorINSC_11use_defaultEEESN_EEEEEPS7_SQ_SQ_NSC_11hip_rocprim7__merge17predicate_wrapperIiiNSC_4lessIiEEEEEE10hipError_tPvRmT0_T1_T2_T3_T4_T5_mmT6_P12ihipStream_tbEUlT_E_NS1_11comp_targetILNS1_3genE10ELNS1_11target_archE1200ELNS1_3gpuE4ELNS1_3repE0EEENS1_30default_config_static_selectorELNS0_4arch9wavefront6targetE0EEEvS11_
; %bb.0:
	.section	.rodata,"a",@progbits
	.p2align	6, 0x0
	.amdhsa_kernel _ZN7rocprim17ROCPRIM_400000_NS6detail17trampoline_kernelINS0_14default_configENS1_21merge_config_selectorINS0_5tupleIJiiEEENS0_10empty_typeEEEZNS1_10merge_implIS3_NS0_12zip_iteratorINS5_IJN6thrust23THRUST_200600_302600_NS6detail15normal_iteratorINSC_10device_ptrIKiEEEESI_EEEEESK_NSA_INS5_IJNSC_16discard_iteratorINSC_11use_defaultEEESN_EEEEEPS7_SQ_SQ_NSC_11hip_rocprim7__merge17predicate_wrapperIiiNSC_4lessIiEEEEEE10hipError_tPvRmT0_T1_T2_T3_T4_T5_mmT6_P12ihipStream_tbEUlT_E_NS1_11comp_targetILNS1_3genE10ELNS1_11target_archE1200ELNS1_3gpuE4ELNS1_3repE0EEENS1_30default_config_static_selectorELNS0_4arch9wavefront6targetE0EEEvS11_
		.amdhsa_group_segment_fixed_size 0
		.amdhsa_private_segment_fixed_size 0
		.amdhsa_kernarg_size 64
		.amdhsa_user_sgpr_count 2
		.amdhsa_user_sgpr_dispatch_ptr 0
		.amdhsa_user_sgpr_queue_ptr 0
		.amdhsa_user_sgpr_kernarg_segment_ptr 1
		.amdhsa_user_sgpr_dispatch_id 0
		.amdhsa_user_sgpr_kernarg_preload_length 0
		.amdhsa_user_sgpr_kernarg_preload_offset 0
		.amdhsa_user_sgpr_private_segment_size 0
		.amdhsa_wavefront_size32 1
		.amdhsa_uses_dynamic_stack 0
		.amdhsa_enable_private_segment 0
		.amdhsa_system_sgpr_workgroup_id_x 1
		.amdhsa_system_sgpr_workgroup_id_y 0
		.amdhsa_system_sgpr_workgroup_id_z 0
		.amdhsa_system_sgpr_workgroup_info 0
		.amdhsa_system_vgpr_workitem_id 0
		.amdhsa_next_free_vgpr 1
		.amdhsa_next_free_sgpr 1
		.amdhsa_named_barrier_count 0
		.amdhsa_reserve_vcc 0
		.amdhsa_float_round_mode_32 0
		.amdhsa_float_round_mode_16_64 0
		.amdhsa_float_denorm_mode_32 3
		.amdhsa_float_denorm_mode_16_64 3
		.amdhsa_fp16_overflow 0
		.amdhsa_memory_ordered 1
		.amdhsa_forward_progress 1
		.amdhsa_inst_pref_size 0
		.amdhsa_round_robin_scheduling 0
		.amdhsa_exception_fp_ieee_invalid_op 0
		.amdhsa_exception_fp_denorm_src 0
		.amdhsa_exception_fp_ieee_div_zero 0
		.amdhsa_exception_fp_ieee_overflow 0
		.amdhsa_exception_fp_ieee_underflow 0
		.amdhsa_exception_fp_ieee_inexact 0
		.amdhsa_exception_int_div_zero 0
	.end_amdhsa_kernel
	.section	.text._ZN7rocprim17ROCPRIM_400000_NS6detail17trampoline_kernelINS0_14default_configENS1_21merge_config_selectorINS0_5tupleIJiiEEENS0_10empty_typeEEEZNS1_10merge_implIS3_NS0_12zip_iteratorINS5_IJN6thrust23THRUST_200600_302600_NS6detail15normal_iteratorINSC_10device_ptrIKiEEEESI_EEEEESK_NSA_INS5_IJNSC_16discard_iteratorINSC_11use_defaultEEESN_EEEEEPS7_SQ_SQ_NSC_11hip_rocprim7__merge17predicate_wrapperIiiNSC_4lessIiEEEEEE10hipError_tPvRmT0_T1_T2_T3_T4_T5_mmT6_P12ihipStream_tbEUlT_E_NS1_11comp_targetILNS1_3genE10ELNS1_11target_archE1200ELNS1_3gpuE4ELNS1_3repE0EEENS1_30default_config_static_selectorELNS0_4arch9wavefront6targetE0EEEvS11_,"axG",@progbits,_ZN7rocprim17ROCPRIM_400000_NS6detail17trampoline_kernelINS0_14default_configENS1_21merge_config_selectorINS0_5tupleIJiiEEENS0_10empty_typeEEEZNS1_10merge_implIS3_NS0_12zip_iteratorINS5_IJN6thrust23THRUST_200600_302600_NS6detail15normal_iteratorINSC_10device_ptrIKiEEEESI_EEEEESK_NSA_INS5_IJNSC_16discard_iteratorINSC_11use_defaultEEESN_EEEEEPS7_SQ_SQ_NSC_11hip_rocprim7__merge17predicate_wrapperIiiNSC_4lessIiEEEEEE10hipError_tPvRmT0_T1_T2_T3_T4_T5_mmT6_P12ihipStream_tbEUlT_E_NS1_11comp_targetILNS1_3genE10ELNS1_11target_archE1200ELNS1_3gpuE4ELNS1_3repE0EEENS1_30default_config_static_selectorELNS0_4arch9wavefront6targetE0EEEvS11_,comdat
.Lfunc_end593:
	.size	_ZN7rocprim17ROCPRIM_400000_NS6detail17trampoline_kernelINS0_14default_configENS1_21merge_config_selectorINS0_5tupleIJiiEEENS0_10empty_typeEEEZNS1_10merge_implIS3_NS0_12zip_iteratorINS5_IJN6thrust23THRUST_200600_302600_NS6detail15normal_iteratorINSC_10device_ptrIKiEEEESI_EEEEESK_NSA_INS5_IJNSC_16discard_iteratorINSC_11use_defaultEEESN_EEEEEPS7_SQ_SQ_NSC_11hip_rocprim7__merge17predicate_wrapperIiiNSC_4lessIiEEEEEE10hipError_tPvRmT0_T1_T2_T3_T4_T5_mmT6_P12ihipStream_tbEUlT_E_NS1_11comp_targetILNS1_3genE10ELNS1_11target_archE1200ELNS1_3gpuE4ELNS1_3repE0EEENS1_30default_config_static_selectorELNS0_4arch9wavefront6targetE0EEEvS11_, .Lfunc_end593-_ZN7rocprim17ROCPRIM_400000_NS6detail17trampoline_kernelINS0_14default_configENS1_21merge_config_selectorINS0_5tupleIJiiEEENS0_10empty_typeEEEZNS1_10merge_implIS3_NS0_12zip_iteratorINS5_IJN6thrust23THRUST_200600_302600_NS6detail15normal_iteratorINSC_10device_ptrIKiEEEESI_EEEEESK_NSA_INS5_IJNSC_16discard_iteratorINSC_11use_defaultEEESN_EEEEEPS7_SQ_SQ_NSC_11hip_rocprim7__merge17predicate_wrapperIiiNSC_4lessIiEEEEEE10hipError_tPvRmT0_T1_T2_T3_T4_T5_mmT6_P12ihipStream_tbEUlT_E_NS1_11comp_targetILNS1_3genE10ELNS1_11target_archE1200ELNS1_3gpuE4ELNS1_3repE0EEENS1_30default_config_static_selectorELNS0_4arch9wavefront6targetE0EEEvS11_
                                        ; -- End function
	.set _ZN7rocprim17ROCPRIM_400000_NS6detail17trampoline_kernelINS0_14default_configENS1_21merge_config_selectorINS0_5tupleIJiiEEENS0_10empty_typeEEEZNS1_10merge_implIS3_NS0_12zip_iteratorINS5_IJN6thrust23THRUST_200600_302600_NS6detail15normal_iteratorINSC_10device_ptrIKiEEEESI_EEEEESK_NSA_INS5_IJNSC_16discard_iteratorINSC_11use_defaultEEESN_EEEEEPS7_SQ_SQ_NSC_11hip_rocprim7__merge17predicate_wrapperIiiNSC_4lessIiEEEEEE10hipError_tPvRmT0_T1_T2_T3_T4_T5_mmT6_P12ihipStream_tbEUlT_E_NS1_11comp_targetILNS1_3genE10ELNS1_11target_archE1200ELNS1_3gpuE4ELNS1_3repE0EEENS1_30default_config_static_selectorELNS0_4arch9wavefront6targetE0EEEvS11_.num_vgpr, 0
	.set _ZN7rocprim17ROCPRIM_400000_NS6detail17trampoline_kernelINS0_14default_configENS1_21merge_config_selectorINS0_5tupleIJiiEEENS0_10empty_typeEEEZNS1_10merge_implIS3_NS0_12zip_iteratorINS5_IJN6thrust23THRUST_200600_302600_NS6detail15normal_iteratorINSC_10device_ptrIKiEEEESI_EEEEESK_NSA_INS5_IJNSC_16discard_iteratorINSC_11use_defaultEEESN_EEEEEPS7_SQ_SQ_NSC_11hip_rocprim7__merge17predicate_wrapperIiiNSC_4lessIiEEEEEE10hipError_tPvRmT0_T1_T2_T3_T4_T5_mmT6_P12ihipStream_tbEUlT_E_NS1_11comp_targetILNS1_3genE10ELNS1_11target_archE1200ELNS1_3gpuE4ELNS1_3repE0EEENS1_30default_config_static_selectorELNS0_4arch9wavefront6targetE0EEEvS11_.num_agpr, 0
	.set _ZN7rocprim17ROCPRIM_400000_NS6detail17trampoline_kernelINS0_14default_configENS1_21merge_config_selectorINS0_5tupleIJiiEEENS0_10empty_typeEEEZNS1_10merge_implIS3_NS0_12zip_iteratorINS5_IJN6thrust23THRUST_200600_302600_NS6detail15normal_iteratorINSC_10device_ptrIKiEEEESI_EEEEESK_NSA_INS5_IJNSC_16discard_iteratorINSC_11use_defaultEEESN_EEEEEPS7_SQ_SQ_NSC_11hip_rocprim7__merge17predicate_wrapperIiiNSC_4lessIiEEEEEE10hipError_tPvRmT0_T1_T2_T3_T4_T5_mmT6_P12ihipStream_tbEUlT_E_NS1_11comp_targetILNS1_3genE10ELNS1_11target_archE1200ELNS1_3gpuE4ELNS1_3repE0EEENS1_30default_config_static_selectorELNS0_4arch9wavefront6targetE0EEEvS11_.numbered_sgpr, 0
	.set _ZN7rocprim17ROCPRIM_400000_NS6detail17trampoline_kernelINS0_14default_configENS1_21merge_config_selectorINS0_5tupleIJiiEEENS0_10empty_typeEEEZNS1_10merge_implIS3_NS0_12zip_iteratorINS5_IJN6thrust23THRUST_200600_302600_NS6detail15normal_iteratorINSC_10device_ptrIKiEEEESI_EEEEESK_NSA_INS5_IJNSC_16discard_iteratorINSC_11use_defaultEEESN_EEEEEPS7_SQ_SQ_NSC_11hip_rocprim7__merge17predicate_wrapperIiiNSC_4lessIiEEEEEE10hipError_tPvRmT0_T1_T2_T3_T4_T5_mmT6_P12ihipStream_tbEUlT_E_NS1_11comp_targetILNS1_3genE10ELNS1_11target_archE1200ELNS1_3gpuE4ELNS1_3repE0EEENS1_30default_config_static_selectorELNS0_4arch9wavefront6targetE0EEEvS11_.num_named_barrier, 0
	.set _ZN7rocprim17ROCPRIM_400000_NS6detail17trampoline_kernelINS0_14default_configENS1_21merge_config_selectorINS0_5tupleIJiiEEENS0_10empty_typeEEEZNS1_10merge_implIS3_NS0_12zip_iteratorINS5_IJN6thrust23THRUST_200600_302600_NS6detail15normal_iteratorINSC_10device_ptrIKiEEEESI_EEEEESK_NSA_INS5_IJNSC_16discard_iteratorINSC_11use_defaultEEESN_EEEEEPS7_SQ_SQ_NSC_11hip_rocprim7__merge17predicate_wrapperIiiNSC_4lessIiEEEEEE10hipError_tPvRmT0_T1_T2_T3_T4_T5_mmT6_P12ihipStream_tbEUlT_E_NS1_11comp_targetILNS1_3genE10ELNS1_11target_archE1200ELNS1_3gpuE4ELNS1_3repE0EEENS1_30default_config_static_selectorELNS0_4arch9wavefront6targetE0EEEvS11_.private_seg_size, 0
	.set _ZN7rocprim17ROCPRIM_400000_NS6detail17trampoline_kernelINS0_14default_configENS1_21merge_config_selectorINS0_5tupleIJiiEEENS0_10empty_typeEEEZNS1_10merge_implIS3_NS0_12zip_iteratorINS5_IJN6thrust23THRUST_200600_302600_NS6detail15normal_iteratorINSC_10device_ptrIKiEEEESI_EEEEESK_NSA_INS5_IJNSC_16discard_iteratorINSC_11use_defaultEEESN_EEEEEPS7_SQ_SQ_NSC_11hip_rocprim7__merge17predicate_wrapperIiiNSC_4lessIiEEEEEE10hipError_tPvRmT0_T1_T2_T3_T4_T5_mmT6_P12ihipStream_tbEUlT_E_NS1_11comp_targetILNS1_3genE10ELNS1_11target_archE1200ELNS1_3gpuE4ELNS1_3repE0EEENS1_30default_config_static_selectorELNS0_4arch9wavefront6targetE0EEEvS11_.uses_vcc, 0
	.set _ZN7rocprim17ROCPRIM_400000_NS6detail17trampoline_kernelINS0_14default_configENS1_21merge_config_selectorINS0_5tupleIJiiEEENS0_10empty_typeEEEZNS1_10merge_implIS3_NS0_12zip_iteratorINS5_IJN6thrust23THRUST_200600_302600_NS6detail15normal_iteratorINSC_10device_ptrIKiEEEESI_EEEEESK_NSA_INS5_IJNSC_16discard_iteratorINSC_11use_defaultEEESN_EEEEEPS7_SQ_SQ_NSC_11hip_rocprim7__merge17predicate_wrapperIiiNSC_4lessIiEEEEEE10hipError_tPvRmT0_T1_T2_T3_T4_T5_mmT6_P12ihipStream_tbEUlT_E_NS1_11comp_targetILNS1_3genE10ELNS1_11target_archE1200ELNS1_3gpuE4ELNS1_3repE0EEENS1_30default_config_static_selectorELNS0_4arch9wavefront6targetE0EEEvS11_.uses_flat_scratch, 0
	.set _ZN7rocprim17ROCPRIM_400000_NS6detail17trampoline_kernelINS0_14default_configENS1_21merge_config_selectorINS0_5tupleIJiiEEENS0_10empty_typeEEEZNS1_10merge_implIS3_NS0_12zip_iteratorINS5_IJN6thrust23THRUST_200600_302600_NS6detail15normal_iteratorINSC_10device_ptrIKiEEEESI_EEEEESK_NSA_INS5_IJNSC_16discard_iteratorINSC_11use_defaultEEESN_EEEEEPS7_SQ_SQ_NSC_11hip_rocprim7__merge17predicate_wrapperIiiNSC_4lessIiEEEEEE10hipError_tPvRmT0_T1_T2_T3_T4_T5_mmT6_P12ihipStream_tbEUlT_E_NS1_11comp_targetILNS1_3genE10ELNS1_11target_archE1200ELNS1_3gpuE4ELNS1_3repE0EEENS1_30default_config_static_selectorELNS0_4arch9wavefront6targetE0EEEvS11_.has_dyn_sized_stack, 0
	.set _ZN7rocprim17ROCPRIM_400000_NS6detail17trampoline_kernelINS0_14default_configENS1_21merge_config_selectorINS0_5tupleIJiiEEENS0_10empty_typeEEEZNS1_10merge_implIS3_NS0_12zip_iteratorINS5_IJN6thrust23THRUST_200600_302600_NS6detail15normal_iteratorINSC_10device_ptrIKiEEEESI_EEEEESK_NSA_INS5_IJNSC_16discard_iteratorINSC_11use_defaultEEESN_EEEEEPS7_SQ_SQ_NSC_11hip_rocprim7__merge17predicate_wrapperIiiNSC_4lessIiEEEEEE10hipError_tPvRmT0_T1_T2_T3_T4_T5_mmT6_P12ihipStream_tbEUlT_E_NS1_11comp_targetILNS1_3genE10ELNS1_11target_archE1200ELNS1_3gpuE4ELNS1_3repE0EEENS1_30default_config_static_selectorELNS0_4arch9wavefront6targetE0EEEvS11_.has_recursion, 0
	.set _ZN7rocprim17ROCPRIM_400000_NS6detail17trampoline_kernelINS0_14default_configENS1_21merge_config_selectorINS0_5tupleIJiiEEENS0_10empty_typeEEEZNS1_10merge_implIS3_NS0_12zip_iteratorINS5_IJN6thrust23THRUST_200600_302600_NS6detail15normal_iteratorINSC_10device_ptrIKiEEEESI_EEEEESK_NSA_INS5_IJNSC_16discard_iteratorINSC_11use_defaultEEESN_EEEEEPS7_SQ_SQ_NSC_11hip_rocprim7__merge17predicate_wrapperIiiNSC_4lessIiEEEEEE10hipError_tPvRmT0_T1_T2_T3_T4_T5_mmT6_P12ihipStream_tbEUlT_E_NS1_11comp_targetILNS1_3genE10ELNS1_11target_archE1200ELNS1_3gpuE4ELNS1_3repE0EEENS1_30default_config_static_selectorELNS0_4arch9wavefront6targetE0EEEvS11_.has_indirect_call, 0
	.section	.AMDGPU.csdata,"",@progbits
; Kernel info:
; codeLenInByte = 0
; TotalNumSgprs: 0
; NumVgprs: 0
; ScratchSize: 0
; MemoryBound: 0
; FloatMode: 240
; IeeeMode: 1
; LDSByteSize: 0 bytes/workgroup (compile time only)
; SGPRBlocks: 0
; VGPRBlocks: 0
; NumSGPRsForWavesPerEU: 1
; NumVGPRsForWavesPerEU: 1
; NamedBarCnt: 0
; Occupancy: 16
; WaveLimiterHint : 0
; COMPUTE_PGM_RSRC2:SCRATCH_EN: 0
; COMPUTE_PGM_RSRC2:USER_SGPR: 2
; COMPUTE_PGM_RSRC2:TRAP_HANDLER: 0
; COMPUTE_PGM_RSRC2:TGID_X_EN: 1
; COMPUTE_PGM_RSRC2:TGID_Y_EN: 0
; COMPUTE_PGM_RSRC2:TGID_Z_EN: 0
; COMPUTE_PGM_RSRC2:TIDIG_COMP_CNT: 0
	.section	.text._ZN7rocprim17ROCPRIM_400000_NS6detail17trampoline_kernelINS0_14default_configENS1_21merge_config_selectorINS0_5tupleIJiiEEENS0_10empty_typeEEEZNS1_10merge_implIS3_NS0_12zip_iteratorINS5_IJN6thrust23THRUST_200600_302600_NS6detail15normal_iteratorINSC_10device_ptrIKiEEEESI_EEEEESK_NSA_INS5_IJNSC_16discard_iteratorINSC_11use_defaultEEESN_EEEEEPS7_SQ_SQ_NSC_11hip_rocprim7__merge17predicate_wrapperIiiNSC_4lessIiEEEEEE10hipError_tPvRmT0_T1_T2_T3_T4_T5_mmT6_P12ihipStream_tbEUlT_E_NS1_11comp_targetILNS1_3genE9ELNS1_11target_archE1100ELNS1_3gpuE3ELNS1_3repE0EEENS1_30default_config_static_selectorELNS0_4arch9wavefront6targetE0EEEvS11_,"axG",@progbits,_ZN7rocprim17ROCPRIM_400000_NS6detail17trampoline_kernelINS0_14default_configENS1_21merge_config_selectorINS0_5tupleIJiiEEENS0_10empty_typeEEEZNS1_10merge_implIS3_NS0_12zip_iteratorINS5_IJN6thrust23THRUST_200600_302600_NS6detail15normal_iteratorINSC_10device_ptrIKiEEEESI_EEEEESK_NSA_INS5_IJNSC_16discard_iteratorINSC_11use_defaultEEESN_EEEEEPS7_SQ_SQ_NSC_11hip_rocprim7__merge17predicate_wrapperIiiNSC_4lessIiEEEEEE10hipError_tPvRmT0_T1_T2_T3_T4_T5_mmT6_P12ihipStream_tbEUlT_E_NS1_11comp_targetILNS1_3genE9ELNS1_11target_archE1100ELNS1_3gpuE3ELNS1_3repE0EEENS1_30default_config_static_selectorELNS0_4arch9wavefront6targetE0EEEvS11_,comdat
	.protected	_ZN7rocprim17ROCPRIM_400000_NS6detail17trampoline_kernelINS0_14default_configENS1_21merge_config_selectorINS0_5tupleIJiiEEENS0_10empty_typeEEEZNS1_10merge_implIS3_NS0_12zip_iteratorINS5_IJN6thrust23THRUST_200600_302600_NS6detail15normal_iteratorINSC_10device_ptrIKiEEEESI_EEEEESK_NSA_INS5_IJNSC_16discard_iteratorINSC_11use_defaultEEESN_EEEEEPS7_SQ_SQ_NSC_11hip_rocprim7__merge17predicate_wrapperIiiNSC_4lessIiEEEEEE10hipError_tPvRmT0_T1_T2_T3_T4_T5_mmT6_P12ihipStream_tbEUlT_E_NS1_11comp_targetILNS1_3genE9ELNS1_11target_archE1100ELNS1_3gpuE3ELNS1_3repE0EEENS1_30default_config_static_selectorELNS0_4arch9wavefront6targetE0EEEvS11_ ; -- Begin function _ZN7rocprim17ROCPRIM_400000_NS6detail17trampoline_kernelINS0_14default_configENS1_21merge_config_selectorINS0_5tupleIJiiEEENS0_10empty_typeEEEZNS1_10merge_implIS3_NS0_12zip_iteratorINS5_IJN6thrust23THRUST_200600_302600_NS6detail15normal_iteratorINSC_10device_ptrIKiEEEESI_EEEEESK_NSA_INS5_IJNSC_16discard_iteratorINSC_11use_defaultEEESN_EEEEEPS7_SQ_SQ_NSC_11hip_rocprim7__merge17predicate_wrapperIiiNSC_4lessIiEEEEEE10hipError_tPvRmT0_T1_T2_T3_T4_T5_mmT6_P12ihipStream_tbEUlT_E_NS1_11comp_targetILNS1_3genE9ELNS1_11target_archE1100ELNS1_3gpuE3ELNS1_3repE0EEENS1_30default_config_static_selectorELNS0_4arch9wavefront6targetE0EEEvS11_
	.globl	_ZN7rocprim17ROCPRIM_400000_NS6detail17trampoline_kernelINS0_14default_configENS1_21merge_config_selectorINS0_5tupleIJiiEEENS0_10empty_typeEEEZNS1_10merge_implIS3_NS0_12zip_iteratorINS5_IJN6thrust23THRUST_200600_302600_NS6detail15normal_iteratorINSC_10device_ptrIKiEEEESI_EEEEESK_NSA_INS5_IJNSC_16discard_iteratorINSC_11use_defaultEEESN_EEEEEPS7_SQ_SQ_NSC_11hip_rocprim7__merge17predicate_wrapperIiiNSC_4lessIiEEEEEE10hipError_tPvRmT0_T1_T2_T3_T4_T5_mmT6_P12ihipStream_tbEUlT_E_NS1_11comp_targetILNS1_3genE9ELNS1_11target_archE1100ELNS1_3gpuE3ELNS1_3repE0EEENS1_30default_config_static_selectorELNS0_4arch9wavefront6targetE0EEEvS11_
	.p2align	8
	.type	_ZN7rocprim17ROCPRIM_400000_NS6detail17trampoline_kernelINS0_14default_configENS1_21merge_config_selectorINS0_5tupleIJiiEEENS0_10empty_typeEEEZNS1_10merge_implIS3_NS0_12zip_iteratorINS5_IJN6thrust23THRUST_200600_302600_NS6detail15normal_iteratorINSC_10device_ptrIKiEEEESI_EEEEESK_NSA_INS5_IJNSC_16discard_iteratorINSC_11use_defaultEEESN_EEEEEPS7_SQ_SQ_NSC_11hip_rocprim7__merge17predicate_wrapperIiiNSC_4lessIiEEEEEE10hipError_tPvRmT0_T1_T2_T3_T4_T5_mmT6_P12ihipStream_tbEUlT_E_NS1_11comp_targetILNS1_3genE9ELNS1_11target_archE1100ELNS1_3gpuE3ELNS1_3repE0EEENS1_30default_config_static_selectorELNS0_4arch9wavefront6targetE0EEEvS11_,@function
_ZN7rocprim17ROCPRIM_400000_NS6detail17trampoline_kernelINS0_14default_configENS1_21merge_config_selectorINS0_5tupleIJiiEEENS0_10empty_typeEEEZNS1_10merge_implIS3_NS0_12zip_iteratorINS5_IJN6thrust23THRUST_200600_302600_NS6detail15normal_iteratorINSC_10device_ptrIKiEEEESI_EEEEESK_NSA_INS5_IJNSC_16discard_iteratorINSC_11use_defaultEEESN_EEEEEPS7_SQ_SQ_NSC_11hip_rocprim7__merge17predicate_wrapperIiiNSC_4lessIiEEEEEE10hipError_tPvRmT0_T1_T2_T3_T4_T5_mmT6_P12ihipStream_tbEUlT_E_NS1_11comp_targetILNS1_3genE9ELNS1_11target_archE1100ELNS1_3gpuE3ELNS1_3repE0EEENS1_30default_config_static_selectorELNS0_4arch9wavefront6targetE0EEEvS11_: ; @_ZN7rocprim17ROCPRIM_400000_NS6detail17trampoline_kernelINS0_14default_configENS1_21merge_config_selectorINS0_5tupleIJiiEEENS0_10empty_typeEEEZNS1_10merge_implIS3_NS0_12zip_iteratorINS5_IJN6thrust23THRUST_200600_302600_NS6detail15normal_iteratorINSC_10device_ptrIKiEEEESI_EEEEESK_NSA_INS5_IJNSC_16discard_iteratorINSC_11use_defaultEEESN_EEEEEPS7_SQ_SQ_NSC_11hip_rocprim7__merge17predicate_wrapperIiiNSC_4lessIiEEEEEE10hipError_tPvRmT0_T1_T2_T3_T4_T5_mmT6_P12ihipStream_tbEUlT_E_NS1_11comp_targetILNS1_3genE9ELNS1_11target_archE1100ELNS1_3gpuE3ELNS1_3repE0EEENS1_30default_config_static_selectorELNS0_4arch9wavefront6targetE0EEEvS11_
; %bb.0:
	.section	.rodata,"a",@progbits
	.p2align	6, 0x0
	.amdhsa_kernel _ZN7rocprim17ROCPRIM_400000_NS6detail17trampoline_kernelINS0_14default_configENS1_21merge_config_selectorINS0_5tupleIJiiEEENS0_10empty_typeEEEZNS1_10merge_implIS3_NS0_12zip_iteratorINS5_IJN6thrust23THRUST_200600_302600_NS6detail15normal_iteratorINSC_10device_ptrIKiEEEESI_EEEEESK_NSA_INS5_IJNSC_16discard_iteratorINSC_11use_defaultEEESN_EEEEEPS7_SQ_SQ_NSC_11hip_rocprim7__merge17predicate_wrapperIiiNSC_4lessIiEEEEEE10hipError_tPvRmT0_T1_T2_T3_T4_T5_mmT6_P12ihipStream_tbEUlT_E_NS1_11comp_targetILNS1_3genE9ELNS1_11target_archE1100ELNS1_3gpuE3ELNS1_3repE0EEENS1_30default_config_static_selectorELNS0_4arch9wavefront6targetE0EEEvS11_
		.amdhsa_group_segment_fixed_size 0
		.amdhsa_private_segment_fixed_size 0
		.amdhsa_kernarg_size 64
		.amdhsa_user_sgpr_count 2
		.amdhsa_user_sgpr_dispatch_ptr 0
		.amdhsa_user_sgpr_queue_ptr 0
		.amdhsa_user_sgpr_kernarg_segment_ptr 1
		.amdhsa_user_sgpr_dispatch_id 0
		.amdhsa_user_sgpr_kernarg_preload_length 0
		.amdhsa_user_sgpr_kernarg_preload_offset 0
		.amdhsa_user_sgpr_private_segment_size 0
		.amdhsa_wavefront_size32 1
		.amdhsa_uses_dynamic_stack 0
		.amdhsa_enable_private_segment 0
		.amdhsa_system_sgpr_workgroup_id_x 1
		.amdhsa_system_sgpr_workgroup_id_y 0
		.amdhsa_system_sgpr_workgroup_id_z 0
		.amdhsa_system_sgpr_workgroup_info 0
		.amdhsa_system_vgpr_workitem_id 0
		.amdhsa_next_free_vgpr 1
		.amdhsa_next_free_sgpr 1
		.amdhsa_named_barrier_count 0
		.amdhsa_reserve_vcc 0
		.amdhsa_float_round_mode_32 0
		.amdhsa_float_round_mode_16_64 0
		.amdhsa_float_denorm_mode_32 3
		.amdhsa_float_denorm_mode_16_64 3
		.amdhsa_fp16_overflow 0
		.amdhsa_memory_ordered 1
		.amdhsa_forward_progress 1
		.amdhsa_inst_pref_size 0
		.amdhsa_round_robin_scheduling 0
		.amdhsa_exception_fp_ieee_invalid_op 0
		.amdhsa_exception_fp_denorm_src 0
		.amdhsa_exception_fp_ieee_div_zero 0
		.amdhsa_exception_fp_ieee_overflow 0
		.amdhsa_exception_fp_ieee_underflow 0
		.amdhsa_exception_fp_ieee_inexact 0
		.amdhsa_exception_int_div_zero 0
	.end_amdhsa_kernel
	.section	.text._ZN7rocprim17ROCPRIM_400000_NS6detail17trampoline_kernelINS0_14default_configENS1_21merge_config_selectorINS0_5tupleIJiiEEENS0_10empty_typeEEEZNS1_10merge_implIS3_NS0_12zip_iteratorINS5_IJN6thrust23THRUST_200600_302600_NS6detail15normal_iteratorINSC_10device_ptrIKiEEEESI_EEEEESK_NSA_INS5_IJNSC_16discard_iteratorINSC_11use_defaultEEESN_EEEEEPS7_SQ_SQ_NSC_11hip_rocprim7__merge17predicate_wrapperIiiNSC_4lessIiEEEEEE10hipError_tPvRmT0_T1_T2_T3_T4_T5_mmT6_P12ihipStream_tbEUlT_E_NS1_11comp_targetILNS1_3genE9ELNS1_11target_archE1100ELNS1_3gpuE3ELNS1_3repE0EEENS1_30default_config_static_selectorELNS0_4arch9wavefront6targetE0EEEvS11_,"axG",@progbits,_ZN7rocprim17ROCPRIM_400000_NS6detail17trampoline_kernelINS0_14default_configENS1_21merge_config_selectorINS0_5tupleIJiiEEENS0_10empty_typeEEEZNS1_10merge_implIS3_NS0_12zip_iteratorINS5_IJN6thrust23THRUST_200600_302600_NS6detail15normal_iteratorINSC_10device_ptrIKiEEEESI_EEEEESK_NSA_INS5_IJNSC_16discard_iteratorINSC_11use_defaultEEESN_EEEEEPS7_SQ_SQ_NSC_11hip_rocprim7__merge17predicate_wrapperIiiNSC_4lessIiEEEEEE10hipError_tPvRmT0_T1_T2_T3_T4_T5_mmT6_P12ihipStream_tbEUlT_E_NS1_11comp_targetILNS1_3genE9ELNS1_11target_archE1100ELNS1_3gpuE3ELNS1_3repE0EEENS1_30default_config_static_selectorELNS0_4arch9wavefront6targetE0EEEvS11_,comdat
.Lfunc_end594:
	.size	_ZN7rocprim17ROCPRIM_400000_NS6detail17trampoline_kernelINS0_14default_configENS1_21merge_config_selectorINS0_5tupleIJiiEEENS0_10empty_typeEEEZNS1_10merge_implIS3_NS0_12zip_iteratorINS5_IJN6thrust23THRUST_200600_302600_NS6detail15normal_iteratorINSC_10device_ptrIKiEEEESI_EEEEESK_NSA_INS5_IJNSC_16discard_iteratorINSC_11use_defaultEEESN_EEEEEPS7_SQ_SQ_NSC_11hip_rocprim7__merge17predicate_wrapperIiiNSC_4lessIiEEEEEE10hipError_tPvRmT0_T1_T2_T3_T4_T5_mmT6_P12ihipStream_tbEUlT_E_NS1_11comp_targetILNS1_3genE9ELNS1_11target_archE1100ELNS1_3gpuE3ELNS1_3repE0EEENS1_30default_config_static_selectorELNS0_4arch9wavefront6targetE0EEEvS11_, .Lfunc_end594-_ZN7rocprim17ROCPRIM_400000_NS6detail17trampoline_kernelINS0_14default_configENS1_21merge_config_selectorINS0_5tupleIJiiEEENS0_10empty_typeEEEZNS1_10merge_implIS3_NS0_12zip_iteratorINS5_IJN6thrust23THRUST_200600_302600_NS6detail15normal_iteratorINSC_10device_ptrIKiEEEESI_EEEEESK_NSA_INS5_IJNSC_16discard_iteratorINSC_11use_defaultEEESN_EEEEEPS7_SQ_SQ_NSC_11hip_rocprim7__merge17predicate_wrapperIiiNSC_4lessIiEEEEEE10hipError_tPvRmT0_T1_T2_T3_T4_T5_mmT6_P12ihipStream_tbEUlT_E_NS1_11comp_targetILNS1_3genE9ELNS1_11target_archE1100ELNS1_3gpuE3ELNS1_3repE0EEENS1_30default_config_static_selectorELNS0_4arch9wavefront6targetE0EEEvS11_
                                        ; -- End function
	.set _ZN7rocprim17ROCPRIM_400000_NS6detail17trampoline_kernelINS0_14default_configENS1_21merge_config_selectorINS0_5tupleIJiiEEENS0_10empty_typeEEEZNS1_10merge_implIS3_NS0_12zip_iteratorINS5_IJN6thrust23THRUST_200600_302600_NS6detail15normal_iteratorINSC_10device_ptrIKiEEEESI_EEEEESK_NSA_INS5_IJNSC_16discard_iteratorINSC_11use_defaultEEESN_EEEEEPS7_SQ_SQ_NSC_11hip_rocprim7__merge17predicate_wrapperIiiNSC_4lessIiEEEEEE10hipError_tPvRmT0_T1_T2_T3_T4_T5_mmT6_P12ihipStream_tbEUlT_E_NS1_11comp_targetILNS1_3genE9ELNS1_11target_archE1100ELNS1_3gpuE3ELNS1_3repE0EEENS1_30default_config_static_selectorELNS0_4arch9wavefront6targetE0EEEvS11_.num_vgpr, 0
	.set _ZN7rocprim17ROCPRIM_400000_NS6detail17trampoline_kernelINS0_14default_configENS1_21merge_config_selectorINS0_5tupleIJiiEEENS0_10empty_typeEEEZNS1_10merge_implIS3_NS0_12zip_iteratorINS5_IJN6thrust23THRUST_200600_302600_NS6detail15normal_iteratorINSC_10device_ptrIKiEEEESI_EEEEESK_NSA_INS5_IJNSC_16discard_iteratorINSC_11use_defaultEEESN_EEEEEPS7_SQ_SQ_NSC_11hip_rocprim7__merge17predicate_wrapperIiiNSC_4lessIiEEEEEE10hipError_tPvRmT0_T1_T2_T3_T4_T5_mmT6_P12ihipStream_tbEUlT_E_NS1_11comp_targetILNS1_3genE9ELNS1_11target_archE1100ELNS1_3gpuE3ELNS1_3repE0EEENS1_30default_config_static_selectorELNS0_4arch9wavefront6targetE0EEEvS11_.num_agpr, 0
	.set _ZN7rocprim17ROCPRIM_400000_NS6detail17trampoline_kernelINS0_14default_configENS1_21merge_config_selectorINS0_5tupleIJiiEEENS0_10empty_typeEEEZNS1_10merge_implIS3_NS0_12zip_iteratorINS5_IJN6thrust23THRUST_200600_302600_NS6detail15normal_iteratorINSC_10device_ptrIKiEEEESI_EEEEESK_NSA_INS5_IJNSC_16discard_iteratorINSC_11use_defaultEEESN_EEEEEPS7_SQ_SQ_NSC_11hip_rocprim7__merge17predicate_wrapperIiiNSC_4lessIiEEEEEE10hipError_tPvRmT0_T1_T2_T3_T4_T5_mmT6_P12ihipStream_tbEUlT_E_NS1_11comp_targetILNS1_3genE9ELNS1_11target_archE1100ELNS1_3gpuE3ELNS1_3repE0EEENS1_30default_config_static_selectorELNS0_4arch9wavefront6targetE0EEEvS11_.numbered_sgpr, 0
	.set _ZN7rocprim17ROCPRIM_400000_NS6detail17trampoline_kernelINS0_14default_configENS1_21merge_config_selectorINS0_5tupleIJiiEEENS0_10empty_typeEEEZNS1_10merge_implIS3_NS0_12zip_iteratorINS5_IJN6thrust23THRUST_200600_302600_NS6detail15normal_iteratorINSC_10device_ptrIKiEEEESI_EEEEESK_NSA_INS5_IJNSC_16discard_iteratorINSC_11use_defaultEEESN_EEEEEPS7_SQ_SQ_NSC_11hip_rocprim7__merge17predicate_wrapperIiiNSC_4lessIiEEEEEE10hipError_tPvRmT0_T1_T2_T3_T4_T5_mmT6_P12ihipStream_tbEUlT_E_NS1_11comp_targetILNS1_3genE9ELNS1_11target_archE1100ELNS1_3gpuE3ELNS1_3repE0EEENS1_30default_config_static_selectorELNS0_4arch9wavefront6targetE0EEEvS11_.num_named_barrier, 0
	.set _ZN7rocprim17ROCPRIM_400000_NS6detail17trampoline_kernelINS0_14default_configENS1_21merge_config_selectorINS0_5tupleIJiiEEENS0_10empty_typeEEEZNS1_10merge_implIS3_NS0_12zip_iteratorINS5_IJN6thrust23THRUST_200600_302600_NS6detail15normal_iteratorINSC_10device_ptrIKiEEEESI_EEEEESK_NSA_INS5_IJNSC_16discard_iteratorINSC_11use_defaultEEESN_EEEEEPS7_SQ_SQ_NSC_11hip_rocprim7__merge17predicate_wrapperIiiNSC_4lessIiEEEEEE10hipError_tPvRmT0_T1_T2_T3_T4_T5_mmT6_P12ihipStream_tbEUlT_E_NS1_11comp_targetILNS1_3genE9ELNS1_11target_archE1100ELNS1_3gpuE3ELNS1_3repE0EEENS1_30default_config_static_selectorELNS0_4arch9wavefront6targetE0EEEvS11_.private_seg_size, 0
	.set _ZN7rocprim17ROCPRIM_400000_NS6detail17trampoline_kernelINS0_14default_configENS1_21merge_config_selectorINS0_5tupleIJiiEEENS0_10empty_typeEEEZNS1_10merge_implIS3_NS0_12zip_iteratorINS5_IJN6thrust23THRUST_200600_302600_NS6detail15normal_iteratorINSC_10device_ptrIKiEEEESI_EEEEESK_NSA_INS5_IJNSC_16discard_iteratorINSC_11use_defaultEEESN_EEEEEPS7_SQ_SQ_NSC_11hip_rocprim7__merge17predicate_wrapperIiiNSC_4lessIiEEEEEE10hipError_tPvRmT0_T1_T2_T3_T4_T5_mmT6_P12ihipStream_tbEUlT_E_NS1_11comp_targetILNS1_3genE9ELNS1_11target_archE1100ELNS1_3gpuE3ELNS1_3repE0EEENS1_30default_config_static_selectorELNS0_4arch9wavefront6targetE0EEEvS11_.uses_vcc, 0
	.set _ZN7rocprim17ROCPRIM_400000_NS6detail17trampoline_kernelINS0_14default_configENS1_21merge_config_selectorINS0_5tupleIJiiEEENS0_10empty_typeEEEZNS1_10merge_implIS3_NS0_12zip_iteratorINS5_IJN6thrust23THRUST_200600_302600_NS6detail15normal_iteratorINSC_10device_ptrIKiEEEESI_EEEEESK_NSA_INS5_IJNSC_16discard_iteratorINSC_11use_defaultEEESN_EEEEEPS7_SQ_SQ_NSC_11hip_rocprim7__merge17predicate_wrapperIiiNSC_4lessIiEEEEEE10hipError_tPvRmT0_T1_T2_T3_T4_T5_mmT6_P12ihipStream_tbEUlT_E_NS1_11comp_targetILNS1_3genE9ELNS1_11target_archE1100ELNS1_3gpuE3ELNS1_3repE0EEENS1_30default_config_static_selectorELNS0_4arch9wavefront6targetE0EEEvS11_.uses_flat_scratch, 0
	.set _ZN7rocprim17ROCPRIM_400000_NS6detail17trampoline_kernelINS0_14default_configENS1_21merge_config_selectorINS0_5tupleIJiiEEENS0_10empty_typeEEEZNS1_10merge_implIS3_NS0_12zip_iteratorINS5_IJN6thrust23THRUST_200600_302600_NS6detail15normal_iteratorINSC_10device_ptrIKiEEEESI_EEEEESK_NSA_INS5_IJNSC_16discard_iteratorINSC_11use_defaultEEESN_EEEEEPS7_SQ_SQ_NSC_11hip_rocprim7__merge17predicate_wrapperIiiNSC_4lessIiEEEEEE10hipError_tPvRmT0_T1_T2_T3_T4_T5_mmT6_P12ihipStream_tbEUlT_E_NS1_11comp_targetILNS1_3genE9ELNS1_11target_archE1100ELNS1_3gpuE3ELNS1_3repE0EEENS1_30default_config_static_selectorELNS0_4arch9wavefront6targetE0EEEvS11_.has_dyn_sized_stack, 0
	.set _ZN7rocprim17ROCPRIM_400000_NS6detail17trampoline_kernelINS0_14default_configENS1_21merge_config_selectorINS0_5tupleIJiiEEENS0_10empty_typeEEEZNS1_10merge_implIS3_NS0_12zip_iteratorINS5_IJN6thrust23THRUST_200600_302600_NS6detail15normal_iteratorINSC_10device_ptrIKiEEEESI_EEEEESK_NSA_INS5_IJNSC_16discard_iteratorINSC_11use_defaultEEESN_EEEEEPS7_SQ_SQ_NSC_11hip_rocprim7__merge17predicate_wrapperIiiNSC_4lessIiEEEEEE10hipError_tPvRmT0_T1_T2_T3_T4_T5_mmT6_P12ihipStream_tbEUlT_E_NS1_11comp_targetILNS1_3genE9ELNS1_11target_archE1100ELNS1_3gpuE3ELNS1_3repE0EEENS1_30default_config_static_selectorELNS0_4arch9wavefront6targetE0EEEvS11_.has_recursion, 0
	.set _ZN7rocprim17ROCPRIM_400000_NS6detail17trampoline_kernelINS0_14default_configENS1_21merge_config_selectorINS0_5tupleIJiiEEENS0_10empty_typeEEEZNS1_10merge_implIS3_NS0_12zip_iteratorINS5_IJN6thrust23THRUST_200600_302600_NS6detail15normal_iteratorINSC_10device_ptrIKiEEEESI_EEEEESK_NSA_INS5_IJNSC_16discard_iteratorINSC_11use_defaultEEESN_EEEEEPS7_SQ_SQ_NSC_11hip_rocprim7__merge17predicate_wrapperIiiNSC_4lessIiEEEEEE10hipError_tPvRmT0_T1_T2_T3_T4_T5_mmT6_P12ihipStream_tbEUlT_E_NS1_11comp_targetILNS1_3genE9ELNS1_11target_archE1100ELNS1_3gpuE3ELNS1_3repE0EEENS1_30default_config_static_selectorELNS0_4arch9wavefront6targetE0EEEvS11_.has_indirect_call, 0
	.section	.AMDGPU.csdata,"",@progbits
; Kernel info:
; codeLenInByte = 0
; TotalNumSgprs: 0
; NumVgprs: 0
; ScratchSize: 0
; MemoryBound: 0
; FloatMode: 240
; IeeeMode: 1
; LDSByteSize: 0 bytes/workgroup (compile time only)
; SGPRBlocks: 0
; VGPRBlocks: 0
; NumSGPRsForWavesPerEU: 1
; NumVGPRsForWavesPerEU: 1
; NamedBarCnt: 0
; Occupancy: 16
; WaveLimiterHint : 0
; COMPUTE_PGM_RSRC2:SCRATCH_EN: 0
; COMPUTE_PGM_RSRC2:USER_SGPR: 2
; COMPUTE_PGM_RSRC2:TRAP_HANDLER: 0
; COMPUTE_PGM_RSRC2:TGID_X_EN: 1
; COMPUTE_PGM_RSRC2:TGID_Y_EN: 0
; COMPUTE_PGM_RSRC2:TGID_Z_EN: 0
; COMPUTE_PGM_RSRC2:TIDIG_COMP_CNT: 0
	.section	.text._ZN7rocprim17ROCPRIM_400000_NS6detail17trampoline_kernelINS0_14default_configENS1_21merge_config_selectorINS0_5tupleIJiiEEENS0_10empty_typeEEEZNS1_10merge_implIS3_NS0_12zip_iteratorINS5_IJN6thrust23THRUST_200600_302600_NS6detail15normal_iteratorINSC_10device_ptrIKiEEEESI_EEEEESK_NSA_INS5_IJNSC_16discard_iteratorINSC_11use_defaultEEESN_EEEEEPS7_SQ_SQ_NSC_11hip_rocprim7__merge17predicate_wrapperIiiNSC_4lessIiEEEEEE10hipError_tPvRmT0_T1_T2_T3_T4_T5_mmT6_P12ihipStream_tbEUlT_E_NS1_11comp_targetILNS1_3genE8ELNS1_11target_archE1030ELNS1_3gpuE2ELNS1_3repE0EEENS1_30default_config_static_selectorELNS0_4arch9wavefront6targetE0EEEvS11_,"axG",@progbits,_ZN7rocprim17ROCPRIM_400000_NS6detail17trampoline_kernelINS0_14default_configENS1_21merge_config_selectorINS0_5tupleIJiiEEENS0_10empty_typeEEEZNS1_10merge_implIS3_NS0_12zip_iteratorINS5_IJN6thrust23THRUST_200600_302600_NS6detail15normal_iteratorINSC_10device_ptrIKiEEEESI_EEEEESK_NSA_INS5_IJNSC_16discard_iteratorINSC_11use_defaultEEESN_EEEEEPS7_SQ_SQ_NSC_11hip_rocprim7__merge17predicate_wrapperIiiNSC_4lessIiEEEEEE10hipError_tPvRmT0_T1_T2_T3_T4_T5_mmT6_P12ihipStream_tbEUlT_E_NS1_11comp_targetILNS1_3genE8ELNS1_11target_archE1030ELNS1_3gpuE2ELNS1_3repE0EEENS1_30default_config_static_selectorELNS0_4arch9wavefront6targetE0EEEvS11_,comdat
	.protected	_ZN7rocprim17ROCPRIM_400000_NS6detail17trampoline_kernelINS0_14default_configENS1_21merge_config_selectorINS0_5tupleIJiiEEENS0_10empty_typeEEEZNS1_10merge_implIS3_NS0_12zip_iteratorINS5_IJN6thrust23THRUST_200600_302600_NS6detail15normal_iteratorINSC_10device_ptrIKiEEEESI_EEEEESK_NSA_INS5_IJNSC_16discard_iteratorINSC_11use_defaultEEESN_EEEEEPS7_SQ_SQ_NSC_11hip_rocprim7__merge17predicate_wrapperIiiNSC_4lessIiEEEEEE10hipError_tPvRmT0_T1_T2_T3_T4_T5_mmT6_P12ihipStream_tbEUlT_E_NS1_11comp_targetILNS1_3genE8ELNS1_11target_archE1030ELNS1_3gpuE2ELNS1_3repE0EEENS1_30default_config_static_selectorELNS0_4arch9wavefront6targetE0EEEvS11_ ; -- Begin function _ZN7rocprim17ROCPRIM_400000_NS6detail17trampoline_kernelINS0_14default_configENS1_21merge_config_selectorINS0_5tupleIJiiEEENS0_10empty_typeEEEZNS1_10merge_implIS3_NS0_12zip_iteratorINS5_IJN6thrust23THRUST_200600_302600_NS6detail15normal_iteratorINSC_10device_ptrIKiEEEESI_EEEEESK_NSA_INS5_IJNSC_16discard_iteratorINSC_11use_defaultEEESN_EEEEEPS7_SQ_SQ_NSC_11hip_rocprim7__merge17predicate_wrapperIiiNSC_4lessIiEEEEEE10hipError_tPvRmT0_T1_T2_T3_T4_T5_mmT6_P12ihipStream_tbEUlT_E_NS1_11comp_targetILNS1_3genE8ELNS1_11target_archE1030ELNS1_3gpuE2ELNS1_3repE0EEENS1_30default_config_static_selectorELNS0_4arch9wavefront6targetE0EEEvS11_
	.globl	_ZN7rocprim17ROCPRIM_400000_NS6detail17trampoline_kernelINS0_14default_configENS1_21merge_config_selectorINS0_5tupleIJiiEEENS0_10empty_typeEEEZNS1_10merge_implIS3_NS0_12zip_iteratorINS5_IJN6thrust23THRUST_200600_302600_NS6detail15normal_iteratorINSC_10device_ptrIKiEEEESI_EEEEESK_NSA_INS5_IJNSC_16discard_iteratorINSC_11use_defaultEEESN_EEEEEPS7_SQ_SQ_NSC_11hip_rocprim7__merge17predicate_wrapperIiiNSC_4lessIiEEEEEE10hipError_tPvRmT0_T1_T2_T3_T4_T5_mmT6_P12ihipStream_tbEUlT_E_NS1_11comp_targetILNS1_3genE8ELNS1_11target_archE1030ELNS1_3gpuE2ELNS1_3repE0EEENS1_30default_config_static_selectorELNS0_4arch9wavefront6targetE0EEEvS11_
	.p2align	8
	.type	_ZN7rocprim17ROCPRIM_400000_NS6detail17trampoline_kernelINS0_14default_configENS1_21merge_config_selectorINS0_5tupleIJiiEEENS0_10empty_typeEEEZNS1_10merge_implIS3_NS0_12zip_iteratorINS5_IJN6thrust23THRUST_200600_302600_NS6detail15normal_iteratorINSC_10device_ptrIKiEEEESI_EEEEESK_NSA_INS5_IJNSC_16discard_iteratorINSC_11use_defaultEEESN_EEEEEPS7_SQ_SQ_NSC_11hip_rocprim7__merge17predicate_wrapperIiiNSC_4lessIiEEEEEE10hipError_tPvRmT0_T1_T2_T3_T4_T5_mmT6_P12ihipStream_tbEUlT_E_NS1_11comp_targetILNS1_3genE8ELNS1_11target_archE1030ELNS1_3gpuE2ELNS1_3repE0EEENS1_30default_config_static_selectorELNS0_4arch9wavefront6targetE0EEEvS11_,@function
_ZN7rocprim17ROCPRIM_400000_NS6detail17trampoline_kernelINS0_14default_configENS1_21merge_config_selectorINS0_5tupleIJiiEEENS0_10empty_typeEEEZNS1_10merge_implIS3_NS0_12zip_iteratorINS5_IJN6thrust23THRUST_200600_302600_NS6detail15normal_iteratorINSC_10device_ptrIKiEEEESI_EEEEESK_NSA_INS5_IJNSC_16discard_iteratorINSC_11use_defaultEEESN_EEEEEPS7_SQ_SQ_NSC_11hip_rocprim7__merge17predicate_wrapperIiiNSC_4lessIiEEEEEE10hipError_tPvRmT0_T1_T2_T3_T4_T5_mmT6_P12ihipStream_tbEUlT_E_NS1_11comp_targetILNS1_3genE8ELNS1_11target_archE1030ELNS1_3gpuE2ELNS1_3repE0EEENS1_30default_config_static_selectorELNS0_4arch9wavefront6targetE0EEEvS11_: ; @_ZN7rocprim17ROCPRIM_400000_NS6detail17trampoline_kernelINS0_14default_configENS1_21merge_config_selectorINS0_5tupleIJiiEEENS0_10empty_typeEEEZNS1_10merge_implIS3_NS0_12zip_iteratorINS5_IJN6thrust23THRUST_200600_302600_NS6detail15normal_iteratorINSC_10device_ptrIKiEEEESI_EEEEESK_NSA_INS5_IJNSC_16discard_iteratorINSC_11use_defaultEEESN_EEEEEPS7_SQ_SQ_NSC_11hip_rocprim7__merge17predicate_wrapperIiiNSC_4lessIiEEEEEE10hipError_tPvRmT0_T1_T2_T3_T4_T5_mmT6_P12ihipStream_tbEUlT_E_NS1_11comp_targetILNS1_3genE8ELNS1_11target_archE1030ELNS1_3gpuE2ELNS1_3repE0EEENS1_30default_config_static_selectorELNS0_4arch9wavefront6targetE0EEEvS11_
; %bb.0:
	.section	.rodata,"a",@progbits
	.p2align	6, 0x0
	.amdhsa_kernel _ZN7rocprim17ROCPRIM_400000_NS6detail17trampoline_kernelINS0_14default_configENS1_21merge_config_selectorINS0_5tupleIJiiEEENS0_10empty_typeEEEZNS1_10merge_implIS3_NS0_12zip_iteratorINS5_IJN6thrust23THRUST_200600_302600_NS6detail15normal_iteratorINSC_10device_ptrIKiEEEESI_EEEEESK_NSA_INS5_IJNSC_16discard_iteratorINSC_11use_defaultEEESN_EEEEEPS7_SQ_SQ_NSC_11hip_rocprim7__merge17predicate_wrapperIiiNSC_4lessIiEEEEEE10hipError_tPvRmT0_T1_T2_T3_T4_T5_mmT6_P12ihipStream_tbEUlT_E_NS1_11comp_targetILNS1_3genE8ELNS1_11target_archE1030ELNS1_3gpuE2ELNS1_3repE0EEENS1_30default_config_static_selectorELNS0_4arch9wavefront6targetE0EEEvS11_
		.amdhsa_group_segment_fixed_size 0
		.amdhsa_private_segment_fixed_size 0
		.amdhsa_kernarg_size 64
		.amdhsa_user_sgpr_count 2
		.amdhsa_user_sgpr_dispatch_ptr 0
		.amdhsa_user_sgpr_queue_ptr 0
		.amdhsa_user_sgpr_kernarg_segment_ptr 1
		.amdhsa_user_sgpr_dispatch_id 0
		.amdhsa_user_sgpr_kernarg_preload_length 0
		.amdhsa_user_sgpr_kernarg_preload_offset 0
		.amdhsa_user_sgpr_private_segment_size 0
		.amdhsa_wavefront_size32 1
		.amdhsa_uses_dynamic_stack 0
		.amdhsa_enable_private_segment 0
		.amdhsa_system_sgpr_workgroup_id_x 1
		.amdhsa_system_sgpr_workgroup_id_y 0
		.amdhsa_system_sgpr_workgroup_id_z 0
		.amdhsa_system_sgpr_workgroup_info 0
		.amdhsa_system_vgpr_workitem_id 0
		.amdhsa_next_free_vgpr 1
		.amdhsa_next_free_sgpr 1
		.amdhsa_named_barrier_count 0
		.amdhsa_reserve_vcc 0
		.amdhsa_float_round_mode_32 0
		.amdhsa_float_round_mode_16_64 0
		.amdhsa_float_denorm_mode_32 3
		.amdhsa_float_denorm_mode_16_64 3
		.amdhsa_fp16_overflow 0
		.amdhsa_memory_ordered 1
		.amdhsa_forward_progress 1
		.amdhsa_inst_pref_size 0
		.amdhsa_round_robin_scheduling 0
		.amdhsa_exception_fp_ieee_invalid_op 0
		.amdhsa_exception_fp_denorm_src 0
		.amdhsa_exception_fp_ieee_div_zero 0
		.amdhsa_exception_fp_ieee_overflow 0
		.amdhsa_exception_fp_ieee_underflow 0
		.amdhsa_exception_fp_ieee_inexact 0
		.amdhsa_exception_int_div_zero 0
	.end_amdhsa_kernel
	.section	.text._ZN7rocprim17ROCPRIM_400000_NS6detail17trampoline_kernelINS0_14default_configENS1_21merge_config_selectorINS0_5tupleIJiiEEENS0_10empty_typeEEEZNS1_10merge_implIS3_NS0_12zip_iteratorINS5_IJN6thrust23THRUST_200600_302600_NS6detail15normal_iteratorINSC_10device_ptrIKiEEEESI_EEEEESK_NSA_INS5_IJNSC_16discard_iteratorINSC_11use_defaultEEESN_EEEEEPS7_SQ_SQ_NSC_11hip_rocprim7__merge17predicate_wrapperIiiNSC_4lessIiEEEEEE10hipError_tPvRmT0_T1_T2_T3_T4_T5_mmT6_P12ihipStream_tbEUlT_E_NS1_11comp_targetILNS1_3genE8ELNS1_11target_archE1030ELNS1_3gpuE2ELNS1_3repE0EEENS1_30default_config_static_selectorELNS0_4arch9wavefront6targetE0EEEvS11_,"axG",@progbits,_ZN7rocprim17ROCPRIM_400000_NS6detail17trampoline_kernelINS0_14default_configENS1_21merge_config_selectorINS0_5tupleIJiiEEENS0_10empty_typeEEEZNS1_10merge_implIS3_NS0_12zip_iteratorINS5_IJN6thrust23THRUST_200600_302600_NS6detail15normal_iteratorINSC_10device_ptrIKiEEEESI_EEEEESK_NSA_INS5_IJNSC_16discard_iteratorINSC_11use_defaultEEESN_EEEEEPS7_SQ_SQ_NSC_11hip_rocprim7__merge17predicate_wrapperIiiNSC_4lessIiEEEEEE10hipError_tPvRmT0_T1_T2_T3_T4_T5_mmT6_P12ihipStream_tbEUlT_E_NS1_11comp_targetILNS1_3genE8ELNS1_11target_archE1030ELNS1_3gpuE2ELNS1_3repE0EEENS1_30default_config_static_selectorELNS0_4arch9wavefront6targetE0EEEvS11_,comdat
.Lfunc_end595:
	.size	_ZN7rocprim17ROCPRIM_400000_NS6detail17trampoline_kernelINS0_14default_configENS1_21merge_config_selectorINS0_5tupleIJiiEEENS0_10empty_typeEEEZNS1_10merge_implIS3_NS0_12zip_iteratorINS5_IJN6thrust23THRUST_200600_302600_NS6detail15normal_iteratorINSC_10device_ptrIKiEEEESI_EEEEESK_NSA_INS5_IJNSC_16discard_iteratorINSC_11use_defaultEEESN_EEEEEPS7_SQ_SQ_NSC_11hip_rocprim7__merge17predicate_wrapperIiiNSC_4lessIiEEEEEE10hipError_tPvRmT0_T1_T2_T3_T4_T5_mmT6_P12ihipStream_tbEUlT_E_NS1_11comp_targetILNS1_3genE8ELNS1_11target_archE1030ELNS1_3gpuE2ELNS1_3repE0EEENS1_30default_config_static_selectorELNS0_4arch9wavefront6targetE0EEEvS11_, .Lfunc_end595-_ZN7rocprim17ROCPRIM_400000_NS6detail17trampoline_kernelINS0_14default_configENS1_21merge_config_selectorINS0_5tupleIJiiEEENS0_10empty_typeEEEZNS1_10merge_implIS3_NS0_12zip_iteratorINS5_IJN6thrust23THRUST_200600_302600_NS6detail15normal_iteratorINSC_10device_ptrIKiEEEESI_EEEEESK_NSA_INS5_IJNSC_16discard_iteratorINSC_11use_defaultEEESN_EEEEEPS7_SQ_SQ_NSC_11hip_rocprim7__merge17predicate_wrapperIiiNSC_4lessIiEEEEEE10hipError_tPvRmT0_T1_T2_T3_T4_T5_mmT6_P12ihipStream_tbEUlT_E_NS1_11comp_targetILNS1_3genE8ELNS1_11target_archE1030ELNS1_3gpuE2ELNS1_3repE0EEENS1_30default_config_static_selectorELNS0_4arch9wavefront6targetE0EEEvS11_
                                        ; -- End function
	.set _ZN7rocprim17ROCPRIM_400000_NS6detail17trampoline_kernelINS0_14default_configENS1_21merge_config_selectorINS0_5tupleIJiiEEENS0_10empty_typeEEEZNS1_10merge_implIS3_NS0_12zip_iteratorINS5_IJN6thrust23THRUST_200600_302600_NS6detail15normal_iteratorINSC_10device_ptrIKiEEEESI_EEEEESK_NSA_INS5_IJNSC_16discard_iteratorINSC_11use_defaultEEESN_EEEEEPS7_SQ_SQ_NSC_11hip_rocprim7__merge17predicate_wrapperIiiNSC_4lessIiEEEEEE10hipError_tPvRmT0_T1_T2_T3_T4_T5_mmT6_P12ihipStream_tbEUlT_E_NS1_11comp_targetILNS1_3genE8ELNS1_11target_archE1030ELNS1_3gpuE2ELNS1_3repE0EEENS1_30default_config_static_selectorELNS0_4arch9wavefront6targetE0EEEvS11_.num_vgpr, 0
	.set _ZN7rocprim17ROCPRIM_400000_NS6detail17trampoline_kernelINS0_14default_configENS1_21merge_config_selectorINS0_5tupleIJiiEEENS0_10empty_typeEEEZNS1_10merge_implIS3_NS0_12zip_iteratorINS5_IJN6thrust23THRUST_200600_302600_NS6detail15normal_iteratorINSC_10device_ptrIKiEEEESI_EEEEESK_NSA_INS5_IJNSC_16discard_iteratorINSC_11use_defaultEEESN_EEEEEPS7_SQ_SQ_NSC_11hip_rocprim7__merge17predicate_wrapperIiiNSC_4lessIiEEEEEE10hipError_tPvRmT0_T1_T2_T3_T4_T5_mmT6_P12ihipStream_tbEUlT_E_NS1_11comp_targetILNS1_3genE8ELNS1_11target_archE1030ELNS1_3gpuE2ELNS1_3repE0EEENS1_30default_config_static_selectorELNS0_4arch9wavefront6targetE0EEEvS11_.num_agpr, 0
	.set _ZN7rocprim17ROCPRIM_400000_NS6detail17trampoline_kernelINS0_14default_configENS1_21merge_config_selectorINS0_5tupleIJiiEEENS0_10empty_typeEEEZNS1_10merge_implIS3_NS0_12zip_iteratorINS5_IJN6thrust23THRUST_200600_302600_NS6detail15normal_iteratorINSC_10device_ptrIKiEEEESI_EEEEESK_NSA_INS5_IJNSC_16discard_iteratorINSC_11use_defaultEEESN_EEEEEPS7_SQ_SQ_NSC_11hip_rocprim7__merge17predicate_wrapperIiiNSC_4lessIiEEEEEE10hipError_tPvRmT0_T1_T2_T3_T4_T5_mmT6_P12ihipStream_tbEUlT_E_NS1_11comp_targetILNS1_3genE8ELNS1_11target_archE1030ELNS1_3gpuE2ELNS1_3repE0EEENS1_30default_config_static_selectorELNS0_4arch9wavefront6targetE0EEEvS11_.numbered_sgpr, 0
	.set _ZN7rocprim17ROCPRIM_400000_NS6detail17trampoline_kernelINS0_14default_configENS1_21merge_config_selectorINS0_5tupleIJiiEEENS0_10empty_typeEEEZNS1_10merge_implIS3_NS0_12zip_iteratorINS5_IJN6thrust23THRUST_200600_302600_NS6detail15normal_iteratorINSC_10device_ptrIKiEEEESI_EEEEESK_NSA_INS5_IJNSC_16discard_iteratorINSC_11use_defaultEEESN_EEEEEPS7_SQ_SQ_NSC_11hip_rocprim7__merge17predicate_wrapperIiiNSC_4lessIiEEEEEE10hipError_tPvRmT0_T1_T2_T3_T4_T5_mmT6_P12ihipStream_tbEUlT_E_NS1_11comp_targetILNS1_3genE8ELNS1_11target_archE1030ELNS1_3gpuE2ELNS1_3repE0EEENS1_30default_config_static_selectorELNS0_4arch9wavefront6targetE0EEEvS11_.num_named_barrier, 0
	.set _ZN7rocprim17ROCPRIM_400000_NS6detail17trampoline_kernelINS0_14default_configENS1_21merge_config_selectorINS0_5tupleIJiiEEENS0_10empty_typeEEEZNS1_10merge_implIS3_NS0_12zip_iteratorINS5_IJN6thrust23THRUST_200600_302600_NS6detail15normal_iteratorINSC_10device_ptrIKiEEEESI_EEEEESK_NSA_INS5_IJNSC_16discard_iteratorINSC_11use_defaultEEESN_EEEEEPS7_SQ_SQ_NSC_11hip_rocprim7__merge17predicate_wrapperIiiNSC_4lessIiEEEEEE10hipError_tPvRmT0_T1_T2_T3_T4_T5_mmT6_P12ihipStream_tbEUlT_E_NS1_11comp_targetILNS1_3genE8ELNS1_11target_archE1030ELNS1_3gpuE2ELNS1_3repE0EEENS1_30default_config_static_selectorELNS0_4arch9wavefront6targetE0EEEvS11_.private_seg_size, 0
	.set _ZN7rocprim17ROCPRIM_400000_NS6detail17trampoline_kernelINS0_14default_configENS1_21merge_config_selectorINS0_5tupleIJiiEEENS0_10empty_typeEEEZNS1_10merge_implIS3_NS0_12zip_iteratorINS5_IJN6thrust23THRUST_200600_302600_NS6detail15normal_iteratorINSC_10device_ptrIKiEEEESI_EEEEESK_NSA_INS5_IJNSC_16discard_iteratorINSC_11use_defaultEEESN_EEEEEPS7_SQ_SQ_NSC_11hip_rocprim7__merge17predicate_wrapperIiiNSC_4lessIiEEEEEE10hipError_tPvRmT0_T1_T2_T3_T4_T5_mmT6_P12ihipStream_tbEUlT_E_NS1_11comp_targetILNS1_3genE8ELNS1_11target_archE1030ELNS1_3gpuE2ELNS1_3repE0EEENS1_30default_config_static_selectorELNS0_4arch9wavefront6targetE0EEEvS11_.uses_vcc, 0
	.set _ZN7rocprim17ROCPRIM_400000_NS6detail17trampoline_kernelINS0_14default_configENS1_21merge_config_selectorINS0_5tupleIJiiEEENS0_10empty_typeEEEZNS1_10merge_implIS3_NS0_12zip_iteratorINS5_IJN6thrust23THRUST_200600_302600_NS6detail15normal_iteratorINSC_10device_ptrIKiEEEESI_EEEEESK_NSA_INS5_IJNSC_16discard_iteratorINSC_11use_defaultEEESN_EEEEEPS7_SQ_SQ_NSC_11hip_rocprim7__merge17predicate_wrapperIiiNSC_4lessIiEEEEEE10hipError_tPvRmT0_T1_T2_T3_T4_T5_mmT6_P12ihipStream_tbEUlT_E_NS1_11comp_targetILNS1_3genE8ELNS1_11target_archE1030ELNS1_3gpuE2ELNS1_3repE0EEENS1_30default_config_static_selectorELNS0_4arch9wavefront6targetE0EEEvS11_.uses_flat_scratch, 0
	.set _ZN7rocprim17ROCPRIM_400000_NS6detail17trampoline_kernelINS0_14default_configENS1_21merge_config_selectorINS0_5tupleIJiiEEENS0_10empty_typeEEEZNS1_10merge_implIS3_NS0_12zip_iteratorINS5_IJN6thrust23THRUST_200600_302600_NS6detail15normal_iteratorINSC_10device_ptrIKiEEEESI_EEEEESK_NSA_INS5_IJNSC_16discard_iteratorINSC_11use_defaultEEESN_EEEEEPS7_SQ_SQ_NSC_11hip_rocprim7__merge17predicate_wrapperIiiNSC_4lessIiEEEEEE10hipError_tPvRmT0_T1_T2_T3_T4_T5_mmT6_P12ihipStream_tbEUlT_E_NS1_11comp_targetILNS1_3genE8ELNS1_11target_archE1030ELNS1_3gpuE2ELNS1_3repE0EEENS1_30default_config_static_selectorELNS0_4arch9wavefront6targetE0EEEvS11_.has_dyn_sized_stack, 0
	.set _ZN7rocprim17ROCPRIM_400000_NS6detail17trampoline_kernelINS0_14default_configENS1_21merge_config_selectorINS0_5tupleIJiiEEENS0_10empty_typeEEEZNS1_10merge_implIS3_NS0_12zip_iteratorINS5_IJN6thrust23THRUST_200600_302600_NS6detail15normal_iteratorINSC_10device_ptrIKiEEEESI_EEEEESK_NSA_INS5_IJNSC_16discard_iteratorINSC_11use_defaultEEESN_EEEEEPS7_SQ_SQ_NSC_11hip_rocprim7__merge17predicate_wrapperIiiNSC_4lessIiEEEEEE10hipError_tPvRmT0_T1_T2_T3_T4_T5_mmT6_P12ihipStream_tbEUlT_E_NS1_11comp_targetILNS1_3genE8ELNS1_11target_archE1030ELNS1_3gpuE2ELNS1_3repE0EEENS1_30default_config_static_selectorELNS0_4arch9wavefront6targetE0EEEvS11_.has_recursion, 0
	.set _ZN7rocprim17ROCPRIM_400000_NS6detail17trampoline_kernelINS0_14default_configENS1_21merge_config_selectorINS0_5tupleIJiiEEENS0_10empty_typeEEEZNS1_10merge_implIS3_NS0_12zip_iteratorINS5_IJN6thrust23THRUST_200600_302600_NS6detail15normal_iteratorINSC_10device_ptrIKiEEEESI_EEEEESK_NSA_INS5_IJNSC_16discard_iteratorINSC_11use_defaultEEESN_EEEEEPS7_SQ_SQ_NSC_11hip_rocprim7__merge17predicate_wrapperIiiNSC_4lessIiEEEEEE10hipError_tPvRmT0_T1_T2_T3_T4_T5_mmT6_P12ihipStream_tbEUlT_E_NS1_11comp_targetILNS1_3genE8ELNS1_11target_archE1030ELNS1_3gpuE2ELNS1_3repE0EEENS1_30default_config_static_selectorELNS0_4arch9wavefront6targetE0EEEvS11_.has_indirect_call, 0
	.section	.AMDGPU.csdata,"",@progbits
; Kernel info:
; codeLenInByte = 0
; TotalNumSgprs: 0
; NumVgprs: 0
; ScratchSize: 0
; MemoryBound: 0
; FloatMode: 240
; IeeeMode: 1
; LDSByteSize: 0 bytes/workgroup (compile time only)
; SGPRBlocks: 0
; VGPRBlocks: 0
; NumSGPRsForWavesPerEU: 1
; NumVGPRsForWavesPerEU: 1
; NamedBarCnt: 0
; Occupancy: 16
; WaveLimiterHint : 0
; COMPUTE_PGM_RSRC2:SCRATCH_EN: 0
; COMPUTE_PGM_RSRC2:USER_SGPR: 2
; COMPUTE_PGM_RSRC2:TRAP_HANDLER: 0
; COMPUTE_PGM_RSRC2:TGID_X_EN: 1
; COMPUTE_PGM_RSRC2:TGID_Y_EN: 0
; COMPUTE_PGM_RSRC2:TGID_Z_EN: 0
; COMPUTE_PGM_RSRC2:TIDIG_COMP_CNT: 0
	.section	.text._ZN7rocprim17ROCPRIM_400000_NS6detail17trampoline_kernelINS0_14default_configENS1_21merge_config_selectorINS0_5tupleIJiiEEENS0_10empty_typeEEEZNS1_10merge_implIS3_NS0_12zip_iteratorINS5_IJN6thrust23THRUST_200600_302600_NS6detail15normal_iteratorINSC_10device_ptrIKiEEEESI_EEEEESK_NSA_INS5_IJNSC_16discard_iteratorINSC_11use_defaultEEESN_EEEEEPS7_SQ_SQ_NSC_11hip_rocprim7__merge17predicate_wrapperIiiNSC_4lessIiEEEEEE10hipError_tPvRmT0_T1_T2_T3_T4_T5_mmT6_P12ihipStream_tbEUlT_E0_NS1_11comp_targetILNS1_3genE0ELNS1_11target_archE4294967295ELNS1_3gpuE0ELNS1_3repE0EEENS1_30default_config_static_selectorELNS0_4arch9wavefront6targetE0EEEvS11_,"axG",@progbits,_ZN7rocprim17ROCPRIM_400000_NS6detail17trampoline_kernelINS0_14default_configENS1_21merge_config_selectorINS0_5tupleIJiiEEENS0_10empty_typeEEEZNS1_10merge_implIS3_NS0_12zip_iteratorINS5_IJN6thrust23THRUST_200600_302600_NS6detail15normal_iteratorINSC_10device_ptrIKiEEEESI_EEEEESK_NSA_INS5_IJNSC_16discard_iteratorINSC_11use_defaultEEESN_EEEEEPS7_SQ_SQ_NSC_11hip_rocprim7__merge17predicate_wrapperIiiNSC_4lessIiEEEEEE10hipError_tPvRmT0_T1_T2_T3_T4_T5_mmT6_P12ihipStream_tbEUlT_E0_NS1_11comp_targetILNS1_3genE0ELNS1_11target_archE4294967295ELNS1_3gpuE0ELNS1_3repE0EEENS1_30default_config_static_selectorELNS0_4arch9wavefront6targetE0EEEvS11_,comdat
	.protected	_ZN7rocprim17ROCPRIM_400000_NS6detail17trampoline_kernelINS0_14default_configENS1_21merge_config_selectorINS0_5tupleIJiiEEENS0_10empty_typeEEEZNS1_10merge_implIS3_NS0_12zip_iteratorINS5_IJN6thrust23THRUST_200600_302600_NS6detail15normal_iteratorINSC_10device_ptrIKiEEEESI_EEEEESK_NSA_INS5_IJNSC_16discard_iteratorINSC_11use_defaultEEESN_EEEEEPS7_SQ_SQ_NSC_11hip_rocprim7__merge17predicate_wrapperIiiNSC_4lessIiEEEEEE10hipError_tPvRmT0_T1_T2_T3_T4_T5_mmT6_P12ihipStream_tbEUlT_E0_NS1_11comp_targetILNS1_3genE0ELNS1_11target_archE4294967295ELNS1_3gpuE0ELNS1_3repE0EEENS1_30default_config_static_selectorELNS0_4arch9wavefront6targetE0EEEvS11_ ; -- Begin function _ZN7rocprim17ROCPRIM_400000_NS6detail17trampoline_kernelINS0_14default_configENS1_21merge_config_selectorINS0_5tupleIJiiEEENS0_10empty_typeEEEZNS1_10merge_implIS3_NS0_12zip_iteratorINS5_IJN6thrust23THRUST_200600_302600_NS6detail15normal_iteratorINSC_10device_ptrIKiEEEESI_EEEEESK_NSA_INS5_IJNSC_16discard_iteratorINSC_11use_defaultEEESN_EEEEEPS7_SQ_SQ_NSC_11hip_rocprim7__merge17predicate_wrapperIiiNSC_4lessIiEEEEEE10hipError_tPvRmT0_T1_T2_T3_T4_T5_mmT6_P12ihipStream_tbEUlT_E0_NS1_11comp_targetILNS1_3genE0ELNS1_11target_archE4294967295ELNS1_3gpuE0ELNS1_3repE0EEENS1_30default_config_static_selectorELNS0_4arch9wavefront6targetE0EEEvS11_
	.globl	_ZN7rocprim17ROCPRIM_400000_NS6detail17trampoline_kernelINS0_14default_configENS1_21merge_config_selectorINS0_5tupleIJiiEEENS0_10empty_typeEEEZNS1_10merge_implIS3_NS0_12zip_iteratorINS5_IJN6thrust23THRUST_200600_302600_NS6detail15normal_iteratorINSC_10device_ptrIKiEEEESI_EEEEESK_NSA_INS5_IJNSC_16discard_iteratorINSC_11use_defaultEEESN_EEEEEPS7_SQ_SQ_NSC_11hip_rocprim7__merge17predicate_wrapperIiiNSC_4lessIiEEEEEE10hipError_tPvRmT0_T1_T2_T3_T4_T5_mmT6_P12ihipStream_tbEUlT_E0_NS1_11comp_targetILNS1_3genE0ELNS1_11target_archE4294967295ELNS1_3gpuE0ELNS1_3repE0EEENS1_30default_config_static_selectorELNS0_4arch9wavefront6targetE0EEEvS11_
	.p2align	8
	.type	_ZN7rocprim17ROCPRIM_400000_NS6detail17trampoline_kernelINS0_14default_configENS1_21merge_config_selectorINS0_5tupleIJiiEEENS0_10empty_typeEEEZNS1_10merge_implIS3_NS0_12zip_iteratorINS5_IJN6thrust23THRUST_200600_302600_NS6detail15normal_iteratorINSC_10device_ptrIKiEEEESI_EEEEESK_NSA_INS5_IJNSC_16discard_iteratorINSC_11use_defaultEEESN_EEEEEPS7_SQ_SQ_NSC_11hip_rocprim7__merge17predicate_wrapperIiiNSC_4lessIiEEEEEE10hipError_tPvRmT0_T1_T2_T3_T4_T5_mmT6_P12ihipStream_tbEUlT_E0_NS1_11comp_targetILNS1_3genE0ELNS1_11target_archE4294967295ELNS1_3gpuE0ELNS1_3repE0EEENS1_30default_config_static_selectorELNS0_4arch9wavefront6targetE0EEEvS11_,@function
_ZN7rocprim17ROCPRIM_400000_NS6detail17trampoline_kernelINS0_14default_configENS1_21merge_config_selectorINS0_5tupleIJiiEEENS0_10empty_typeEEEZNS1_10merge_implIS3_NS0_12zip_iteratorINS5_IJN6thrust23THRUST_200600_302600_NS6detail15normal_iteratorINSC_10device_ptrIKiEEEESI_EEEEESK_NSA_INS5_IJNSC_16discard_iteratorINSC_11use_defaultEEESN_EEEEEPS7_SQ_SQ_NSC_11hip_rocprim7__merge17predicate_wrapperIiiNSC_4lessIiEEEEEE10hipError_tPvRmT0_T1_T2_T3_T4_T5_mmT6_P12ihipStream_tbEUlT_E0_NS1_11comp_targetILNS1_3genE0ELNS1_11target_archE4294967295ELNS1_3gpuE0ELNS1_3repE0EEENS1_30default_config_static_selectorELNS0_4arch9wavefront6targetE0EEEvS11_: ; @_ZN7rocprim17ROCPRIM_400000_NS6detail17trampoline_kernelINS0_14default_configENS1_21merge_config_selectorINS0_5tupleIJiiEEENS0_10empty_typeEEEZNS1_10merge_implIS3_NS0_12zip_iteratorINS5_IJN6thrust23THRUST_200600_302600_NS6detail15normal_iteratorINSC_10device_ptrIKiEEEESI_EEEEESK_NSA_INS5_IJNSC_16discard_iteratorINSC_11use_defaultEEESN_EEEEEPS7_SQ_SQ_NSC_11hip_rocprim7__merge17predicate_wrapperIiiNSC_4lessIiEEEEEE10hipError_tPvRmT0_T1_T2_T3_T4_T5_mmT6_P12ihipStream_tbEUlT_E0_NS1_11comp_targetILNS1_3genE0ELNS1_11target_archE4294967295ELNS1_3gpuE0ELNS1_3repE0EEENS1_30default_config_static_selectorELNS0_4arch9wavefront6targetE0EEEvS11_
; %bb.0:
	s_clause 0x1
	s_load_b128 s[12:15], s[0:1], 0x68
	s_load_b256 s[4:11], s[0:1], 0x8
	s_bfe_u32 s2, ttmp6, 0x4000c
	s_and_b32 s3, ttmp6, 15
	s_add_co_i32 s2, s2, 1
	s_wait_kmcnt 0x0
	s_getreg_b32 s13, hwreg(HW_REG_IB_STS2, 6, 4)
	s_mul_i32 s2, ttmp9, s2
	v_mov_b32_e32 v1, 0
	s_add_co_i32 s3, s3, s2
	s_cmp_eq_u32 s13, 0
	s_cselect_b32 s2, ttmp9, s3
	s_delay_alu instid0(SALU_CYCLE_1) | instskip(SKIP_3) | instid1(SALU_CYCLE_1)
	s_mul_i32 s17, s2, 0x700
	s_add_co_i32 s16, s14, s12
	s_add_co_i32 s12, s2, 1
	;; [unrolled: 1-line block ×3, first 2 shown]
	s_lshr_b32 s3, s3, 8
	s_delay_alu instid0(SALU_CYCLE_1) | instskip(NEXT) | instid1(SALU_CYCLE_1)
	s_mul_hi_u32 s3, s3, 0x24924925
	s_min_u32 s13, s2, s3
	s_min_u32 s3, s12, s3
	s_clause 0x1
	s_load_b32 s12, s[4:5], s13 offset:0x0 scale_offset
	s_load_b32 s20, s[4:5], s3 offset:0x0 scale_offset
	s_load_b64 s[18:19], s[0:1], 0x28
	s_wait_xcnt 0x0
	s_mov_b32 s13, 0
	s_add_co_i32 s0, s17, 0x700
	s_mov_b32 s1, s13
	s_min_u32 s21, s16, s0
	s_wait_kmcnt 0x0
	s_sub_co_i32 s0, s17, s12
	s_lshl_b64 s[14:15], s[12:13], 2
	s_lshl_b64 s[4:5], s[0:1], 2
	s_add_co_i32 s0, s0, s20
	s_sub_co_i32 s12, s20, s12
	s_sub_co_i32 s0, s21, s0
	s_add_nc_u64 s[2:3], s[10:11], s[4:5]
	s_add_nc_u64 s[4:5], s[18:19], s[4:5]
	;; [unrolled: 1-line block ×3, first 2 shown]
	s_mov_b32 s1, exec_lo
	v_cmpx_le_u32_e64 s12, v0
	s_xor_b32 s1, exec_lo, s1
	s_cbranch_execz .LBB596_4
; %bb.1:
	s_mov_b32 s18, exec_lo
	v_cmpx_gt_u64_e64 s[10:11], v[0:1]
	s_cbranch_execz .LBB596_3
; %bb.2:
	v_subrev_nc_u32_e32 v4, s12, v0
	s_clause 0x1
	global_load_b32 v2, v4, s[2:3] scale_offset
	global_load_b32 v3, v4, s[4:5] scale_offset
	s_wait_xcnt 0x0
	v_lshlrev_b32_e32 v4, 3, v0
	s_wait_loadcnt 0x0
	ds_store_b64 v4, v[2:3]
.LBB596_3:
	s_or_b32 exec_lo, exec_lo, s18
.LBB596_4:
	s_or_saveexec_b32 s1, s1
	v_lshlrev_b32_e32 v4, 3, v0
	s_add_nc_u64 s[6:7], s[6:7], s[14:15]
	s_add_nc_u64 s[8:9], s[8:9], s[14:15]
	s_xor_b32 exec_lo, exec_lo, s1
	s_cbranch_execz .LBB596_6
; %bb.5:
	s_clause 0x1
	global_load_b32 v2, v0, s[6:7] scale_offset
	global_load_b32 v3, v0, s[8:9] scale_offset
	s_wait_loadcnt 0x0
	ds_store_b64 v4, v[2:3]
.LBB596_6:
	s_or_b32 exec_lo, exec_lo, s1
	v_or_b32_e32 v2, 0x100, v0
	s_mov_b32 s1, exec_lo
	s_delay_alu instid0(VALU_DEP_1)
	v_cmpx_le_u32_e64 s12, v2
	s_xor_b32 s1, exec_lo, s1
	s_cbranch_execz .LBB596_10
; %bb.7:
	v_mov_b32_e32 v3, 0
	s_mov_b32 s14, exec_lo
	s_delay_alu instid0(VALU_DEP_1)
	v_cmpx_gt_u64_e64 s[10:11], v[2:3]
	s_cbranch_execz .LBB596_9
; %bb.8:
	v_sub_nc_u64_e64 v[2:3], v[0:1], s[12:13]
	s_delay_alu instid0(VALU_DEP_1) | instskip(NEXT) | instid1(VALU_DEP_1)
	v_lshlrev_b64_e32 v[2:3], 2, v[2:3]
	v_add_nc_u64_e32 v[6:7], s[2:3], v[2:3]
	v_add_nc_u64_e32 v[2:3], s[4:5], v[2:3]
	global_load_b32 v8, v[6:7], off offset:1024
	global_load_b32 v9, v[2:3], off offset:1024
	s_wait_loadcnt 0x0
	ds_store_b64 v4, v[8:9] offset:2048
.LBB596_9:
	s_or_b32 exec_lo, exec_lo, s14
.LBB596_10:
	s_and_not1_saveexec_b32 s1, s1
	s_cbranch_execz .LBB596_12
; %bb.11:
	s_clause 0x1
	global_load_b32 v2, v0, s[6:7] offset:1024 scale_offset
	global_load_b32 v3, v0, s[8:9] offset:1024 scale_offset
	s_wait_loadcnt 0x0
	ds_store_b64 v4, v[2:3] offset:2048
.LBB596_12:
	s_or_b32 exec_lo, exec_lo, s1
	v_or_b32_e32 v2, 0x200, v0
	s_mov_b32 s1, exec_lo
	s_delay_alu instid0(VALU_DEP_1)
	v_cmpx_le_u32_e64 s12, v2
	s_xor_b32 s1, exec_lo, s1
	s_cbranch_execz .LBB596_16
; %bb.13:
	v_mov_b32_e32 v3, 0
	s_mov_b32 s14, exec_lo
	s_delay_alu instid0(VALU_DEP_1)
	v_cmpx_gt_u64_e64 s[10:11], v[2:3]
	s_cbranch_execz .LBB596_15
; %bb.14:
	v_sub_nc_u64_e64 v[2:3], v[0:1], s[12:13]
	s_delay_alu instid0(VALU_DEP_1) | instskip(NEXT) | instid1(VALU_DEP_1)
	v_lshlrev_b64_e32 v[2:3], 2, v[2:3]
	v_add_nc_u64_e32 v[6:7], s[2:3], v[2:3]
	v_add_nc_u64_e32 v[2:3], s[4:5], v[2:3]
	global_load_b32 v8, v[6:7], off offset:2048
	global_load_b32 v9, v[2:3], off offset:2048
	s_wait_loadcnt 0x0
	ds_store_b64 v4, v[8:9] offset:4096
.LBB596_15:
	s_or_b32 exec_lo, exec_lo, s14
.LBB596_16:
	s_and_not1_saveexec_b32 s1, s1
	s_cbranch_execz .LBB596_18
; %bb.17:
	s_clause 0x1
	global_load_b32 v2, v0, s[6:7] offset:2048 scale_offset
	global_load_b32 v3, v0, s[8:9] offset:2048 scale_offset
	s_wait_loadcnt 0x0
	ds_store_b64 v4, v[2:3] offset:4096
.LBB596_18:
	;; [unrolled: 35-line block ×5, first 2 shown]
	s_or_b32 exec_lo, exec_lo, s1
	v_or_b32_e32 v2, 0x600, v0
	s_mov_b32 s1, exec_lo
	s_delay_alu instid0(VALU_DEP_1)
	v_cmpx_le_u32_e64 s12, v2
	s_xor_b32 s1, exec_lo, s1
	s_cbranch_execz .LBB596_40
; %bb.37:
	v_mov_b32_e32 v3, 0
	s_delay_alu instid0(VALU_DEP_1)
	v_cmp_gt_u64_e32 vcc_lo, s[10:11], v[2:3]
	s_and_saveexec_b32 s10, vcc_lo
	s_cbranch_execz .LBB596_39
; %bb.38:
	v_sub_nc_u64_e64 v[2:3], v[0:1], s[12:13]
	s_delay_alu instid0(VALU_DEP_1) | instskip(NEXT) | instid1(VALU_DEP_1)
	v_lshlrev_b64_e32 v[2:3], 2, v[2:3]
	v_add_nc_u64_e32 v[6:7], s[2:3], v[2:3]
	v_add_nc_u64_e32 v[2:3], s[4:5], v[2:3]
	global_load_b32 v8, v[6:7], off offset:6144
	global_load_b32 v9, v[2:3], off offset:6144
	s_wait_loadcnt 0x0
	ds_store_b64 v4, v[8:9] offset:12288
.LBB596_39:
	s_or_b32 exec_lo, exec_lo, s10
                                        ; implicit-def: $vgpr4
.LBB596_40:
	s_and_not1_saveexec_b32 s1, s1
	s_cbranch_execz .LBB596_42
; %bb.41:
	s_clause 0x1
	global_load_b32 v2, v0, s[6:7] offset:6144 scale_offset
	global_load_b32 v3, v0, s[8:9] offset:6144 scale_offset
	s_wait_loadcnt 0x0
	ds_store_b64 v4, v[2:3] offset:12288
.LBB596_42:
	s_or_b32 exec_lo, exec_lo, s1
	v_mul_u32_u24_e32 v0, 7, v0
	s_mov_b32 s1, exec_lo
	s_wait_dscnt 0x0
	s_barrier_signal -1
	s_barrier_wait -1
	v_sub_nc_u32_e64 v15, v0, s0 clamp
	v_min_u32_e32 v1, s12, v0
	v_lshlrev_b32_e32 v14, 3, v0
	s_delay_alu instid0(VALU_DEP_2)
	v_cmpx_lt_u32_e64 v15, v1
	s_cbranch_execz .LBB596_46
; %bb.43:
	s_delay_alu instid0(VALU_DEP_2)
	v_lshl_add_u32 v2, s12, 3, v14
	s_mov_b32 s2, 0
.LBB596_44:                             ; =>This Inner Loop Header: Depth=1
	v_add_nc_u32_e32 v3, v1, v15
	s_delay_alu instid0(VALU_DEP_1) | instskip(NEXT) | instid1(VALU_DEP_1)
	v_lshrrev_b32_e32 v3, 1, v3
	v_not_b32_e32 v4, v3
	v_dual_lshlrev_b32 v5, 3, v3 :: v_dual_add_nc_u32 v6, 1, v3
	s_delay_alu instid0(VALU_DEP_2)
	v_lshl_add_u32 v4, v4, 3, v2
	ds_load_b32 v5, v5
	ds_load_b32 v4, v4
	s_wait_dscnt 0x0
	v_cmp_lt_i32_e32 vcc_lo, v4, v5
	v_cndmask_b32_e32 v1, v1, v3, vcc_lo
	v_cndmask_b32_e32 v15, v6, v15, vcc_lo
	s_delay_alu instid0(VALU_DEP_1) | instskip(SKIP_1) | instid1(SALU_CYCLE_1)
	v_cmp_ge_u32_e32 vcc_lo, v15, v1
	s_or_b32 s2, vcc_lo, s2
	s_and_not1_b32 exec_lo, exec_lo, s2
	s_cbranch_execnz .LBB596_44
; %bb.45:
	s_or_b32 exec_lo, exec_lo, s2
.LBB596_46:
	s_delay_alu instid0(SALU_CYCLE_1)
	s_or_b32 exec_lo, exec_lo, s1
	v_add_nc_u32_e32 v4, s12, v0
	s_add_co_i32 s8, s0, s12
	v_cmp_ge_u32_e32 vcc_lo, s12, v15
	v_mov_b64_e32 v[0:1], 0
	v_mov_b64_e32 v[2:3], 0
	v_sub_nc_u32_e32 v16, v4, v15
	v_mov_b64_e32 v[4:5], 0
	v_mov_b64_e32 v[8:9], 0
	;; [unrolled: 1-line block ×4, first 2 shown]
	v_cmp_ge_u32_e64 s0, s8, v16
	v_mov_b64_e32 v[12:13], 0
	s_or_b32 s0, vcc_lo, s0
	s_delay_alu instid0(SALU_CYCLE_1)
	s_and_saveexec_b32 s7, s0
	s_cbranch_execz .LBB596_52
; %bb.47:
	v_cmp_gt_u32_e32 vcc_lo, s12, v15
	v_dual_mov_b32 v0, 0 :: v_dual_mov_b32 v2, 0
	v_mov_b32_e32 v3, 0
	s_and_saveexec_b32 s0, vcc_lo
; %bb.48:
	v_lshlrev_b32_e32 v1, 3, v15
	ds_load_b64 v[2:3], v1
; %bb.49:
	s_or_b32 exec_lo, exec_lo, s0
	v_cmp_le_u32_e64 s0, s8, v16
	v_mov_b32_e32 v1, 0
	s_mov_b32 s2, exec_lo
	v_cmpx_gt_u32_e64 s8, v16
; %bb.50:
	v_lshlrev_b32_e32 v0, 3, v16
	ds_load_b64 v[0:1], v0
; %bb.51:
	s_or_b32 exec_lo, exec_lo, s2
	s_wait_dscnt 0x0
	v_cmp_ge_i32_e64 s1, v0, v2
	s_and_b32 s1, vcc_lo, s1
	s_delay_alu instid0(SALU_CYCLE_1) | instskip(SKIP_1) | instid1(VALU_DEP_1)
	s_or_b32 vcc_lo, s0, s1
	v_dual_mov_b32 v17, s12 :: v_dual_cndmask_b32 v4, v16, v15
	v_dual_cndmask_b32 v5, s8, v17 :: v_dual_add_nc_u32 v6, 1, v4
	s_delay_alu instid0(VALU_DEP_1) | instskip(SKIP_1) | instid1(VALU_DEP_2)
	v_add_min_u32_e64 v4, v5, -1, v6
	v_dual_cndmask_b32 v8, v15, v6 :: v_dual_cndmask_b32 v9, v6, v16
	v_lshlrev_b32_e32 v4, 3, v4
	s_delay_alu instid0(VALU_DEP_2) | instskip(NEXT) | instid1(VALU_DEP_3)
	v_cmp_gt_u32_e64 s0, s12, v8
	v_cmp_le_u32_e64 s2, s8, v9
	ds_load_b64 v[4:5], v4
	s_wait_dscnt 0x0
	v_cndmask_b32_e32 v15, v4, v0, vcc_lo
	v_dual_cndmask_b32 v4, v2, v4 :: v_dual_cndmask_b32 v25, v5, v1
	v_dual_cndmask_b32 v5, v3, v5, vcc_lo :: v_dual_cndmask_b32 v1, v1, v3, vcc_lo
	s_delay_alu instid0(VALU_DEP_2) | instskip(SKIP_1) | instid1(SALU_CYCLE_1)
	v_cmp_ge_i32_e64 s1, v15, v4
	s_and_b32 s0, s0, s1
	s_or_b32 s0, s2, s0
	s_delay_alu instid0(SALU_CYCLE_1) | instskip(SKIP_1) | instid1(VALU_DEP_1)
	v_dual_cndmask_b32 v0, v0, v2, vcc_lo :: v_dual_cndmask_b32 v3, v25, v5, s0
	v_cndmask_b32_e64 v6, v9, v8, s0
	v_dual_cndmask_b32 v7, s8, v17, s0 :: v_dual_add_nc_u32 v10, 1, v6
	s_delay_alu instid0(VALU_DEP_1) | instskip(SKIP_1) | instid1(VALU_DEP_2)
	v_add_min_u32_e64 v6, v7, -1, v10
	v_dual_cndmask_b32 v11, v8, v10, s0 :: v_dual_cndmask_b32 v10, v10, v9, s0
	v_lshlrev_b32_e32 v6, 3, v6
	s_delay_alu instid0(VALU_DEP_2) | instskip(NEXT) | instid1(VALU_DEP_3)
	v_cmp_gt_u32_e64 s1, s12, v11
	v_cmp_le_u32_e64 s3, s8, v10
	ds_load_b64 v[6:7], v6
	s_wait_dscnt 0x0
	v_dual_cndmask_b32 v18, v6, v15, s0 :: v_dual_cndmask_b32 v6, v4, v6, s0
	v_dual_cndmask_b32 v26, v7, v25, s0 :: v_dual_cndmask_b32 v7, v5, v7, s0
	s_delay_alu instid0(VALU_DEP_2) | instskip(SKIP_1) | instid1(SALU_CYCLE_1)
	v_cmp_ge_i32_e64 s2, v18, v6
	s_and_b32 s1, s1, s2
	s_or_b32 s1, s3, s1
	s_delay_alu instid0(SALU_CYCLE_1) | instskip(NEXT) | instid1(VALU_DEP_1)
	v_cndmask_b32_e64 v8, v10, v11, s1
	v_dual_cndmask_b32 v9, s8, v17, s1 :: v_dual_add_nc_u32 v12, 1, v8
	s_delay_alu instid0(VALU_DEP_1) | instskip(SKIP_1) | instid1(VALU_DEP_2)
	v_add_min_u32_e64 v8, v9, -1, v12
	v_dual_cndmask_b32 v13, v11, v12, s1 :: v_dual_cndmask_b32 v12, v12, v10, s1
	v_lshlrev_b32_e32 v8, 3, v8
	s_delay_alu instid0(VALU_DEP_2) | instskip(NEXT) | instid1(VALU_DEP_3)
	v_cmp_gt_u32_e64 s2, s12, v13
	v_cmp_le_u32_e64 s4, s8, v12
	ds_load_b64 v[8:9], v8
	s_wait_dscnt 0x0
	v_dual_cndmask_b32 v19, v8, v18, s1 :: v_dual_cndmask_b32 v8, v6, v8, s1
	v_dual_cndmask_b32 v27, v9, v26, s1 :: v_dual_cndmask_b32 v9, v7, v9, s1
	s_delay_alu instid0(VALU_DEP_2) | instskip(SKIP_1) | instid1(SALU_CYCLE_1)
	v_cmp_ge_i32_e64 s3, v19, v8
	s_and_b32 s2, s2, s3
	s_or_b32 s2, s4, s2
	s_delay_alu instid0(SALU_CYCLE_1) | instskip(NEXT) | instid1(VALU_DEP_1)
	v_dual_cndmask_b32 v5, v26, v7, s1 :: v_dual_cndmask_b32 v10, v12, v13, s2
	v_dual_cndmask_b32 v11, s8, v17, s2 :: v_dual_add_nc_u32 v16, 1, v10
	s_delay_alu instid0(VALU_DEP_1) | instskip(SKIP_1) | instid1(VALU_DEP_2)
	v_add_min_u32_e64 v10, v11, -1, v16
	v_cndmask_b32_e64 v20, v13, v16, s2
	v_dual_cndmask_b32 v16, v16, v12, s2 :: v_dual_lshlrev_b32 v10, 3, v10
	s_delay_alu instid0(VALU_DEP_2) | instskip(NEXT) | instid1(VALU_DEP_2)
	v_cmp_gt_u32_e64 s3, s12, v20
	v_cmp_le_u32_e64 s5, s8, v16
	ds_load_b64 v[10:11], v10
	v_dual_cndmask_b32 v2, v15, v4, s0 :: v_dual_cndmask_b32 v4, v18, v6, s1
	s_wait_dscnt 0x0
	v_cndmask_b32_e64 v15, v11, v27, s2
	v_dual_cndmask_b32 v21, v10, v19, s2 :: v_dual_cndmask_b32 v10, v8, v10, s2
	v_dual_cndmask_b32 v11, v9, v11, s2 :: v_dual_cndmask_b32 v9, v27, v9, s2
	s_delay_alu instid0(VALU_DEP_2) | instskip(SKIP_1) | instid1(SALU_CYCLE_1)
	v_cmp_ge_i32_e64 s4, v21, v10
	s_and_b32 s3, s3, s4
	s_or_b32 s3, s5, s3
	s_delay_alu instid0(SALU_CYCLE_1) | instskip(SKIP_1) | instid1(VALU_DEP_1)
	v_dual_cndmask_b32 v8, v19, v8, s2 :: v_dual_cndmask_b32 v6, v21, v10, s3
	v_cndmask_b32_e64 v12, v16, v20, s3
	v_dual_cndmask_b32 v13, s8, v17, s3 :: v_dual_add_nc_u32 v22, 1, v12
	s_delay_alu instid0(VALU_DEP_1) | instskip(NEXT) | instid1(VALU_DEP_1)
	v_add_min_u32_e64 v12, v13, -1, v22
	v_lshlrev_b32_e32 v12, 3, v12
	ds_load_b64 v[12:13], v12
	v_dual_cndmask_b32 v20, v20, v22, s3 :: v_dual_cndmask_b32 v22, v22, v16, s3
	s_delay_alu instid0(VALU_DEP_1) | instskip(SKIP_2) | instid1(VALU_DEP_3)
	v_cmp_le_u32_e64 s6, s8, v22
	s_wait_dscnt 0x0
	v_dual_cndmask_b32 v23, v12, v21, s3 :: v_dual_cndmask_b32 v12, v10, v12, s3
	v_cmp_gt_u32_e64 s4, s12, v20
	s_delay_alu instid0(VALU_DEP_2) | instskip(SKIP_1) | instid1(SALU_CYCLE_1)
	v_cmp_ge_i32_e64 s5, v23, v12
	s_and_b32 s4, s4, s5
	s_or_b32 s4, s6, s4
	s_delay_alu instid0(SALU_CYCLE_1) | instskip(NEXT) | instid1(VALU_DEP_1)
	v_cndmask_b32_e64 v16, v22, v20, s4
	v_dual_cndmask_b32 v17, s8, v17, s4 :: v_dual_add_nc_u32 v24, 1, v16
	v_cndmask_b32_e64 v7, v15, v11, s3
	v_dual_cndmask_b32 v15, v13, v15, s3 :: v_dual_cndmask_b32 v11, v11, v13, s3
	s_delay_alu instid0(VALU_DEP_3) | instskip(SKIP_1) | instid1(VALU_DEP_2)
	v_add_min_u32_e64 v16, v17, -1, v24
	v_cndmask_b32_e64 v10, v20, v24, s4
	v_lshlrev_b32_e32 v16, 3, v16
	s_delay_alu instid0(VALU_DEP_2)
	v_cmp_gt_u32_e32 vcc_lo, s12, v10
	v_cndmask_b32_e64 v10, v23, v12, s4
	ds_load_b64 v[16:17], v16
	s_wait_dscnt 0x0
	v_dual_cndmask_b32 v19, v24, v22, s4 :: v_dual_cndmask_b32 v13, v17, v15, s4
	v_cndmask_b32_e64 v18, v16, v23, s4
	v_cndmask_b32_e64 v16, v12, v16, s4
	s_delay_alu instid0(VALU_DEP_3) | instskip(NEXT) | instid1(VALU_DEP_2)
	v_cmp_le_u32_e64 s1, s8, v19
	v_cmp_ge_i32_e64 s0, v18, v16
	s_and_b32 s0, vcc_lo, s0
	s_delay_alu instid0(SALU_CYCLE_1) | instskip(NEXT) | instid1(SALU_CYCLE_1)
	s_or_b32 vcc_lo, s1, s0
	v_dual_cndmask_b32 v17, v11, v17, s4 :: v_dual_cndmask_b32 v12, v18, v16, vcc_lo
	s_delay_alu instid0(VALU_DEP_1)
	v_dual_cndmask_b32 v11, v15, v11, s4 :: v_dual_cndmask_b32 v13, v13, v17, vcc_lo
.LBB596_52:
	s_or_b32 exec_lo, exec_lo, s7
	s_sub_co_i32 s0, s16, s17
	s_delay_alu instid0(SALU_CYCLE_1)
	s_cmp_gt_u32 s0, 0x6ff
	s_mov_b32 s0, -1
	s_barrier_signal -1
	s_barrier_wait -1
	ds_store_2addr_b64 v14, v[0:1], v[2:3] offset1:1
	ds_store_2addr_b64 v14, v[4:5], v[8:9] offset0:2 offset1:3
	ds_store_2addr_b64 v14, v[6:7], v[10:11] offset0:4 offset1:5
	ds_store_b64 v14, v[12:13] offset:48
	s_wait_dscnt 0x0
	s_cbranch_scc1 .LBB596_55
; %bb.53:
	s_and_not1_b32 vcc_lo, exec_lo, s0
	s_cbranch_vccz .LBB596_56
.LBB596_54:
	s_endpgm
.LBB596_55:
	s_barrier_signal -1
	s_barrier_wait -1
	s_cbranch_execnz .LBB596_54
.LBB596_56:
	s_barrier_signal -1
	s_barrier_wait -1
	s_endpgm
	.section	.rodata,"a",@progbits
	.p2align	6, 0x0
	.amdhsa_kernel _ZN7rocprim17ROCPRIM_400000_NS6detail17trampoline_kernelINS0_14default_configENS1_21merge_config_selectorINS0_5tupleIJiiEEENS0_10empty_typeEEEZNS1_10merge_implIS3_NS0_12zip_iteratorINS5_IJN6thrust23THRUST_200600_302600_NS6detail15normal_iteratorINSC_10device_ptrIKiEEEESI_EEEEESK_NSA_INS5_IJNSC_16discard_iteratorINSC_11use_defaultEEESN_EEEEEPS7_SQ_SQ_NSC_11hip_rocprim7__merge17predicate_wrapperIiiNSC_4lessIiEEEEEE10hipError_tPvRmT0_T1_T2_T3_T4_T5_mmT6_P12ihipStream_tbEUlT_E0_NS1_11comp_targetILNS1_3genE0ELNS1_11target_archE4294967295ELNS1_3gpuE0ELNS1_3repE0EEENS1_30default_config_static_selectorELNS0_4arch9wavefront6targetE0EEEvS11_
		.amdhsa_group_segment_fixed_size 14352
		.amdhsa_private_segment_fixed_size 0
		.amdhsa_kernarg_size 128
		.amdhsa_user_sgpr_count 2
		.amdhsa_user_sgpr_dispatch_ptr 0
		.amdhsa_user_sgpr_queue_ptr 0
		.amdhsa_user_sgpr_kernarg_segment_ptr 1
		.amdhsa_user_sgpr_dispatch_id 0
		.amdhsa_user_sgpr_kernarg_preload_length 0
		.amdhsa_user_sgpr_kernarg_preload_offset 0
		.amdhsa_user_sgpr_private_segment_size 0
		.amdhsa_wavefront_size32 1
		.amdhsa_uses_dynamic_stack 0
		.amdhsa_enable_private_segment 0
		.amdhsa_system_sgpr_workgroup_id_x 1
		.amdhsa_system_sgpr_workgroup_id_y 0
		.amdhsa_system_sgpr_workgroup_id_z 0
		.amdhsa_system_sgpr_workgroup_info 0
		.amdhsa_system_vgpr_workitem_id 0
		.amdhsa_next_free_vgpr 28
		.amdhsa_next_free_sgpr 22
		.amdhsa_named_barrier_count 0
		.amdhsa_reserve_vcc 1
		.amdhsa_float_round_mode_32 0
		.amdhsa_float_round_mode_16_64 0
		.amdhsa_float_denorm_mode_32 3
		.amdhsa_float_denorm_mode_16_64 3
		.amdhsa_fp16_overflow 0
		.amdhsa_memory_ordered 1
		.amdhsa_forward_progress 1
		.amdhsa_inst_pref_size 22
		.amdhsa_round_robin_scheduling 0
		.amdhsa_exception_fp_ieee_invalid_op 0
		.amdhsa_exception_fp_denorm_src 0
		.amdhsa_exception_fp_ieee_div_zero 0
		.amdhsa_exception_fp_ieee_overflow 0
		.amdhsa_exception_fp_ieee_underflow 0
		.amdhsa_exception_fp_ieee_inexact 0
		.amdhsa_exception_int_div_zero 0
	.end_amdhsa_kernel
	.section	.text._ZN7rocprim17ROCPRIM_400000_NS6detail17trampoline_kernelINS0_14default_configENS1_21merge_config_selectorINS0_5tupleIJiiEEENS0_10empty_typeEEEZNS1_10merge_implIS3_NS0_12zip_iteratorINS5_IJN6thrust23THRUST_200600_302600_NS6detail15normal_iteratorINSC_10device_ptrIKiEEEESI_EEEEESK_NSA_INS5_IJNSC_16discard_iteratorINSC_11use_defaultEEESN_EEEEEPS7_SQ_SQ_NSC_11hip_rocprim7__merge17predicate_wrapperIiiNSC_4lessIiEEEEEE10hipError_tPvRmT0_T1_T2_T3_T4_T5_mmT6_P12ihipStream_tbEUlT_E0_NS1_11comp_targetILNS1_3genE0ELNS1_11target_archE4294967295ELNS1_3gpuE0ELNS1_3repE0EEENS1_30default_config_static_selectorELNS0_4arch9wavefront6targetE0EEEvS11_,"axG",@progbits,_ZN7rocprim17ROCPRIM_400000_NS6detail17trampoline_kernelINS0_14default_configENS1_21merge_config_selectorINS0_5tupleIJiiEEENS0_10empty_typeEEEZNS1_10merge_implIS3_NS0_12zip_iteratorINS5_IJN6thrust23THRUST_200600_302600_NS6detail15normal_iteratorINSC_10device_ptrIKiEEEESI_EEEEESK_NSA_INS5_IJNSC_16discard_iteratorINSC_11use_defaultEEESN_EEEEEPS7_SQ_SQ_NSC_11hip_rocprim7__merge17predicate_wrapperIiiNSC_4lessIiEEEEEE10hipError_tPvRmT0_T1_T2_T3_T4_T5_mmT6_P12ihipStream_tbEUlT_E0_NS1_11comp_targetILNS1_3genE0ELNS1_11target_archE4294967295ELNS1_3gpuE0ELNS1_3repE0EEENS1_30default_config_static_selectorELNS0_4arch9wavefront6targetE0EEEvS11_,comdat
.Lfunc_end596:
	.size	_ZN7rocprim17ROCPRIM_400000_NS6detail17trampoline_kernelINS0_14default_configENS1_21merge_config_selectorINS0_5tupleIJiiEEENS0_10empty_typeEEEZNS1_10merge_implIS3_NS0_12zip_iteratorINS5_IJN6thrust23THRUST_200600_302600_NS6detail15normal_iteratorINSC_10device_ptrIKiEEEESI_EEEEESK_NSA_INS5_IJNSC_16discard_iteratorINSC_11use_defaultEEESN_EEEEEPS7_SQ_SQ_NSC_11hip_rocprim7__merge17predicate_wrapperIiiNSC_4lessIiEEEEEE10hipError_tPvRmT0_T1_T2_T3_T4_T5_mmT6_P12ihipStream_tbEUlT_E0_NS1_11comp_targetILNS1_3genE0ELNS1_11target_archE4294967295ELNS1_3gpuE0ELNS1_3repE0EEENS1_30default_config_static_selectorELNS0_4arch9wavefront6targetE0EEEvS11_, .Lfunc_end596-_ZN7rocprim17ROCPRIM_400000_NS6detail17trampoline_kernelINS0_14default_configENS1_21merge_config_selectorINS0_5tupleIJiiEEENS0_10empty_typeEEEZNS1_10merge_implIS3_NS0_12zip_iteratorINS5_IJN6thrust23THRUST_200600_302600_NS6detail15normal_iteratorINSC_10device_ptrIKiEEEESI_EEEEESK_NSA_INS5_IJNSC_16discard_iteratorINSC_11use_defaultEEESN_EEEEEPS7_SQ_SQ_NSC_11hip_rocprim7__merge17predicate_wrapperIiiNSC_4lessIiEEEEEE10hipError_tPvRmT0_T1_T2_T3_T4_T5_mmT6_P12ihipStream_tbEUlT_E0_NS1_11comp_targetILNS1_3genE0ELNS1_11target_archE4294967295ELNS1_3gpuE0ELNS1_3repE0EEENS1_30default_config_static_selectorELNS0_4arch9wavefront6targetE0EEEvS11_
                                        ; -- End function
	.set _ZN7rocprim17ROCPRIM_400000_NS6detail17trampoline_kernelINS0_14default_configENS1_21merge_config_selectorINS0_5tupleIJiiEEENS0_10empty_typeEEEZNS1_10merge_implIS3_NS0_12zip_iteratorINS5_IJN6thrust23THRUST_200600_302600_NS6detail15normal_iteratorINSC_10device_ptrIKiEEEESI_EEEEESK_NSA_INS5_IJNSC_16discard_iteratorINSC_11use_defaultEEESN_EEEEEPS7_SQ_SQ_NSC_11hip_rocprim7__merge17predicate_wrapperIiiNSC_4lessIiEEEEEE10hipError_tPvRmT0_T1_T2_T3_T4_T5_mmT6_P12ihipStream_tbEUlT_E0_NS1_11comp_targetILNS1_3genE0ELNS1_11target_archE4294967295ELNS1_3gpuE0ELNS1_3repE0EEENS1_30default_config_static_selectorELNS0_4arch9wavefront6targetE0EEEvS11_.num_vgpr, 28
	.set _ZN7rocprim17ROCPRIM_400000_NS6detail17trampoline_kernelINS0_14default_configENS1_21merge_config_selectorINS0_5tupleIJiiEEENS0_10empty_typeEEEZNS1_10merge_implIS3_NS0_12zip_iteratorINS5_IJN6thrust23THRUST_200600_302600_NS6detail15normal_iteratorINSC_10device_ptrIKiEEEESI_EEEEESK_NSA_INS5_IJNSC_16discard_iteratorINSC_11use_defaultEEESN_EEEEEPS7_SQ_SQ_NSC_11hip_rocprim7__merge17predicate_wrapperIiiNSC_4lessIiEEEEEE10hipError_tPvRmT0_T1_T2_T3_T4_T5_mmT6_P12ihipStream_tbEUlT_E0_NS1_11comp_targetILNS1_3genE0ELNS1_11target_archE4294967295ELNS1_3gpuE0ELNS1_3repE0EEENS1_30default_config_static_selectorELNS0_4arch9wavefront6targetE0EEEvS11_.num_agpr, 0
	.set _ZN7rocprim17ROCPRIM_400000_NS6detail17trampoline_kernelINS0_14default_configENS1_21merge_config_selectorINS0_5tupleIJiiEEENS0_10empty_typeEEEZNS1_10merge_implIS3_NS0_12zip_iteratorINS5_IJN6thrust23THRUST_200600_302600_NS6detail15normal_iteratorINSC_10device_ptrIKiEEEESI_EEEEESK_NSA_INS5_IJNSC_16discard_iteratorINSC_11use_defaultEEESN_EEEEEPS7_SQ_SQ_NSC_11hip_rocprim7__merge17predicate_wrapperIiiNSC_4lessIiEEEEEE10hipError_tPvRmT0_T1_T2_T3_T4_T5_mmT6_P12ihipStream_tbEUlT_E0_NS1_11comp_targetILNS1_3genE0ELNS1_11target_archE4294967295ELNS1_3gpuE0ELNS1_3repE0EEENS1_30default_config_static_selectorELNS0_4arch9wavefront6targetE0EEEvS11_.numbered_sgpr, 22
	.set _ZN7rocprim17ROCPRIM_400000_NS6detail17trampoline_kernelINS0_14default_configENS1_21merge_config_selectorINS0_5tupleIJiiEEENS0_10empty_typeEEEZNS1_10merge_implIS3_NS0_12zip_iteratorINS5_IJN6thrust23THRUST_200600_302600_NS6detail15normal_iteratorINSC_10device_ptrIKiEEEESI_EEEEESK_NSA_INS5_IJNSC_16discard_iteratorINSC_11use_defaultEEESN_EEEEEPS7_SQ_SQ_NSC_11hip_rocprim7__merge17predicate_wrapperIiiNSC_4lessIiEEEEEE10hipError_tPvRmT0_T1_T2_T3_T4_T5_mmT6_P12ihipStream_tbEUlT_E0_NS1_11comp_targetILNS1_3genE0ELNS1_11target_archE4294967295ELNS1_3gpuE0ELNS1_3repE0EEENS1_30default_config_static_selectorELNS0_4arch9wavefront6targetE0EEEvS11_.num_named_barrier, 0
	.set _ZN7rocprim17ROCPRIM_400000_NS6detail17trampoline_kernelINS0_14default_configENS1_21merge_config_selectorINS0_5tupleIJiiEEENS0_10empty_typeEEEZNS1_10merge_implIS3_NS0_12zip_iteratorINS5_IJN6thrust23THRUST_200600_302600_NS6detail15normal_iteratorINSC_10device_ptrIKiEEEESI_EEEEESK_NSA_INS5_IJNSC_16discard_iteratorINSC_11use_defaultEEESN_EEEEEPS7_SQ_SQ_NSC_11hip_rocprim7__merge17predicate_wrapperIiiNSC_4lessIiEEEEEE10hipError_tPvRmT0_T1_T2_T3_T4_T5_mmT6_P12ihipStream_tbEUlT_E0_NS1_11comp_targetILNS1_3genE0ELNS1_11target_archE4294967295ELNS1_3gpuE0ELNS1_3repE0EEENS1_30default_config_static_selectorELNS0_4arch9wavefront6targetE0EEEvS11_.private_seg_size, 0
	.set _ZN7rocprim17ROCPRIM_400000_NS6detail17trampoline_kernelINS0_14default_configENS1_21merge_config_selectorINS0_5tupleIJiiEEENS0_10empty_typeEEEZNS1_10merge_implIS3_NS0_12zip_iteratorINS5_IJN6thrust23THRUST_200600_302600_NS6detail15normal_iteratorINSC_10device_ptrIKiEEEESI_EEEEESK_NSA_INS5_IJNSC_16discard_iteratorINSC_11use_defaultEEESN_EEEEEPS7_SQ_SQ_NSC_11hip_rocprim7__merge17predicate_wrapperIiiNSC_4lessIiEEEEEE10hipError_tPvRmT0_T1_T2_T3_T4_T5_mmT6_P12ihipStream_tbEUlT_E0_NS1_11comp_targetILNS1_3genE0ELNS1_11target_archE4294967295ELNS1_3gpuE0ELNS1_3repE0EEENS1_30default_config_static_selectorELNS0_4arch9wavefront6targetE0EEEvS11_.uses_vcc, 1
	.set _ZN7rocprim17ROCPRIM_400000_NS6detail17trampoline_kernelINS0_14default_configENS1_21merge_config_selectorINS0_5tupleIJiiEEENS0_10empty_typeEEEZNS1_10merge_implIS3_NS0_12zip_iteratorINS5_IJN6thrust23THRUST_200600_302600_NS6detail15normal_iteratorINSC_10device_ptrIKiEEEESI_EEEEESK_NSA_INS5_IJNSC_16discard_iteratorINSC_11use_defaultEEESN_EEEEEPS7_SQ_SQ_NSC_11hip_rocprim7__merge17predicate_wrapperIiiNSC_4lessIiEEEEEE10hipError_tPvRmT0_T1_T2_T3_T4_T5_mmT6_P12ihipStream_tbEUlT_E0_NS1_11comp_targetILNS1_3genE0ELNS1_11target_archE4294967295ELNS1_3gpuE0ELNS1_3repE0EEENS1_30default_config_static_selectorELNS0_4arch9wavefront6targetE0EEEvS11_.uses_flat_scratch, 0
	.set _ZN7rocprim17ROCPRIM_400000_NS6detail17trampoline_kernelINS0_14default_configENS1_21merge_config_selectorINS0_5tupleIJiiEEENS0_10empty_typeEEEZNS1_10merge_implIS3_NS0_12zip_iteratorINS5_IJN6thrust23THRUST_200600_302600_NS6detail15normal_iteratorINSC_10device_ptrIKiEEEESI_EEEEESK_NSA_INS5_IJNSC_16discard_iteratorINSC_11use_defaultEEESN_EEEEEPS7_SQ_SQ_NSC_11hip_rocprim7__merge17predicate_wrapperIiiNSC_4lessIiEEEEEE10hipError_tPvRmT0_T1_T2_T3_T4_T5_mmT6_P12ihipStream_tbEUlT_E0_NS1_11comp_targetILNS1_3genE0ELNS1_11target_archE4294967295ELNS1_3gpuE0ELNS1_3repE0EEENS1_30default_config_static_selectorELNS0_4arch9wavefront6targetE0EEEvS11_.has_dyn_sized_stack, 0
	.set _ZN7rocprim17ROCPRIM_400000_NS6detail17trampoline_kernelINS0_14default_configENS1_21merge_config_selectorINS0_5tupleIJiiEEENS0_10empty_typeEEEZNS1_10merge_implIS3_NS0_12zip_iteratorINS5_IJN6thrust23THRUST_200600_302600_NS6detail15normal_iteratorINSC_10device_ptrIKiEEEESI_EEEEESK_NSA_INS5_IJNSC_16discard_iteratorINSC_11use_defaultEEESN_EEEEEPS7_SQ_SQ_NSC_11hip_rocprim7__merge17predicate_wrapperIiiNSC_4lessIiEEEEEE10hipError_tPvRmT0_T1_T2_T3_T4_T5_mmT6_P12ihipStream_tbEUlT_E0_NS1_11comp_targetILNS1_3genE0ELNS1_11target_archE4294967295ELNS1_3gpuE0ELNS1_3repE0EEENS1_30default_config_static_selectorELNS0_4arch9wavefront6targetE0EEEvS11_.has_recursion, 0
	.set _ZN7rocprim17ROCPRIM_400000_NS6detail17trampoline_kernelINS0_14default_configENS1_21merge_config_selectorINS0_5tupleIJiiEEENS0_10empty_typeEEEZNS1_10merge_implIS3_NS0_12zip_iteratorINS5_IJN6thrust23THRUST_200600_302600_NS6detail15normal_iteratorINSC_10device_ptrIKiEEEESI_EEEEESK_NSA_INS5_IJNSC_16discard_iteratorINSC_11use_defaultEEESN_EEEEEPS7_SQ_SQ_NSC_11hip_rocprim7__merge17predicate_wrapperIiiNSC_4lessIiEEEEEE10hipError_tPvRmT0_T1_T2_T3_T4_T5_mmT6_P12ihipStream_tbEUlT_E0_NS1_11comp_targetILNS1_3genE0ELNS1_11target_archE4294967295ELNS1_3gpuE0ELNS1_3repE0EEENS1_30default_config_static_selectorELNS0_4arch9wavefront6targetE0EEEvS11_.has_indirect_call, 0
	.section	.AMDGPU.csdata,"",@progbits
; Kernel info:
; codeLenInByte = 2700
; TotalNumSgprs: 24
; NumVgprs: 28
; ScratchSize: 0
; MemoryBound: 0
; FloatMode: 240
; IeeeMode: 1
; LDSByteSize: 14352 bytes/workgroup (compile time only)
; SGPRBlocks: 0
; VGPRBlocks: 1
; NumSGPRsForWavesPerEU: 24
; NumVGPRsForWavesPerEU: 28
; NamedBarCnt: 0
; Occupancy: 16
; WaveLimiterHint : 1
; COMPUTE_PGM_RSRC2:SCRATCH_EN: 0
; COMPUTE_PGM_RSRC2:USER_SGPR: 2
; COMPUTE_PGM_RSRC2:TRAP_HANDLER: 0
; COMPUTE_PGM_RSRC2:TGID_X_EN: 1
; COMPUTE_PGM_RSRC2:TGID_Y_EN: 0
; COMPUTE_PGM_RSRC2:TGID_Z_EN: 0
; COMPUTE_PGM_RSRC2:TIDIG_COMP_CNT: 0
	.section	.text._ZN7rocprim17ROCPRIM_400000_NS6detail17trampoline_kernelINS0_14default_configENS1_21merge_config_selectorINS0_5tupleIJiiEEENS0_10empty_typeEEEZNS1_10merge_implIS3_NS0_12zip_iteratorINS5_IJN6thrust23THRUST_200600_302600_NS6detail15normal_iteratorINSC_10device_ptrIKiEEEESI_EEEEESK_NSA_INS5_IJNSC_16discard_iteratorINSC_11use_defaultEEESN_EEEEEPS7_SQ_SQ_NSC_11hip_rocprim7__merge17predicate_wrapperIiiNSC_4lessIiEEEEEE10hipError_tPvRmT0_T1_T2_T3_T4_T5_mmT6_P12ihipStream_tbEUlT_E0_NS1_11comp_targetILNS1_3genE5ELNS1_11target_archE942ELNS1_3gpuE9ELNS1_3repE0EEENS1_30default_config_static_selectorELNS0_4arch9wavefront6targetE0EEEvS11_,"axG",@progbits,_ZN7rocprim17ROCPRIM_400000_NS6detail17trampoline_kernelINS0_14default_configENS1_21merge_config_selectorINS0_5tupleIJiiEEENS0_10empty_typeEEEZNS1_10merge_implIS3_NS0_12zip_iteratorINS5_IJN6thrust23THRUST_200600_302600_NS6detail15normal_iteratorINSC_10device_ptrIKiEEEESI_EEEEESK_NSA_INS5_IJNSC_16discard_iteratorINSC_11use_defaultEEESN_EEEEEPS7_SQ_SQ_NSC_11hip_rocprim7__merge17predicate_wrapperIiiNSC_4lessIiEEEEEE10hipError_tPvRmT0_T1_T2_T3_T4_T5_mmT6_P12ihipStream_tbEUlT_E0_NS1_11comp_targetILNS1_3genE5ELNS1_11target_archE942ELNS1_3gpuE9ELNS1_3repE0EEENS1_30default_config_static_selectorELNS0_4arch9wavefront6targetE0EEEvS11_,comdat
	.protected	_ZN7rocprim17ROCPRIM_400000_NS6detail17trampoline_kernelINS0_14default_configENS1_21merge_config_selectorINS0_5tupleIJiiEEENS0_10empty_typeEEEZNS1_10merge_implIS3_NS0_12zip_iteratorINS5_IJN6thrust23THRUST_200600_302600_NS6detail15normal_iteratorINSC_10device_ptrIKiEEEESI_EEEEESK_NSA_INS5_IJNSC_16discard_iteratorINSC_11use_defaultEEESN_EEEEEPS7_SQ_SQ_NSC_11hip_rocprim7__merge17predicate_wrapperIiiNSC_4lessIiEEEEEE10hipError_tPvRmT0_T1_T2_T3_T4_T5_mmT6_P12ihipStream_tbEUlT_E0_NS1_11comp_targetILNS1_3genE5ELNS1_11target_archE942ELNS1_3gpuE9ELNS1_3repE0EEENS1_30default_config_static_selectorELNS0_4arch9wavefront6targetE0EEEvS11_ ; -- Begin function _ZN7rocprim17ROCPRIM_400000_NS6detail17trampoline_kernelINS0_14default_configENS1_21merge_config_selectorINS0_5tupleIJiiEEENS0_10empty_typeEEEZNS1_10merge_implIS3_NS0_12zip_iteratorINS5_IJN6thrust23THRUST_200600_302600_NS6detail15normal_iteratorINSC_10device_ptrIKiEEEESI_EEEEESK_NSA_INS5_IJNSC_16discard_iteratorINSC_11use_defaultEEESN_EEEEEPS7_SQ_SQ_NSC_11hip_rocprim7__merge17predicate_wrapperIiiNSC_4lessIiEEEEEE10hipError_tPvRmT0_T1_T2_T3_T4_T5_mmT6_P12ihipStream_tbEUlT_E0_NS1_11comp_targetILNS1_3genE5ELNS1_11target_archE942ELNS1_3gpuE9ELNS1_3repE0EEENS1_30default_config_static_selectorELNS0_4arch9wavefront6targetE0EEEvS11_
	.globl	_ZN7rocprim17ROCPRIM_400000_NS6detail17trampoline_kernelINS0_14default_configENS1_21merge_config_selectorINS0_5tupleIJiiEEENS0_10empty_typeEEEZNS1_10merge_implIS3_NS0_12zip_iteratorINS5_IJN6thrust23THRUST_200600_302600_NS6detail15normal_iteratorINSC_10device_ptrIKiEEEESI_EEEEESK_NSA_INS5_IJNSC_16discard_iteratorINSC_11use_defaultEEESN_EEEEEPS7_SQ_SQ_NSC_11hip_rocprim7__merge17predicate_wrapperIiiNSC_4lessIiEEEEEE10hipError_tPvRmT0_T1_T2_T3_T4_T5_mmT6_P12ihipStream_tbEUlT_E0_NS1_11comp_targetILNS1_3genE5ELNS1_11target_archE942ELNS1_3gpuE9ELNS1_3repE0EEENS1_30default_config_static_selectorELNS0_4arch9wavefront6targetE0EEEvS11_
	.p2align	8
	.type	_ZN7rocprim17ROCPRIM_400000_NS6detail17trampoline_kernelINS0_14default_configENS1_21merge_config_selectorINS0_5tupleIJiiEEENS0_10empty_typeEEEZNS1_10merge_implIS3_NS0_12zip_iteratorINS5_IJN6thrust23THRUST_200600_302600_NS6detail15normal_iteratorINSC_10device_ptrIKiEEEESI_EEEEESK_NSA_INS5_IJNSC_16discard_iteratorINSC_11use_defaultEEESN_EEEEEPS7_SQ_SQ_NSC_11hip_rocprim7__merge17predicate_wrapperIiiNSC_4lessIiEEEEEE10hipError_tPvRmT0_T1_T2_T3_T4_T5_mmT6_P12ihipStream_tbEUlT_E0_NS1_11comp_targetILNS1_3genE5ELNS1_11target_archE942ELNS1_3gpuE9ELNS1_3repE0EEENS1_30default_config_static_selectorELNS0_4arch9wavefront6targetE0EEEvS11_,@function
_ZN7rocprim17ROCPRIM_400000_NS6detail17trampoline_kernelINS0_14default_configENS1_21merge_config_selectorINS0_5tupleIJiiEEENS0_10empty_typeEEEZNS1_10merge_implIS3_NS0_12zip_iteratorINS5_IJN6thrust23THRUST_200600_302600_NS6detail15normal_iteratorINSC_10device_ptrIKiEEEESI_EEEEESK_NSA_INS5_IJNSC_16discard_iteratorINSC_11use_defaultEEESN_EEEEEPS7_SQ_SQ_NSC_11hip_rocprim7__merge17predicate_wrapperIiiNSC_4lessIiEEEEEE10hipError_tPvRmT0_T1_T2_T3_T4_T5_mmT6_P12ihipStream_tbEUlT_E0_NS1_11comp_targetILNS1_3genE5ELNS1_11target_archE942ELNS1_3gpuE9ELNS1_3repE0EEENS1_30default_config_static_selectorELNS0_4arch9wavefront6targetE0EEEvS11_: ; @_ZN7rocprim17ROCPRIM_400000_NS6detail17trampoline_kernelINS0_14default_configENS1_21merge_config_selectorINS0_5tupleIJiiEEENS0_10empty_typeEEEZNS1_10merge_implIS3_NS0_12zip_iteratorINS5_IJN6thrust23THRUST_200600_302600_NS6detail15normal_iteratorINSC_10device_ptrIKiEEEESI_EEEEESK_NSA_INS5_IJNSC_16discard_iteratorINSC_11use_defaultEEESN_EEEEEPS7_SQ_SQ_NSC_11hip_rocprim7__merge17predicate_wrapperIiiNSC_4lessIiEEEEEE10hipError_tPvRmT0_T1_T2_T3_T4_T5_mmT6_P12ihipStream_tbEUlT_E0_NS1_11comp_targetILNS1_3genE5ELNS1_11target_archE942ELNS1_3gpuE9ELNS1_3repE0EEENS1_30default_config_static_selectorELNS0_4arch9wavefront6targetE0EEEvS11_
; %bb.0:
	.section	.rodata,"a",@progbits
	.p2align	6, 0x0
	.amdhsa_kernel _ZN7rocprim17ROCPRIM_400000_NS6detail17trampoline_kernelINS0_14default_configENS1_21merge_config_selectorINS0_5tupleIJiiEEENS0_10empty_typeEEEZNS1_10merge_implIS3_NS0_12zip_iteratorINS5_IJN6thrust23THRUST_200600_302600_NS6detail15normal_iteratorINSC_10device_ptrIKiEEEESI_EEEEESK_NSA_INS5_IJNSC_16discard_iteratorINSC_11use_defaultEEESN_EEEEEPS7_SQ_SQ_NSC_11hip_rocprim7__merge17predicate_wrapperIiiNSC_4lessIiEEEEEE10hipError_tPvRmT0_T1_T2_T3_T4_T5_mmT6_P12ihipStream_tbEUlT_E0_NS1_11comp_targetILNS1_3genE5ELNS1_11target_archE942ELNS1_3gpuE9ELNS1_3repE0EEENS1_30default_config_static_selectorELNS0_4arch9wavefront6targetE0EEEvS11_
		.amdhsa_group_segment_fixed_size 0
		.amdhsa_private_segment_fixed_size 0
		.amdhsa_kernarg_size 128
		.amdhsa_user_sgpr_count 2
		.amdhsa_user_sgpr_dispatch_ptr 0
		.amdhsa_user_sgpr_queue_ptr 0
		.amdhsa_user_sgpr_kernarg_segment_ptr 1
		.amdhsa_user_sgpr_dispatch_id 0
		.amdhsa_user_sgpr_kernarg_preload_length 0
		.amdhsa_user_sgpr_kernarg_preload_offset 0
		.amdhsa_user_sgpr_private_segment_size 0
		.amdhsa_wavefront_size32 1
		.amdhsa_uses_dynamic_stack 0
		.amdhsa_enable_private_segment 0
		.amdhsa_system_sgpr_workgroup_id_x 1
		.amdhsa_system_sgpr_workgroup_id_y 0
		.amdhsa_system_sgpr_workgroup_id_z 0
		.amdhsa_system_sgpr_workgroup_info 0
		.amdhsa_system_vgpr_workitem_id 0
		.amdhsa_next_free_vgpr 1
		.amdhsa_next_free_sgpr 1
		.amdhsa_named_barrier_count 0
		.amdhsa_reserve_vcc 0
		.amdhsa_float_round_mode_32 0
		.amdhsa_float_round_mode_16_64 0
		.amdhsa_float_denorm_mode_32 3
		.amdhsa_float_denorm_mode_16_64 3
		.amdhsa_fp16_overflow 0
		.amdhsa_memory_ordered 1
		.amdhsa_forward_progress 1
		.amdhsa_inst_pref_size 0
		.amdhsa_round_robin_scheduling 0
		.amdhsa_exception_fp_ieee_invalid_op 0
		.amdhsa_exception_fp_denorm_src 0
		.amdhsa_exception_fp_ieee_div_zero 0
		.amdhsa_exception_fp_ieee_overflow 0
		.amdhsa_exception_fp_ieee_underflow 0
		.amdhsa_exception_fp_ieee_inexact 0
		.amdhsa_exception_int_div_zero 0
	.end_amdhsa_kernel
	.section	.text._ZN7rocprim17ROCPRIM_400000_NS6detail17trampoline_kernelINS0_14default_configENS1_21merge_config_selectorINS0_5tupleIJiiEEENS0_10empty_typeEEEZNS1_10merge_implIS3_NS0_12zip_iteratorINS5_IJN6thrust23THRUST_200600_302600_NS6detail15normal_iteratorINSC_10device_ptrIKiEEEESI_EEEEESK_NSA_INS5_IJNSC_16discard_iteratorINSC_11use_defaultEEESN_EEEEEPS7_SQ_SQ_NSC_11hip_rocprim7__merge17predicate_wrapperIiiNSC_4lessIiEEEEEE10hipError_tPvRmT0_T1_T2_T3_T4_T5_mmT6_P12ihipStream_tbEUlT_E0_NS1_11comp_targetILNS1_3genE5ELNS1_11target_archE942ELNS1_3gpuE9ELNS1_3repE0EEENS1_30default_config_static_selectorELNS0_4arch9wavefront6targetE0EEEvS11_,"axG",@progbits,_ZN7rocprim17ROCPRIM_400000_NS6detail17trampoline_kernelINS0_14default_configENS1_21merge_config_selectorINS0_5tupleIJiiEEENS0_10empty_typeEEEZNS1_10merge_implIS3_NS0_12zip_iteratorINS5_IJN6thrust23THRUST_200600_302600_NS6detail15normal_iteratorINSC_10device_ptrIKiEEEESI_EEEEESK_NSA_INS5_IJNSC_16discard_iteratorINSC_11use_defaultEEESN_EEEEEPS7_SQ_SQ_NSC_11hip_rocprim7__merge17predicate_wrapperIiiNSC_4lessIiEEEEEE10hipError_tPvRmT0_T1_T2_T3_T4_T5_mmT6_P12ihipStream_tbEUlT_E0_NS1_11comp_targetILNS1_3genE5ELNS1_11target_archE942ELNS1_3gpuE9ELNS1_3repE0EEENS1_30default_config_static_selectorELNS0_4arch9wavefront6targetE0EEEvS11_,comdat
.Lfunc_end597:
	.size	_ZN7rocprim17ROCPRIM_400000_NS6detail17trampoline_kernelINS0_14default_configENS1_21merge_config_selectorINS0_5tupleIJiiEEENS0_10empty_typeEEEZNS1_10merge_implIS3_NS0_12zip_iteratorINS5_IJN6thrust23THRUST_200600_302600_NS6detail15normal_iteratorINSC_10device_ptrIKiEEEESI_EEEEESK_NSA_INS5_IJNSC_16discard_iteratorINSC_11use_defaultEEESN_EEEEEPS7_SQ_SQ_NSC_11hip_rocprim7__merge17predicate_wrapperIiiNSC_4lessIiEEEEEE10hipError_tPvRmT0_T1_T2_T3_T4_T5_mmT6_P12ihipStream_tbEUlT_E0_NS1_11comp_targetILNS1_3genE5ELNS1_11target_archE942ELNS1_3gpuE9ELNS1_3repE0EEENS1_30default_config_static_selectorELNS0_4arch9wavefront6targetE0EEEvS11_, .Lfunc_end597-_ZN7rocprim17ROCPRIM_400000_NS6detail17trampoline_kernelINS0_14default_configENS1_21merge_config_selectorINS0_5tupleIJiiEEENS0_10empty_typeEEEZNS1_10merge_implIS3_NS0_12zip_iteratorINS5_IJN6thrust23THRUST_200600_302600_NS6detail15normal_iteratorINSC_10device_ptrIKiEEEESI_EEEEESK_NSA_INS5_IJNSC_16discard_iteratorINSC_11use_defaultEEESN_EEEEEPS7_SQ_SQ_NSC_11hip_rocprim7__merge17predicate_wrapperIiiNSC_4lessIiEEEEEE10hipError_tPvRmT0_T1_T2_T3_T4_T5_mmT6_P12ihipStream_tbEUlT_E0_NS1_11comp_targetILNS1_3genE5ELNS1_11target_archE942ELNS1_3gpuE9ELNS1_3repE0EEENS1_30default_config_static_selectorELNS0_4arch9wavefront6targetE0EEEvS11_
                                        ; -- End function
	.set _ZN7rocprim17ROCPRIM_400000_NS6detail17trampoline_kernelINS0_14default_configENS1_21merge_config_selectorINS0_5tupleIJiiEEENS0_10empty_typeEEEZNS1_10merge_implIS3_NS0_12zip_iteratorINS5_IJN6thrust23THRUST_200600_302600_NS6detail15normal_iteratorINSC_10device_ptrIKiEEEESI_EEEEESK_NSA_INS5_IJNSC_16discard_iteratorINSC_11use_defaultEEESN_EEEEEPS7_SQ_SQ_NSC_11hip_rocprim7__merge17predicate_wrapperIiiNSC_4lessIiEEEEEE10hipError_tPvRmT0_T1_T2_T3_T4_T5_mmT6_P12ihipStream_tbEUlT_E0_NS1_11comp_targetILNS1_3genE5ELNS1_11target_archE942ELNS1_3gpuE9ELNS1_3repE0EEENS1_30default_config_static_selectorELNS0_4arch9wavefront6targetE0EEEvS11_.num_vgpr, 0
	.set _ZN7rocprim17ROCPRIM_400000_NS6detail17trampoline_kernelINS0_14default_configENS1_21merge_config_selectorINS0_5tupleIJiiEEENS0_10empty_typeEEEZNS1_10merge_implIS3_NS0_12zip_iteratorINS5_IJN6thrust23THRUST_200600_302600_NS6detail15normal_iteratorINSC_10device_ptrIKiEEEESI_EEEEESK_NSA_INS5_IJNSC_16discard_iteratorINSC_11use_defaultEEESN_EEEEEPS7_SQ_SQ_NSC_11hip_rocprim7__merge17predicate_wrapperIiiNSC_4lessIiEEEEEE10hipError_tPvRmT0_T1_T2_T3_T4_T5_mmT6_P12ihipStream_tbEUlT_E0_NS1_11comp_targetILNS1_3genE5ELNS1_11target_archE942ELNS1_3gpuE9ELNS1_3repE0EEENS1_30default_config_static_selectorELNS0_4arch9wavefront6targetE0EEEvS11_.num_agpr, 0
	.set _ZN7rocprim17ROCPRIM_400000_NS6detail17trampoline_kernelINS0_14default_configENS1_21merge_config_selectorINS0_5tupleIJiiEEENS0_10empty_typeEEEZNS1_10merge_implIS3_NS0_12zip_iteratorINS5_IJN6thrust23THRUST_200600_302600_NS6detail15normal_iteratorINSC_10device_ptrIKiEEEESI_EEEEESK_NSA_INS5_IJNSC_16discard_iteratorINSC_11use_defaultEEESN_EEEEEPS7_SQ_SQ_NSC_11hip_rocprim7__merge17predicate_wrapperIiiNSC_4lessIiEEEEEE10hipError_tPvRmT0_T1_T2_T3_T4_T5_mmT6_P12ihipStream_tbEUlT_E0_NS1_11comp_targetILNS1_3genE5ELNS1_11target_archE942ELNS1_3gpuE9ELNS1_3repE0EEENS1_30default_config_static_selectorELNS0_4arch9wavefront6targetE0EEEvS11_.numbered_sgpr, 0
	.set _ZN7rocprim17ROCPRIM_400000_NS6detail17trampoline_kernelINS0_14default_configENS1_21merge_config_selectorINS0_5tupleIJiiEEENS0_10empty_typeEEEZNS1_10merge_implIS3_NS0_12zip_iteratorINS5_IJN6thrust23THRUST_200600_302600_NS6detail15normal_iteratorINSC_10device_ptrIKiEEEESI_EEEEESK_NSA_INS5_IJNSC_16discard_iteratorINSC_11use_defaultEEESN_EEEEEPS7_SQ_SQ_NSC_11hip_rocprim7__merge17predicate_wrapperIiiNSC_4lessIiEEEEEE10hipError_tPvRmT0_T1_T2_T3_T4_T5_mmT6_P12ihipStream_tbEUlT_E0_NS1_11comp_targetILNS1_3genE5ELNS1_11target_archE942ELNS1_3gpuE9ELNS1_3repE0EEENS1_30default_config_static_selectorELNS0_4arch9wavefront6targetE0EEEvS11_.num_named_barrier, 0
	.set _ZN7rocprim17ROCPRIM_400000_NS6detail17trampoline_kernelINS0_14default_configENS1_21merge_config_selectorINS0_5tupleIJiiEEENS0_10empty_typeEEEZNS1_10merge_implIS3_NS0_12zip_iteratorINS5_IJN6thrust23THRUST_200600_302600_NS6detail15normal_iteratorINSC_10device_ptrIKiEEEESI_EEEEESK_NSA_INS5_IJNSC_16discard_iteratorINSC_11use_defaultEEESN_EEEEEPS7_SQ_SQ_NSC_11hip_rocprim7__merge17predicate_wrapperIiiNSC_4lessIiEEEEEE10hipError_tPvRmT0_T1_T2_T3_T4_T5_mmT6_P12ihipStream_tbEUlT_E0_NS1_11comp_targetILNS1_3genE5ELNS1_11target_archE942ELNS1_3gpuE9ELNS1_3repE0EEENS1_30default_config_static_selectorELNS0_4arch9wavefront6targetE0EEEvS11_.private_seg_size, 0
	.set _ZN7rocprim17ROCPRIM_400000_NS6detail17trampoline_kernelINS0_14default_configENS1_21merge_config_selectorINS0_5tupleIJiiEEENS0_10empty_typeEEEZNS1_10merge_implIS3_NS0_12zip_iteratorINS5_IJN6thrust23THRUST_200600_302600_NS6detail15normal_iteratorINSC_10device_ptrIKiEEEESI_EEEEESK_NSA_INS5_IJNSC_16discard_iteratorINSC_11use_defaultEEESN_EEEEEPS7_SQ_SQ_NSC_11hip_rocprim7__merge17predicate_wrapperIiiNSC_4lessIiEEEEEE10hipError_tPvRmT0_T1_T2_T3_T4_T5_mmT6_P12ihipStream_tbEUlT_E0_NS1_11comp_targetILNS1_3genE5ELNS1_11target_archE942ELNS1_3gpuE9ELNS1_3repE0EEENS1_30default_config_static_selectorELNS0_4arch9wavefront6targetE0EEEvS11_.uses_vcc, 0
	.set _ZN7rocprim17ROCPRIM_400000_NS6detail17trampoline_kernelINS0_14default_configENS1_21merge_config_selectorINS0_5tupleIJiiEEENS0_10empty_typeEEEZNS1_10merge_implIS3_NS0_12zip_iteratorINS5_IJN6thrust23THRUST_200600_302600_NS6detail15normal_iteratorINSC_10device_ptrIKiEEEESI_EEEEESK_NSA_INS5_IJNSC_16discard_iteratorINSC_11use_defaultEEESN_EEEEEPS7_SQ_SQ_NSC_11hip_rocprim7__merge17predicate_wrapperIiiNSC_4lessIiEEEEEE10hipError_tPvRmT0_T1_T2_T3_T4_T5_mmT6_P12ihipStream_tbEUlT_E0_NS1_11comp_targetILNS1_3genE5ELNS1_11target_archE942ELNS1_3gpuE9ELNS1_3repE0EEENS1_30default_config_static_selectorELNS0_4arch9wavefront6targetE0EEEvS11_.uses_flat_scratch, 0
	.set _ZN7rocprim17ROCPRIM_400000_NS6detail17trampoline_kernelINS0_14default_configENS1_21merge_config_selectorINS0_5tupleIJiiEEENS0_10empty_typeEEEZNS1_10merge_implIS3_NS0_12zip_iteratorINS5_IJN6thrust23THRUST_200600_302600_NS6detail15normal_iteratorINSC_10device_ptrIKiEEEESI_EEEEESK_NSA_INS5_IJNSC_16discard_iteratorINSC_11use_defaultEEESN_EEEEEPS7_SQ_SQ_NSC_11hip_rocprim7__merge17predicate_wrapperIiiNSC_4lessIiEEEEEE10hipError_tPvRmT0_T1_T2_T3_T4_T5_mmT6_P12ihipStream_tbEUlT_E0_NS1_11comp_targetILNS1_3genE5ELNS1_11target_archE942ELNS1_3gpuE9ELNS1_3repE0EEENS1_30default_config_static_selectorELNS0_4arch9wavefront6targetE0EEEvS11_.has_dyn_sized_stack, 0
	.set _ZN7rocprim17ROCPRIM_400000_NS6detail17trampoline_kernelINS0_14default_configENS1_21merge_config_selectorINS0_5tupleIJiiEEENS0_10empty_typeEEEZNS1_10merge_implIS3_NS0_12zip_iteratorINS5_IJN6thrust23THRUST_200600_302600_NS6detail15normal_iteratorINSC_10device_ptrIKiEEEESI_EEEEESK_NSA_INS5_IJNSC_16discard_iteratorINSC_11use_defaultEEESN_EEEEEPS7_SQ_SQ_NSC_11hip_rocprim7__merge17predicate_wrapperIiiNSC_4lessIiEEEEEE10hipError_tPvRmT0_T1_T2_T3_T4_T5_mmT6_P12ihipStream_tbEUlT_E0_NS1_11comp_targetILNS1_3genE5ELNS1_11target_archE942ELNS1_3gpuE9ELNS1_3repE0EEENS1_30default_config_static_selectorELNS0_4arch9wavefront6targetE0EEEvS11_.has_recursion, 0
	.set _ZN7rocprim17ROCPRIM_400000_NS6detail17trampoline_kernelINS0_14default_configENS1_21merge_config_selectorINS0_5tupleIJiiEEENS0_10empty_typeEEEZNS1_10merge_implIS3_NS0_12zip_iteratorINS5_IJN6thrust23THRUST_200600_302600_NS6detail15normal_iteratorINSC_10device_ptrIKiEEEESI_EEEEESK_NSA_INS5_IJNSC_16discard_iteratorINSC_11use_defaultEEESN_EEEEEPS7_SQ_SQ_NSC_11hip_rocprim7__merge17predicate_wrapperIiiNSC_4lessIiEEEEEE10hipError_tPvRmT0_T1_T2_T3_T4_T5_mmT6_P12ihipStream_tbEUlT_E0_NS1_11comp_targetILNS1_3genE5ELNS1_11target_archE942ELNS1_3gpuE9ELNS1_3repE0EEENS1_30default_config_static_selectorELNS0_4arch9wavefront6targetE0EEEvS11_.has_indirect_call, 0
	.section	.AMDGPU.csdata,"",@progbits
; Kernel info:
; codeLenInByte = 0
; TotalNumSgprs: 0
; NumVgprs: 0
; ScratchSize: 0
; MemoryBound: 0
; FloatMode: 240
; IeeeMode: 1
; LDSByteSize: 0 bytes/workgroup (compile time only)
; SGPRBlocks: 0
; VGPRBlocks: 0
; NumSGPRsForWavesPerEU: 1
; NumVGPRsForWavesPerEU: 1
; NamedBarCnt: 0
; Occupancy: 16
; WaveLimiterHint : 0
; COMPUTE_PGM_RSRC2:SCRATCH_EN: 0
; COMPUTE_PGM_RSRC2:USER_SGPR: 2
; COMPUTE_PGM_RSRC2:TRAP_HANDLER: 0
; COMPUTE_PGM_RSRC2:TGID_X_EN: 1
; COMPUTE_PGM_RSRC2:TGID_Y_EN: 0
; COMPUTE_PGM_RSRC2:TGID_Z_EN: 0
; COMPUTE_PGM_RSRC2:TIDIG_COMP_CNT: 0
	.section	.text._ZN7rocprim17ROCPRIM_400000_NS6detail17trampoline_kernelINS0_14default_configENS1_21merge_config_selectorINS0_5tupleIJiiEEENS0_10empty_typeEEEZNS1_10merge_implIS3_NS0_12zip_iteratorINS5_IJN6thrust23THRUST_200600_302600_NS6detail15normal_iteratorINSC_10device_ptrIKiEEEESI_EEEEESK_NSA_INS5_IJNSC_16discard_iteratorINSC_11use_defaultEEESN_EEEEEPS7_SQ_SQ_NSC_11hip_rocprim7__merge17predicate_wrapperIiiNSC_4lessIiEEEEEE10hipError_tPvRmT0_T1_T2_T3_T4_T5_mmT6_P12ihipStream_tbEUlT_E0_NS1_11comp_targetILNS1_3genE4ELNS1_11target_archE910ELNS1_3gpuE8ELNS1_3repE0EEENS1_30default_config_static_selectorELNS0_4arch9wavefront6targetE0EEEvS11_,"axG",@progbits,_ZN7rocprim17ROCPRIM_400000_NS6detail17trampoline_kernelINS0_14default_configENS1_21merge_config_selectorINS0_5tupleIJiiEEENS0_10empty_typeEEEZNS1_10merge_implIS3_NS0_12zip_iteratorINS5_IJN6thrust23THRUST_200600_302600_NS6detail15normal_iteratorINSC_10device_ptrIKiEEEESI_EEEEESK_NSA_INS5_IJNSC_16discard_iteratorINSC_11use_defaultEEESN_EEEEEPS7_SQ_SQ_NSC_11hip_rocprim7__merge17predicate_wrapperIiiNSC_4lessIiEEEEEE10hipError_tPvRmT0_T1_T2_T3_T4_T5_mmT6_P12ihipStream_tbEUlT_E0_NS1_11comp_targetILNS1_3genE4ELNS1_11target_archE910ELNS1_3gpuE8ELNS1_3repE0EEENS1_30default_config_static_selectorELNS0_4arch9wavefront6targetE0EEEvS11_,comdat
	.protected	_ZN7rocprim17ROCPRIM_400000_NS6detail17trampoline_kernelINS0_14default_configENS1_21merge_config_selectorINS0_5tupleIJiiEEENS0_10empty_typeEEEZNS1_10merge_implIS3_NS0_12zip_iteratorINS5_IJN6thrust23THRUST_200600_302600_NS6detail15normal_iteratorINSC_10device_ptrIKiEEEESI_EEEEESK_NSA_INS5_IJNSC_16discard_iteratorINSC_11use_defaultEEESN_EEEEEPS7_SQ_SQ_NSC_11hip_rocprim7__merge17predicate_wrapperIiiNSC_4lessIiEEEEEE10hipError_tPvRmT0_T1_T2_T3_T4_T5_mmT6_P12ihipStream_tbEUlT_E0_NS1_11comp_targetILNS1_3genE4ELNS1_11target_archE910ELNS1_3gpuE8ELNS1_3repE0EEENS1_30default_config_static_selectorELNS0_4arch9wavefront6targetE0EEEvS11_ ; -- Begin function _ZN7rocprim17ROCPRIM_400000_NS6detail17trampoline_kernelINS0_14default_configENS1_21merge_config_selectorINS0_5tupleIJiiEEENS0_10empty_typeEEEZNS1_10merge_implIS3_NS0_12zip_iteratorINS5_IJN6thrust23THRUST_200600_302600_NS6detail15normal_iteratorINSC_10device_ptrIKiEEEESI_EEEEESK_NSA_INS5_IJNSC_16discard_iteratorINSC_11use_defaultEEESN_EEEEEPS7_SQ_SQ_NSC_11hip_rocprim7__merge17predicate_wrapperIiiNSC_4lessIiEEEEEE10hipError_tPvRmT0_T1_T2_T3_T4_T5_mmT6_P12ihipStream_tbEUlT_E0_NS1_11comp_targetILNS1_3genE4ELNS1_11target_archE910ELNS1_3gpuE8ELNS1_3repE0EEENS1_30default_config_static_selectorELNS0_4arch9wavefront6targetE0EEEvS11_
	.globl	_ZN7rocprim17ROCPRIM_400000_NS6detail17trampoline_kernelINS0_14default_configENS1_21merge_config_selectorINS0_5tupleIJiiEEENS0_10empty_typeEEEZNS1_10merge_implIS3_NS0_12zip_iteratorINS5_IJN6thrust23THRUST_200600_302600_NS6detail15normal_iteratorINSC_10device_ptrIKiEEEESI_EEEEESK_NSA_INS5_IJNSC_16discard_iteratorINSC_11use_defaultEEESN_EEEEEPS7_SQ_SQ_NSC_11hip_rocprim7__merge17predicate_wrapperIiiNSC_4lessIiEEEEEE10hipError_tPvRmT0_T1_T2_T3_T4_T5_mmT6_P12ihipStream_tbEUlT_E0_NS1_11comp_targetILNS1_3genE4ELNS1_11target_archE910ELNS1_3gpuE8ELNS1_3repE0EEENS1_30default_config_static_selectorELNS0_4arch9wavefront6targetE0EEEvS11_
	.p2align	8
	.type	_ZN7rocprim17ROCPRIM_400000_NS6detail17trampoline_kernelINS0_14default_configENS1_21merge_config_selectorINS0_5tupleIJiiEEENS0_10empty_typeEEEZNS1_10merge_implIS3_NS0_12zip_iteratorINS5_IJN6thrust23THRUST_200600_302600_NS6detail15normal_iteratorINSC_10device_ptrIKiEEEESI_EEEEESK_NSA_INS5_IJNSC_16discard_iteratorINSC_11use_defaultEEESN_EEEEEPS7_SQ_SQ_NSC_11hip_rocprim7__merge17predicate_wrapperIiiNSC_4lessIiEEEEEE10hipError_tPvRmT0_T1_T2_T3_T4_T5_mmT6_P12ihipStream_tbEUlT_E0_NS1_11comp_targetILNS1_3genE4ELNS1_11target_archE910ELNS1_3gpuE8ELNS1_3repE0EEENS1_30default_config_static_selectorELNS0_4arch9wavefront6targetE0EEEvS11_,@function
_ZN7rocprim17ROCPRIM_400000_NS6detail17trampoline_kernelINS0_14default_configENS1_21merge_config_selectorINS0_5tupleIJiiEEENS0_10empty_typeEEEZNS1_10merge_implIS3_NS0_12zip_iteratorINS5_IJN6thrust23THRUST_200600_302600_NS6detail15normal_iteratorINSC_10device_ptrIKiEEEESI_EEEEESK_NSA_INS5_IJNSC_16discard_iteratorINSC_11use_defaultEEESN_EEEEEPS7_SQ_SQ_NSC_11hip_rocprim7__merge17predicate_wrapperIiiNSC_4lessIiEEEEEE10hipError_tPvRmT0_T1_T2_T3_T4_T5_mmT6_P12ihipStream_tbEUlT_E0_NS1_11comp_targetILNS1_3genE4ELNS1_11target_archE910ELNS1_3gpuE8ELNS1_3repE0EEENS1_30default_config_static_selectorELNS0_4arch9wavefront6targetE0EEEvS11_: ; @_ZN7rocprim17ROCPRIM_400000_NS6detail17trampoline_kernelINS0_14default_configENS1_21merge_config_selectorINS0_5tupleIJiiEEENS0_10empty_typeEEEZNS1_10merge_implIS3_NS0_12zip_iteratorINS5_IJN6thrust23THRUST_200600_302600_NS6detail15normal_iteratorINSC_10device_ptrIKiEEEESI_EEEEESK_NSA_INS5_IJNSC_16discard_iteratorINSC_11use_defaultEEESN_EEEEEPS7_SQ_SQ_NSC_11hip_rocprim7__merge17predicate_wrapperIiiNSC_4lessIiEEEEEE10hipError_tPvRmT0_T1_T2_T3_T4_T5_mmT6_P12ihipStream_tbEUlT_E0_NS1_11comp_targetILNS1_3genE4ELNS1_11target_archE910ELNS1_3gpuE8ELNS1_3repE0EEENS1_30default_config_static_selectorELNS0_4arch9wavefront6targetE0EEEvS11_
; %bb.0:
	.section	.rodata,"a",@progbits
	.p2align	6, 0x0
	.amdhsa_kernel _ZN7rocprim17ROCPRIM_400000_NS6detail17trampoline_kernelINS0_14default_configENS1_21merge_config_selectorINS0_5tupleIJiiEEENS0_10empty_typeEEEZNS1_10merge_implIS3_NS0_12zip_iteratorINS5_IJN6thrust23THRUST_200600_302600_NS6detail15normal_iteratorINSC_10device_ptrIKiEEEESI_EEEEESK_NSA_INS5_IJNSC_16discard_iteratorINSC_11use_defaultEEESN_EEEEEPS7_SQ_SQ_NSC_11hip_rocprim7__merge17predicate_wrapperIiiNSC_4lessIiEEEEEE10hipError_tPvRmT0_T1_T2_T3_T4_T5_mmT6_P12ihipStream_tbEUlT_E0_NS1_11comp_targetILNS1_3genE4ELNS1_11target_archE910ELNS1_3gpuE8ELNS1_3repE0EEENS1_30default_config_static_selectorELNS0_4arch9wavefront6targetE0EEEvS11_
		.amdhsa_group_segment_fixed_size 0
		.amdhsa_private_segment_fixed_size 0
		.amdhsa_kernarg_size 128
		.amdhsa_user_sgpr_count 2
		.amdhsa_user_sgpr_dispatch_ptr 0
		.amdhsa_user_sgpr_queue_ptr 0
		.amdhsa_user_sgpr_kernarg_segment_ptr 1
		.amdhsa_user_sgpr_dispatch_id 0
		.amdhsa_user_sgpr_kernarg_preload_length 0
		.amdhsa_user_sgpr_kernarg_preload_offset 0
		.amdhsa_user_sgpr_private_segment_size 0
		.amdhsa_wavefront_size32 1
		.amdhsa_uses_dynamic_stack 0
		.amdhsa_enable_private_segment 0
		.amdhsa_system_sgpr_workgroup_id_x 1
		.amdhsa_system_sgpr_workgroup_id_y 0
		.amdhsa_system_sgpr_workgroup_id_z 0
		.amdhsa_system_sgpr_workgroup_info 0
		.amdhsa_system_vgpr_workitem_id 0
		.amdhsa_next_free_vgpr 1
		.amdhsa_next_free_sgpr 1
		.amdhsa_named_barrier_count 0
		.amdhsa_reserve_vcc 0
		.amdhsa_float_round_mode_32 0
		.amdhsa_float_round_mode_16_64 0
		.amdhsa_float_denorm_mode_32 3
		.amdhsa_float_denorm_mode_16_64 3
		.amdhsa_fp16_overflow 0
		.amdhsa_memory_ordered 1
		.amdhsa_forward_progress 1
		.amdhsa_inst_pref_size 0
		.amdhsa_round_robin_scheduling 0
		.amdhsa_exception_fp_ieee_invalid_op 0
		.amdhsa_exception_fp_denorm_src 0
		.amdhsa_exception_fp_ieee_div_zero 0
		.amdhsa_exception_fp_ieee_overflow 0
		.amdhsa_exception_fp_ieee_underflow 0
		.amdhsa_exception_fp_ieee_inexact 0
		.amdhsa_exception_int_div_zero 0
	.end_amdhsa_kernel
	.section	.text._ZN7rocprim17ROCPRIM_400000_NS6detail17trampoline_kernelINS0_14default_configENS1_21merge_config_selectorINS0_5tupleIJiiEEENS0_10empty_typeEEEZNS1_10merge_implIS3_NS0_12zip_iteratorINS5_IJN6thrust23THRUST_200600_302600_NS6detail15normal_iteratorINSC_10device_ptrIKiEEEESI_EEEEESK_NSA_INS5_IJNSC_16discard_iteratorINSC_11use_defaultEEESN_EEEEEPS7_SQ_SQ_NSC_11hip_rocprim7__merge17predicate_wrapperIiiNSC_4lessIiEEEEEE10hipError_tPvRmT0_T1_T2_T3_T4_T5_mmT6_P12ihipStream_tbEUlT_E0_NS1_11comp_targetILNS1_3genE4ELNS1_11target_archE910ELNS1_3gpuE8ELNS1_3repE0EEENS1_30default_config_static_selectorELNS0_4arch9wavefront6targetE0EEEvS11_,"axG",@progbits,_ZN7rocprim17ROCPRIM_400000_NS6detail17trampoline_kernelINS0_14default_configENS1_21merge_config_selectorINS0_5tupleIJiiEEENS0_10empty_typeEEEZNS1_10merge_implIS3_NS0_12zip_iteratorINS5_IJN6thrust23THRUST_200600_302600_NS6detail15normal_iteratorINSC_10device_ptrIKiEEEESI_EEEEESK_NSA_INS5_IJNSC_16discard_iteratorINSC_11use_defaultEEESN_EEEEEPS7_SQ_SQ_NSC_11hip_rocprim7__merge17predicate_wrapperIiiNSC_4lessIiEEEEEE10hipError_tPvRmT0_T1_T2_T3_T4_T5_mmT6_P12ihipStream_tbEUlT_E0_NS1_11comp_targetILNS1_3genE4ELNS1_11target_archE910ELNS1_3gpuE8ELNS1_3repE0EEENS1_30default_config_static_selectorELNS0_4arch9wavefront6targetE0EEEvS11_,comdat
.Lfunc_end598:
	.size	_ZN7rocprim17ROCPRIM_400000_NS6detail17trampoline_kernelINS0_14default_configENS1_21merge_config_selectorINS0_5tupleIJiiEEENS0_10empty_typeEEEZNS1_10merge_implIS3_NS0_12zip_iteratorINS5_IJN6thrust23THRUST_200600_302600_NS6detail15normal_iteratorINSC_10device_ptrIKiEEEESI_EEEEESK_NSA_INS5_IJNSC_16discard_iteratorINSC_11use_defaultEEESN_EEEEEPS7_SQ_SQ_NSC_11hip_rocprim7__merge17predicate_wrapperIiiNSC_4lessIiEEEEEE10hipError_tPvRmT0_T1_T2_T3_T4_T5_mmT6_P12ihipStream_tbEUlT_E0_NS1_11comp_targetILNS1_3genE4ELNS1_11target_archE910ELNS1_3gpuE8ELNS1_3repE0EEENS1_30default_config_static_selectorELNS0_4arch9wavefront6targetE0EEEvS11_, .Lfunc_end598-_ZN7rocprim17ROCPRIM_400000_NS6detail17trampoline_kernelINS0_14default_configENS1_21merge_config_selectorINS0_5tupleIJiiEEENS0_10empty_typeEEEZNS1_10merge_implIS3_NS0_12zip_iteratorINS5_IJN6thrust23THRUST_200600_302600_NS6detail15normal_iteratorINSC_10device_ptrIKiEEEESI_EEEEESK_NSA_INS5_IJNSC_16discard_iteratorINSC_11use_defaultEEESN_EEEEEPS7_SQ_SQ_NSC_11hip_rocprim7__merge17predicate_wrapperIiiNSC_4lessIiEEEEEE10hipError_tPvRmT0_T1_T2_T3_T4_T5_mmT6_P12ihipStream_tbEUlT_E0_NS1_11comp_targetILNS1_3genE4ELNS1_11target_archE910ELNS1_3gpuE8ELNS1_3repE0EEENS1_30default_config_static_selectorELNS0_4arch9wavefront6targetE0EEEvS11_
                                        ; -- End function
	.set _ZN7rocprim17ROCPRIM_400000_NS6detail17trampoline_kernelINS0_14default_configENS1_21merge_config_selectorINS0_5tupleIJiiEEENS0_10empty_typeEEEZNS1_10merge_implIS3_NS0_12zip_iteratorINS5_IJN6thrust23THRUST_200600_302600_NS6detail15normal_iteratorINSC_10device_ptrIKiEEEESI_EEEEESK_NSA_INS5_IJNSC_16discard_iteratorINSC_11use_defaultEEESN_EEEEEPS7_SQ_SQ_NSC_11hip_rocprim7__merge17predicate_wrapperIiiNSC_4lessIiEEEEEE10hipError_tPvRmT0_T1_T2_T3_T4_T5_mmT6_P12ihipStream_tbEUlT_E0_NS1_11comp_targetILNS1_3genE4ELNS1_11target_archE910ELNS1_3gpuE8ELNS1_3repE0EEENS1_30default_config_static_selectorELNS0_4arch9wavefront6targetE0EEEvS11_.num_vgpr, 0
	.set _ZN7rocprim17ROCPRIM_400000_NS6detail17trampoline_kernelINS0_14default_configENS1_21merge_config_selectorINS0_5tupleIJiiEEENS0_10empty_typeEEEZNS1_10merge_implIS3_NS0_12zip_iteratorINS5_IJN6thrust23THRUST_200600_302600_NS6detail15normal_iteratorINSC_10device_ptrIKiEEEESI_EEEEESK_NSA_INS5_IJNSC_16discard_iteratorINSC_11use_defaultEEESN_EEEEEPS7_SQ_SQ_NSC_11hip_rocprim7__merge17predicate_wrapperIiiNSC_4lessIiEEEEEE10hipError_tPvRmT0_T1_T2_T3_T4_T5_mmT6_P12ihipStream_tbEUlT_E0_NS1_11comp_targetILNS1_3genE4ELNS1_11target_archE910ELNS1_3gpuE8ELNS1_3repE0EEENS1_30default_config_static_selectorELNS0_4arch9wavefront6targetE0EEEvS11_.num_agpr, 0
	.set _ZN7rocprim17ROCPRIM_400000_NS6detail17trampoline_kernelINS0_14default_configENS1_21merge_config_selectorINS0_5tupleIJiiEEENS0_10empty_typeEEEZNS1_10merge_implIS3_NS0_12zip_iteratorINS5_IJN6thrust23THRUST_200600_302600_NS6detail15normal_iteratorINSC_10device_ptrIKiEEEESI_EEEEESK_NSA_INS5_IJNSC_16discard_iteratorINSC_11use_defaultEEESN_EEEEEPS7_SQ_SQ_NSC_11hip_rocprim7__merge17predicate_wrapperIiiNSC_4lessIiEEEEEE10hipError_tPvRmT0_T1_T2_T3_T4_T5_mmT6_P12ihipStream_tbEUlT_E0_NS1_11comp_targetILNS1_3genE4ELNS1_11target_archE910ELNS1_3gpuE8ELNS1_3repE0EEENS1_30default_config_static_selectorELNS0_4arch9wavefront6targetE0EEEvS11_.numbered_sgpr, 0
	.set _ZN7rocprim17ROCPRIM_400000_NS6detail17trampoline_kernelINS0_14default_configENS1_21merge_config_selectorINS0_5tupleIJiiEEENS0_10empty_typeEEEZNS1_10merge_implIS3_NS0_12zip_iteratorINS5_IJN6thrust23THRUST_200600_302600_NS6detail15normal_iteratorINSC_10device_ptrIKiEEEESI_EEEEESK_NSA_INS5_IJNSC_16discard_iteratorINSC_11use_defaultEEESN_EEEEEPS7_SQ_SQ_NSC_11hip_rocprim7__merge17predicate_wrapperIiiNSC_4lessIiEEEEEE10hipError_tPvRmT0_T1_T2_T3_T4_T5_mmT6_P12ihipStream_tbEUlT_E0_NS1_11comp_targetILNS1_3genE4ELNS1_11target_archE910ELNS1_3gpuE8ELNS1_3repE0EEENS1_30default_config_static_selectorELNS0_4arch9wavefront6targetE0EEEvS11_.num_named_barrier, 0
	.set _ZN7rocprim17ROCPRIM_400000_NS6detail17trampoline_kernelINS0_14default_configENS1_21merge_config_selectorINS0_5tupleIJiiEEENS0_10empty_typeEEEZNS1_10merge_implIS3_NS0_12zip_iteratorINS5_IJN6thrust23THRUST_200600_302600_NS6detail15normal_iteratorINSC_10device_ptrIKiEEEESI_EEEEESK_NSA_INS5_IJNSC_16discard_iteratorINSC_11use_defaultEEESN_EEEEEPS7_SQ_SQ_NSC_11hip_rocprim7__merge17predicate_wrapperIiiNSC_4lessIiEEEEEE10hipError_tPvRmT0_T1_T2_T3_T4_T5_mmT6_P12ihipStream_tbEUlT_E0_NS1_11comp_targetILNS1_3genE4ELNS1_11target_archE910ELNS1_3gpuE8ELNS1_3repE0EEENS1_30default_config_static_selectorELNS0_4arch9wavefront6targetE0EEEvS11_.private_seg_size, 0
	.set _ZN7rocprim17ROCPRIM_400000_NS6detail17trampoline_kernelINS0_14default_configENS1_21merge_config_selectorINS0_5tupleIJiiEEENS0_10empty_typeEEEZNS1_10merge_implIS3_NS0_12zip_iteratorINS5_IJN6thrust23THRUST_200600_302600_NS6detail15normal_iteratorINSC_10device_ptrIKiEEEESI_EEEEESK_NSA_INS5_IJNSC_16discard_iteratorINSC_11use_defaultEEESN_EEEEEPS7_SQ_SQ_NSC_11hip_rocprim7__merge17predicate_wrapperIiiNSC_4lessIiEEEEEE10hipError_tPvRmT0_T1_T2_T3_T4_T5_mmT6_P12ihipStream_tbEUlT_E0_NS1_11comp_targetILNS1_3genE4ELNS1_11target_archE910ELNS1_3gpuE8ELNS1_3repE0EEENS1_30default_config_static_selectorELNS0_4arch9wavefront6targetE0EEEvS11_.uses_vcc, 0
	.set _ZN7rocprim17ROCPRIM_400000_NS6detail17trampoline_kernelINS0_14default_configENS1_21merge_config_selectorINS0_5tupleIJiiEEENS0_10empty_typeEEEZNS1_10merge_implIS3_NS0_12zip_iteratorINS5_IJN6thrust23THRUST_200600_302600_NS6detail15normal_iteratorINSC_10device_ptrIKiEEEESI_EEEEESK_NSA_INS5_IJNSC_16discard_iteratorINSC_11use_defaultEEESN_EEEEEPS7_SQ_SQ_NSC_11hip_rocprim7__merge17predicate_wrapperIiiNSC_4lessIiEEEEEE10hipError_tPvRmT0_T1_T2_T3_T4_T5_mmT6_P12ihipStream_tbEUlT_E0_NS1_11comp_targetILNS1_3genE4ELNS1_11target_archE910ELNS1_3gpuE8ELNS1_3repE0EEENS1_30default_config_static_selectorELNS0_4arch9wavefront6targetE0EEEvS11_.uses_flat_scratch, 0
	.set _ZN7rocprim17ROCPRIM_400000_NS6detail17trampoline_kernelINS0_14default_configENS1_21merge_config_selectorINS0_5tupleIJiiEEENS0_10empty_typeEEEZNS1_10merge_implIS3_NS0_12zip_iteratorINS5_IJN6thrust23THRUST_200600_302600_NS6detail15normal_iteratorINSC_10device_ptrIKiEEEESI_EEEEESK_NSA_INS5_IJNSC_16discard_iteratorINSC_11use_defaultEEESN_EEEEEPS7_SQ_SQ_NSC_11hip_rocprim7__merge17predicate_wrapperIiiNSC_4lessIiEEEEEE10hipError_tPvRmT0_T1_T2_T3_T4_T5_mmT6_P12ihipStream_tbEUlT_E0_NS1_11comp_targetILNS1_3genE4ELNS1_11target_archE910ELNS1_3gpuE8ELNS1_3repE0EEENS1_30default_config_static_selectorELNS0_4arch9wavefront6targetE0EEEvS11_.has_dyn_sized_stack, 0
	.set _ZN7rocprim17ROCPRIM_400000_NS6detail17trampoline_kernelINS0_14default_configENS1_21merge_config_selectorINS0_5tupleIJiiEEENS0_10empty_typeEEEZNS1_10merge_implIS3_NS0_12zip_iteratorINS5_IJN6thrust23THRUST_200600_302600_NS6detail15normal_iteratorINSC_10device_ptrIKiEEEESI_EEEEESK_NSA_INS5_IJNSC_16discard_iteratorINSC_11use_defaultEEESN_EEEEEPS7_SQ_SQ_NSC_11hip_rocprim7__merge17predicate_wrapperIiiNSC_4lessIiEEEEEE10hipError_tPvRmT0_T1_T2_T3_T4_T5_mmT6_P12ihipStream_tbEUlT_E0_NS1_11comp_targetILNS1_3genE4ELNS1_11target_archE910ELNS1_3gpuE8ELNS1_3repE0EEENS1_30default_config_static_selectorELNS0_4arch9wavefront6targetE0EEEvS11_.has_recursion, 0
	.set _ZN7rocprim17ROCPRIM_400000_NS6detail17trampoline_kernelINS0_14default_configENS1_21merge_config_selectorINS0_5tupleIJiiEEENS0_10empty_typeEEEZNS1_10merge_implIS3_NS0_12zip_iteratorINS5_IJN6thrust23THRUST_200600_302600_NS6detail15normal_iteratorINSC_10device_ptrIKiEEEESI_EEEEESK_NSA_INS5_IJNSC_16discard_iteratorINSC_11use_defaultEEESN_EEEEEPS7_SQ_SQ_NSC_11hip_rocprim7__merge17predicate_wrapperIiiNSC_4lessIiEEEEEE10hipError_tPvRmT0_T1_T2_T3_T4_T5_mmT6_P12ihipStream_tbEUlT_E0_NS1_11comp_targetILNS1_3genE4ELNS1_11target_archE910ELNS1_3gpuE8ELNS1_3repE0EEENS1_30default_config_static_selectorELNS0_4arch9wavefront6targetE0EEEvS11_.has_indirect_call, 0
	.section	.AMDGPU.csdata,"",@progbits
; Kernel info:
; codeLenInByte = 0
; TotalNumSgprs: 0
; NumVgprs: 0
; ScratchSize: 0
; MemoryBound: 0
; FloatMode: 240
; IeeeMode: 1
; LDSByteSize: 0 bytes/workgroup (compile time only)
; SGPRBlocks: 0
; VGPRBlocks: 0
; NumSGPRsForWavesPerEU: 1
; NumVGPRsForWavesPerEU: 1
; NamedBarCnt: 0
; Occupancy: 16
; WaveLimiterHint : 0
; COMPUTE_PGM_RSRC2:SCRATCH_EN: 0
; COMPUTE_PGM_RSRC2:USER_SGPR: 2
; COMPUTE_PGM_RSRC2:TRAP_HANDLER: 0
; COMPUTE_PGM_RSRC2:TGID_X_EN: 1
; COMPUTE_PGM_RSRC2:TGID_Y_EN: 0
; COMPUTE_PGM_RSRC2:TGID_Z_EN: 0
; COMPUTE_PGM_RSRC2:TIDIG_COMP_CNT: 0
	.section	.text._ZN7rocprim17ROCPRIM_400000_NS6detail17trampoline_kernelINS0_14default_configENS1_21merge_config_selectorINS0_5tupleIJiiEEENS0_10empty_typeEEEZNS1_10merge_implIS3_NS0_12zip_iteratorINS5_IJN6thrust23THRUST_200600_302600_NS6detail15normal_iteratorINSC_10device_ptrIKiEEEESI_EEEEESK_NSA_INS5_IJNSC_16discard_iteratorINSC_11use_defaultEEESN_EEEEEPS7_SQ_SQ_NSC_11hip_rocprim7__merge17predicate_wrapperIiiNSC_4lessIiEEEEEE10hipError_tPvRmT0_T1_T2_T3_T4_T5_mmT6_P12ihipStream_tbEUlT_E0_NS1_11comp_targetILNS1_3genE3ELNS1_11target_archE908ELNS1_3gpuE7ELNS1_3repE0EEENS1_30default_config_static_selectorELNS0_4arch9wavefront6targetE0EEEvS11_,"axG",@progbits,_ZN7rocprim17ROCPRIM_400000_NS6detail17trampoline_kernelINS0_14default_configENS1_21merge_config_selectorINS0_5tupleIJiiEEENS0_10empty_typeEEEZNS1_10merge_implIS3_NS0_12zip_iteratorINS5_IJN6thrust23THRUST_200600_302600_NS6detail15normal_iteratorINSC_10device_ptrIKiEEEESI_EEEEESK_NSA_INS5_IJNSC_16discard_iteratorINSC_11use_defaultEEESN_EEEEEPS7_SQ_SQ_NSC_11hip_rocprim7__merge17predicate_wrapperIiiNSC_4lessIiEEEEEE10hipError_tPvRmT0_T1_T2_T3_T4_T5_mmT6_P12ihipStream_tbEUlT_E0_NS1_11comp_targetILNS1_3genE3ELNS1_11target_archE908ELNS1_3gpuE7ELNS1_3repE0EEENS1_30default_config_static_selectorELNS0_4arch9wavefront6targetE0EEEvS11_,comdat
	.protected	_ZN7rocprim17ROCPRIM_400000_NS6detail17trampoline_kernelINS0_14default_configENS1_21merge_config_selectorINS0_5tupleIJiiEEENS0_10empty_typeEEEZNS1_10merge_implIS3_NS0_12zip_iteratorINS5_IJN6thrust23THRUST_200600_302600_NS6detail15normal_iteratorINSC_10device_ptrIKiEEEESI_EEEEESK_NSA_INS5_IJNSC_16discard_iteratorINSC_11use_defaultEEESN_EEEEEPS7_SQ_SQ_NSC_11hip_rocprim7__merge17predicate_wrapperIiiNSC_4lessIiEEEEEE10hipError_tPvRmT0_T1_T2_T3_T4_T5_mmT6_P12ihipStream_tbEUlT_E0_NS1_11comp_targetILNS1_3genE3ELNS1_11target_archE908ELNS1_3gpuE7ELNS1_3repE0EEENS1_30default_config_static_selectorELNS0_4arch9wavefront6targetE0EEEvS11_ ; -- Begin function _ZN7rocprim17ROCPRIM_400000_NS6detail17trampoline_kernelINS0_14default_configENS1_21merge_config_selectorINS0_5tupleIJiiEEENS0_10empty_typeEEEZNS1_10merge_implIS3_NS0_12zip_iteratorINS5_IJN6thrust23THRUST_200600_302600_NS6detail15normal_iteratorINSC_10device_ptrIKiEEEESI_EEEEESK_NSA_INS5_IJNSC_16discard_iteratorINSC_11use_defaultEEESN_EEEEEPS7_SQ_SQ_NSC_11hip_rocprim7__merge17predicate_wrapperIiiNSC_4lessIiEEEEEE10hipError_tPvRmT0_T1_T2_T3_T4_T5_mmT6_P12ihipStream_tbEUlT_E0_NS1_11comp_targetILNS1_3genE3ELNS1_11target_archE908ELNS1_3gpuE7ELNS1_3repE0EEENS1_30default_config_static_selectorELNS0_4arch9wavefront6targetE0EEEvS11_
	.globl	_ZN7rocprim17ROCPRIM_400000_NS6detail17trampoline_kernelINS0_14default_configENS1_21merge_config_selectorINS0_5tupleIJiiEEENS0_10empty_typeEEEZNS1_10merge_implIS3_NS0_12zip_iteratorINS5_IJN6thrust23THRUST_200600_302600_NS6detail15normal_iteratorINSC_10device_ptrIKiEEEESI_EEEEESK_NSA_INS5_IJNSC_16discard_iteratorINSC_11use_defaultEEESN_EEEEEPS7_SQ_SQ_NSC_11hip_rocprim7__merge17predicate_wrapperIiiNSC_4lessIiEEEEEE10hipError_tPvRmT0_T1_T2_T3_T4_T5_mmT6_P12ihipStream_tbEUlT_E0_NS1_11comp_targetILNS1_3genE3ELNS1_11target_archE908ELNS1_3gpuE7ELNS1_3repE0EEENS1_30default_config_static_selectorELNS0_4arch9wavefront6targetE0EEEvS11_
	.p2align	8
	.type	_ZN7rocprim17ROCPRIM_400000_NS6detail17trampoline_kernelINS0_14default_configENS1_21merge_config_selectorINS0_5tupleIJiiEEENS0_10empty_typeEEEZNS1_10merge_implIS3_NS0_12zip_iteratorINS5_IJN6thrust23THRUST_200600_302600_NS6detail15normal_iteratorINSC_10device_ptrIKiEEEESI_EEEEESK_NSA_INS5_IJNSC_16discard_iteratorINSC_11use_defaultEEESN_EEEEEPS7_SQ_SQ_NSC_11hip_rocprim7__merge17predicate_wrapperIiiNSC_4lessIiEEEEEE10hipError_tPvRmT0_T1_T2_T3_T4_T5_mmT6_P12ihipStream_tbEUlT_E0_NS1_11comp_targetILNS1_3genE3ELNS1_11target_archE908ELNS1_3gpuE7ELNS1_3repE0EEENS1_30default_config_static_selectorELNS0_4arch9wavefront6targetE0EEEvS11_,@function
_ZN7rocprim17ROCPRIM_400000_NS6detail17trampoline_kernelINS0_14default_configENS1_21merge_config_selectorINS0_5tupleIJiiEEENS0_10empty_typeEEEZNS1_10merge_implIS3_NS0_12zip_iteratorINS5_IJN6thrust23THRUST_200600_302600_NS6detail15normal_iteratorINSC_10device_ptrIKiEEEESI_EEEEESK_NSA_INS5_IJNSC_16discard_iteratorINSC_11use_defaultEEESN_EEEEEPS7_SQ_SQ_NSC_11hip_rocprim7__merge17predicate_wrapperIiiNSC_4lessIiEEEEEE10hipError_tPvRmT0_T1_T2_T3_T4_T5_mmT6_P12ihipStream_tbEUlT_E0_NS1_11comp_targetILNS1_3genE3ELNS1_11target_archE908ELNS1_3gpuE7ELNS1_3repE0EEENS1_30default_config_static_selectorELNS0_4arch9wavefront6targetE0EEEvS11_: ; @_ZN7rocprim17ROCPRIM_400000_NS6detail17trampoline_kernelINS0_14default_configENS1_21merge_config_selectorINS0_5tupleIJiiEEENS0_10empty_typeEEEZNS1_10merge_implIS3_NS0_12zip_iteratorINS5_IJN6thrust23THRUST_200600_302600_NS6detail15normal_iteratorINSC_10device_ptrIKiEEEESI_EEEEESK_NSA_INS5_IJNSC_16discard_iteratorINSC_11use_defaultEEESN_EEEEEPS7_SQ_SQ_NSC_11hip_rocprim7__merge17predicate_wrapperIiiNSC_4lessIiEEEEEE10hipError_tPvRmT0_T1_T2_T3_T4_T5_mmT6_P12ihipStream_tbEUlT_E0_NS1_11comp_targetILNS1_3genE3ELNS1_11target_archE908ELNS1_3gpuE7ELNS1_3repE0EEENS1_30default_config_static_selectorELNS0_4arch9wavefront6targetE0EEEvS11_
; %bb.0:
	.section	.rodata,"a",@progbits
	.p2align	6, 0x0
	.amdhsa_kernel _ZN7rocprim17ROCPRIM_400000_NS6detail17trampoline_kernelINS0_14default_configENS1_21merge_config_selectorINS0_5tupleIJiiEEENS0_10empty_typeEEEZNS1_10merge_implIS3_NS0_12zip_iteratorINS5_IJN6thrust23THRUST_200600_302600_NS6detail15normal_iteratorINSC_10device_ptrIKiEEEESI_EEEEESK_NSA_INS5_IJNSC_16discard_iteratorINSC_11use_defaultEEESN_EEEEEPS7_SQ_SQ_NSC_11hip_rocprim7__merge17predicate_wrapperIiiNSC_4lessIiEEEEEE10hipError_tPvRmT0_T1_T2_T3_T4_T5_mmT6_P12ihipStream_tbEUlT_E0_NS1_11comp_targetILNS1_3genE3ELNS1_11target_archE908ELNS1_3gpuE7ELNS1_3repE0EEENS1_30default_config_static_selectorELNS0_4arch9wavefront6targetE0EEEvS11_
		.amdhsa_group_segment_fixed_size 0
		.amdhsa_private_segment_fixed_size 0
		.amdhsa_kernarg_size 128
		.amdhsa_user_sgpr_count 2
		.amdhsa_user_sgpr_dispatch_ptr 0
		.amdhsa_user_sgpr_queue_ptr 0
		.amdhsa_user_sgpr_kernarg_segment_ptr 1
		.amdhsa_user_sgpr_dispatch_id 0
		.amdhsa_user_sgpr_kernarg_preload_length 0
		.amdhsa_user_sgpr_kernarg_preload_offset 0
		.amdhsa_user_sgpr_private_segment_size 0
		.amdhsa_wavefront_size32 1
		.amdhsa_uses_dynamic_stack 0
		.amdhsa_enable_private_segment 0
		.amdhsa_system_sgpr_workgroup_id_x 1
		.amdhsa_system_sgpr_workgroup_id_y 0
		.amdhsa_system_sgpr_workgroup_id_z 0
		.amdhsa_system_sgpr_workgroup_info 0
		.amdhsa_system_vgpr_workitem_id 0
		.amdhsa_next_free_vgpr 1
		.amdhsa_next_free_sgpr 1
		.amdhsa_named_barrier_count 0
		.amdhsa_reserve_vcc 0
		.amdhsa_float_round_mode_32 0
		.amdhsa_float_round_mode_16_64 0
		.amdhsa_float_denorm_mode_32 3
		.amdhsa_float_denorm_mode_16_64 3
		.amdhsa_fp16_overflow 0
		.amdhsa_memory_ordered 1
		.amdhsa_forward_progress 1
		.amdhsa_inst_pref_size 0
		.amdhsa_round_robin_scheduling 0
		.amdhsa_exception_fp_ieee_invalid_op 0
		.amdhsa_exception_fp_denorm_src 0
		.amdhsa_exception_fp_ieee_div_zero 0
		.amdhsa_exception_fp_ieee_overflow 0
		.amdhsa_exception_fp_ieee_underflow 0
		.amdhsa_exception_fp_ieee_inexact 0
		.amdhsa_exception_int_div_zero 0
	.end_amdhsa_kernel
	.section	.text._ZN7rocprim17ROCPRIM_400000_NS6detail17trampoline_kernelINS0_14default_configENS1_21merge_config_selectorINS0_5tupleIJiiEEENS0_10empty_typeEEEZNS1_10merge_implIS3_NS0_12zip_iteratorINS5_IJN6thrust23THRUST_200600_302600_NS6detail15normal_iteratorINSC_10device_ptrIKiEEEESI_EEEEESK_NSA_INS5_IJNSC_16discard_iteratorINSC_11use_defaultEEESN_EEEEEPS7_SQ_SQ_NSC_11hip_rocprim7__merge17predicate_wrapperIiiNSC_4lessIiEEEEEE10hipError_tPvRmT0_T1_T2_T3_T4_T5_mmT6_P12ihipStream_tbEUlT_E0_NS1_11comp_targetILNS1_3genE3ELNS1_11target_archE908ELNS1_3gpuE7ELNS1_3repE0EEENS1_30default_config_static_selectorELNS0_4arch9wavefront6targetE0EEEvS11_,"axG",@progbits,_ZN7rocprim17ROCPRIM_400000_NS6detail17trampoline_kernelINS0_14default_configENS1_21merge_config_selectorINS0_5tupleIJiiEEENS0_10empty_typeEEEZNS1_10merge_implIS3_NS0_12zip_iteratorINS5_IJN6thrust23THRUST_200600_302600_NS6detail15normal_iteratorINSC_10device_ptrIKiEEEESI_EEEEESK_NSA_INS5_IJNSC_16discard_iteratorINSC_11use_defaultEEESN_EEEEEPS7_SQ_SQ_NSC_11hip_rocprim7__merge17predicate_wrapperIiiNSC_4lessIiEEEEEE10hipError_tPvRmT0_T1_T2_T3_T4_T5_mmT6_P12ihipStream_tbEUlT_E0_NS1_11comp_targetILNS1_3genE3ELNS1_11target_archE908ELNS1_3gpuE7ELNS1_3repE0EEENS1_30default_config_static_selectorELNS0_4arch9wavefront6targetE0EEEvS11_,comdat
.Lfunc_end599:
	.size	_ZN7rocprim17ROCPRIM_400000_NS6detail17trampoline_kernelINS0_14default_configENS1_21merge_config_selectorINS0_5tupleIJiiEEENS0_10empty_typeEEEZNS1_10merge_implIS3_NS0_12zip_iteratorINS5_IJN6thrust23THRUST_200600_302600_NS6detail15normal_iteratorINSC_10device_ptrIKiEEEESI_EEEEESK_NSA_INS5_IJNSC_16discard_iteratorINSC_11use_defaultEEESN_EEEEEPS7_SQ_SQ_NSC_11hip_rocprim7__merge17predicate_wrapperIiiNSC_4lessIiEEEEEE10hipError_tPvRmT0_T1_T2_T3_T4_T5_mmT6_P12ihipStream_tbEUlT_E0_NS1_11comp_targetILNS1_3genE3ELNS1_11target_archE908ELNS1_3gpuE7ELNS1_3repE0EEENS1_30default_config_static_selectorELNS0_4arch9wavefront6targetE0EEEvS11_, .Lfunc_end599-_ZN7rocprim17ROCPRIM_400000_NS6detail17trampoline_kernelINS0_14default_configENS1_21merge_config_selectorINS0_5tupleIJiiEEENS0_10empty_typeEEEZNS1_10merge_implIS3_NS0_12zip_iteratorINS5_IJN6thrust23THRUST_200600_302600_NS6detail15normal_iteratorINSC_10device_ptrIKiEEEESI_EEEEESK_NSA_INS5_IJNSC_16discard_iteratorINSC_11use_defaultEEESN_EEEEEPS7_SQ_SQ_NSC_11hip_rocprim7__merge17predicate_wrapperIiiNSC_4lessIiEEEEEE10hipError_tPvRmT0_T1_T2_T3_T4_T5_mmT6_P12ihipStream_tbEUlT_E0_NS1_11comp_targetILNS1_3genE3ELNS1_11target_archE908ELNS1_3gpuE7ELNS1_3repE0EEENS1_30default_config_static_selectorELNS0_4arch9wavefront6targetE0EEEvS11_
                                        ; -- End function
	.set _ZN7rocprim17ROCPRIM_400000_NS6detail17trampoline_kernelINS0_14default_configENS1_21merge_config_selectorINS0_5tupleIJiiEEENS0_10empty_typeEEEZNS1_10merge_implIS3_NS0_12zip_iteratorINS5_IJN6thrust23THRUST_200600_302600_NS6detail15normal_iteratorINSC_10device_ptrIKiEEEESI_EEEEESK_NSA_INS5_IJNSC_16discard_iteratorINSC_11use_defaultEEESN_EEEEEPS7_SQ_SQ_NSC_11hip_rocprim7__merge17predicate_wrapperIiiNSC_4lessIiEEEEEE10hipError_tPvRmT0_T1_T2_T3_T4_T5_mmT6_P12ihipStream_tbEUlT_E0_NS1_11comp_targetILNS1_3genE3ELNS1_11target_archE908ELNS1_3gpuE7ELNS1_3repE0EEENS1_30default_config_static_selectorELNS0_4arch9wavefront6targetE0EEEvS11_.num_vgpr, 0
	.set _ZN7rocprim17ROCPRIM_400000_NS6detail17trampoline_kernelINS0_14default_configENS1_21merge_config_selectorINS0_5tupleIJiiEEENS0_10empty_typeEEEZNS1_10merge_implIS3_NS0_12zip_iteratorINS5_IJN6thrust23THRUST_200600_302600_NS6detail15normal_iteratorINSC_10device_ptrIKiEEEESI_EEEEESK_NSA_INS5_IJNSC_16discard_iteratorINSC_11use_defaultEEESN_EEEEEPS7_SQ_SQ_NSC_11hip_rocprim7__merge17predicate_wrapperIiiNSC_4lessIiEEEEEE10hipError_tPvRmT0_T1_T2_T3_T4_T5_mmT6_P12ihipStream_tbEUlT_E0_NS1_11comp_targetILNS1_3genE3ELNS1_11target_archE908ELNS1_3gpuE7ELNS1_3repE0EEENS1_30default_config_static_selectorELNS0_4arch9wavefront6targetE0EEEvS11_.num_agpr, 0
	.set _ZN7rocprim17ROCPRIM_400000_NS6detail17trampoline_kernelINS0_14default_configENS1_21merge_config_selectorINS0_5tupleIJiiEEENS0_10empty_typeEEEZNS1_10merge_implIS3_NS0_12zip_iteratorINS5_IJN6thrust23THRUST_200600_302600_NS6detail15normal_iteratorINSC_10device_ptrIKiEEEESI_EEEEESK_NSA_INS5_IJNSC_16discard_iteratorINSC_11use_defaultEEESN_EEEEEPS7_SQ_SQ_NSC_11hip_rocprim7__merge17predicate_wrapperIiiNSC_4lessIiEEEEEE10hipError_tPvRmT0_T1_T2_T3_T4_T5_mmT6_P12ihipStream_tbEUlT_E0_NS1_11comp_targetILNS1_3genE3ELNS1_11target_archE908ELNS1_3gpuE7ELNS1_3repE0EEENS1_30default_config_static_selectorELNS0_4arch9wavefront6targetE0EEEvS11_.numbered_sgpr, 0
	.set _ZN7rocprim17ROCPRIM_400000_NS6detail17trampoline_kernelINS0_14default_configENS1_21merge_config_selectorINS0_5tupleIJiiEEENS0_10empty_typeEEEZNS1_10merge_implIS3_NS0_12zip_iteratorINS5_IJN6thrust23THRUST_200600_302600_NS6detail15normal_iteratorINSC_10device_ptrIKiEEEESI_EEEEESK_NSA_INS5_IJNSC_16discard_iteratorINSC_11use_defaultEEESN_EEEEEPS7_SQ_SQ_NSC_11hip_rocprim7__merge17predicate_wrapperIiiNSC_4lessIiEEEEEE10hipError_tPvRmT0_T1_T2_T3_T4_T5_mmT6_P12ihipStream_tbEUlT_E0_NS1_11comp_targetILNS1_3genE3ELNS1_11target_archE908ELNS1_3gpuE7ELNS1_3repE0EEENS1_30default_config_static_selectorELNS0_4arch9wavefront6targetE0EEEvS11_.num_named_barrier, 0
	.set _ZN7rocprim17ROCPRIM_400000_NS6detail17trampoline_kernelINS0_14default_configENS1_21merge_config_selectorINS0_5tupleIJiiEEENS0_10empty_typeEEEZNS1_10merge_implIS3_NS0_12zip_iteratorINS5_IJN6thrust23THRUST_200600_302600_NS6detail15normal_iteratorINSC_10device_ptrIKiEEEESI_EEEEESK_NSA_INS5_IJNSC_16discard_iteratorINSC_11use_defaultEEESN_EEEEEPS7_SQ_SQ_NSC_11hip_rocprim7__merge17predicate_wrapperIiiNSC_4lessIiEEEEEE10hipError_tPvRmT0_T1_T2_T3_T4_T5_mmT6_P12ihipStream_tbEUlT_E0_NS1_11comp_targetILNS1_3genE3ELNS1_11target_archE908ELNS1_3gpuE7ELNS1_3repE0EEENS1_30default_config_static_selectorELNS0_4arch9wavefront6targetE0EEEvS11_.private_seg_size, 0
	.set _ZN7rocprim17ROCPRIM_400000_NS6detail17trampoline_kernelINS0_14default_configENS1_21merge_config_selectorINS0_5tupleIJiiEEENS0_10empty_typeEEEZNS1_10merge_implIS3_NS0_12zip_iteratorINS5_IJN6thrust23THRUST_200600_302600_NS6detail15normal_iteratorINSC_10device_ptrIKiEEEESI_EEEEESK_NSA_INS5_IJNSC_16discard_iteratorINSC_11use_defaultEEESN_EEEEEPS7_SQ_SQ_NSC_11hip_rocprim7__merge17predicate_wrapperIiiNSC_4lessIiEEEEEE10hipError_tPvRmT0_T1_T2_T3_T4_T5_mmT6_P12ihipStream_tbEUlT_E0_NS1_11comp_targetILNS1_3genE3ELNS1_11target_archE908ELNS1_3gpuE7ELNS1_3repE0EEENS1_30default_config_static_selectorELNS0_4arch9wavefront6targetE0EEEvS11_.uses_vcc, 0
	.set _ZN7rocprim17ROCPRIM_400000_NS6detail17trampoline_kernelINS0_14default_configENS1_21merge_config_selectorINS0_5tupleIJiiEEENS0_10empty_typeEEEZNS1_10merge_implIS3_NS0_12zip_iteratorINS5_IJN6thrust23THRUST_200600_302600_NS6detail15normal_iteratorINSC_10device_ptrIKiEEEESI_EEEEESK_NSA_INS5_IJNSC_16discard_iteratorINSC_11use_defaultEEESN_EEEEEPS7_SQ_SQ_NSC_11hip_rocprim7__merge17predicate_wrapperIiiNSC_4lessIiEEEEEE10hipError_tPvRmT0_T1_T2_T3_T4_T5_mmT6_P12ihipStream_tbEUlT_E0_NS1_11comp_targetILNS1_3genE3ELNS1_11target_archE908ELNS1_3gpuE7ELNS1_3repE0EEENS1_30default_config_static_selectorELNS0_4arch9wavefront6targetE0EEEvS11_.uses_flat_scratch, 0
	.set _ZN7rocprim17ROCPRIM_400000_NS6detail17trampoline_kernelINS0_14default_configENS1_21merge_config_selectorINS0_5tupleIJiiEEENS0_10empty_typeEEEZNS1_10merge_implIS3_NS0_12zip_iteratorINS5_IJN6thrust23THRUST_200600_302600_NS6detail15normal_iteratorINSC_10device_ptrIKiEEEESI_EEEEESK_NSA_INS5_IJNSC_16discard_iteratorINSC_11use_defaultEEESN_EEEEEPS7_SQ_SQ_NSC_11hip_rocprim7__merge17predicate_wrapperIiiNSC_4lessIiEEEEEE10hipError_tPvRmT0_T1_T2_T3_T4_T5_mmT6_P12ihipStream_tbEUlT_E0_NS1_11comp_targetILNS1_3genE3ELNS1_11target_archE908ELNS1_3gpuE7ELNS1_3repE0EEENS1_30default_config_static_selectorELNS0_4arch9wavefront6targetE0EEEvS11_.has_dyn_sized_stack, 0
	.set _ZN7rocprim17ROCPRIM_400000_NS6detail17trampoline_kernelINS0_14default_configENS1_21merge_config_selectorINS0_5tupleIJiiEEENS0_10empty_typeEEEZNS1_10merge_implIS3_NS0_12zip_iteratorINS5_IJN6thrust23THRUST_200600_302600_NS6detail15normal_iteratorINSC_10device_ptrIKiEEEESI_EEEEESK_NSA_INS5_IJNSC_16discard_iteratorINSC_11use_defaultEEESN_EEEEEPS7_SQ_SQ_NSC_11hip_rocprim7__merge17predicate_wrapperIiiNSC_4lessIiEEEEEE10hipError_tPvRmT0_T1_T2_T3_T4_T5_mmT6_P12ihipStream_tbEUlT_E0_NS1_11comp_targetILNS1_3genE3ELNS1_11target_archE908ELNS1_3gpuE7ELNS1_3repE0EEENS1_30default_config_static_selectorELNS0_4arch9wavefront6targetE0EEEvS11_.has_recursion, 0
	.set _ZN7rocprim17ROCPRIM_400000_NS6detail17trampoline_kernelINS0_14default_configENS1_21merge_config_selectorINS0_5tupleIJiiEEENS0_10empty_typeEEEZNS1_10merge_implIS3_NS0_12zip_iteratorINS5_IJN6thrust23THRUST_200600_302600_NS6detail15normal_iteratorINSC_10device_ptrIKiEEEESI_EEEEESK_NSA_INS5_IJNSC_16discard_iteratorINSC_11use_defaultEEESN_EEEEEPS7_SQ_SQ_NSC_11hip_rocprim7__merge17predicate_wrapperIiiNSC_4lessIiEEEEEE10hipError_tPvRmT0_T1_T2_T3_T4_T5_mmT6_P12ihipStream_tbEUlT_E0_NS1_11comp_targetILNS1_3genE3ELNS1_11target_archE908ELNS1_3gpuE7ELNS1_3repE0EEENS1_30default_config_static_selectorELNS0_4arch9wavefront6targetE0EEEvS11_.has_indirect_call, 0
	.section	.AMDGPU.csdata,"",@progbits
; Kernel info:
; codeLenInByte = 0
; TotalNumSgprs: 0
; NumVgprs: 0
; ScratchSize: 0
; MemoryBound: 0
; FloatMode: 240
; IeeeMode: 1
; LDSByteSize: 0 bytes/workgroup (compile time only)
; SGPRBlocks: 0
; VGPRBlocks: 0
; NumSGPRsForWavesPerEU: 1
; NumVGPRsForWavesPerEU: 1
; NamedBarCnt: 0
; Occupancy: 16
; WaveLimiterHint : 0
; COMPUTE_PGM_RSRC2:SCRATCH_EN: 0
; COMPUTE_PGM_RSRC2:USER_SGPR: 2
; COMPUTE_PGM_RSRC2:TRAP_HANDLER: 0
; COMPUTE_PGM_RSRC2:TGID_X_EN: 1
; COMPUTE_PGM_RSRC2:TGID_Y_EN: 0
; COMPUTE_PGM_RSRC2:TGID_Z_EN: 0
; COMPUTE_PGM_RSRC2:TIDIG_COMP_CNT: 0
	.section	.text._ZN7rocprim17ROCPRIM_400000_NS6detail17trampoline_kernelINS0_14default_configENS1_21merge_config_selectorINS0_5tupleIJiiEEENS0_10empty_typeEEEZNS1_10merge_implIS3_NS0_12zip_iteratorINS5_IJN6thrust23THRUST_200600_302600_NS6detail15normal_iteratorINSC_10device_ptrIKiEEEESI_EEEEESK_NSA_INS5_IJNSC_16discard_iteratorINSC_11use_defaultEEESN_EEEEEPS7_SQ_SQ_NSC_11hip_rocprim7__merge17predicate_wrapperIiiNSC_4lessIiEEEEEE10hipError_tPvRmT0_T1_T2_T3_T4_T5_mmT6_P12ihipStream_tbEUlT_E0_NS1_11comp_targetILNS1_3genE2ELNS1_11target_archE906ELNS1_3gpuE6ELNS1_3repE0EEENS1_30default_config_static_selectorELNS0_4arch9wavefront6targetE0EEEvS11_,"axG",@progbits,_ZN7rocprim17ROCPRIM_400000_NS6detail17trampoline_kernelINS0_14default_configENS1_21merge_config_selectorINS0_5tupleIJiiEEENS0_10empty_typeEEEZNS1_10merge_implIS3_NS0_12zip_iteratorINS5_IJN6thrust23THRUST_200600_302600_NS6detail15normal_iteratorINSC_10device_ptrIKiEEEESI_EEEEESK_NSA_INS5_IJNSC_16discard_iteratorINSC_11use_defaultEEESN_EEEEEPS7_SQ_SQ_NSC_11hip_rocprim7__merge17predicate_wrapperIiiNSC_4lessIiEEEEEE10hipError_tPvRmT0_T1_T2_T3_T4_T5_mmT6_P12ihipStream_tbEUlT_E0_NS1_11comp_targetILNS1_3genE2ELNS1_11target_archE906ELNS1_3gpuE6ELNS1_3repE0EEENS1_30default_config_static_selectorELNS0_4arch9wavefront6targetE0EEEvS11_,comdat
	.protected	_ZN7rocprim17ROCPRIM_400000_NS6detail17trampoline_kernelINS0_14default_configENS1_21merge_config_selectorINS0_5tupleIJiiEEENS0_10empty_typeEEEZNS1_10merge_implIS3_NS0_12zip_iteratorINS5_IJN6thrust23THRUST_200600_302600_NS6detail15normal_iteratorINSC_10device_ptrIKiEEEESI_EEEEESK_NSA_INS5_IJNSC_16discard_iteratorINSC_11use_defaultEEESN_EEEEEPS7_SQ_SQ_NSC_11hip_rocprim7__merge17predicate_wrapperIiiNSC_4lessIiEEEEEE10hipError_tPvRmT0_T1_T2_T3_T4_T5_mmT6_P12ihipStream_tbEUlT_E0_NS1_11comp_targetILNS1_3genE2ELNS1_11target_archE906ELNS1_3gpuE6ELNS1_3repE0EEENS1_30default_config_static_selectorELNS0_4arch9wavefront6targetE0EEEvS11_ ; -- Begin function _ZN7rocprim17ROCPRIM_400000_NS6detail17trampoline_kernelINS0_14default_configENS1_21merge_config_selectorINS0_5tupleIJiiEEENS0_10empty_typeEEEZNS1_10merge_implIS3_NS0_12zip_iteratorINS5_IJN6thrust23THRUST_200600_302600_NS6detail15normal_iteratorINSC_10device_ptrIKiEEEESI_EEEEESK_NSA_INS5_IJNSC_16discard_iteratorINSC_11use_defaultEEESN_EEEEEPS7_SQ_SQ_NSC_11hip_rocprim7__merge17predicate_wrapperIiiNSC_4lessIiEEEEEE10hipError_tPvRmT0_T1_T2_T3_T4_T5_mmT6_P12ihipStream_tbEUlT_E0_NS1_11comp_targetILNS1_3genE2ELNS1_11target_archE906ELNS1_3gpuE6ELNS1_3repE0EEENS1_30default_config_static_selectorELNS0_4arch9wavefront6targetE0EEEvS11_
	.globl	_ZN7rocprim17ROCPRIM_400000_NS6detail17trampoline_kernelINS0_14default_configENS1_21merge_config_selectorINS0_5tupleIJiiEEENS0_10empty_typeEEEZNS1_10merge_implIS3_NS0_12zip_iteratorINS5_IJN6thrust23THRUST_200600_302600_NS6detail15normal_iteratorINSC_10device_ptrIKiEEEESI_EEEEESK_NSA_INS5_IJNSC_16discard_iteratorINSC_11use_defaultEEESN_EEEEEPS7_SQ_SQ_NSC_11hip_rocprim7__merge17predicate_wrapperIiiNSC_4lessIiEEEEEE10hipError_tPvRmT0_T1_T2_T3_T4_T5_mmT6_P12ihipStream_tbEUlT_E0_NS1_11comp_targetILNS1_3genE2ELNS1_11target_archE906ELNS1_3gpuE6ELNS1_3repE0EEENS1_30default_config_static_selectorELNS0_4arch9wavefront6targetE0EEEvS11_
	.p2align	8
	.type	_ZN7rocprim17ROCPRIM_400000_NS6detail17trampoline_kernelINS0_14default_configENS1_21merge_config_selectorINS0_5tupleIJiiEEENS0_10empty_typeEEEZNS1_10merge_implIS3_NS0_12zip_iteratorINS5_IJN6thrust23THRUST_200600_302600_NS6detail15normal_iteratorINSC_10device_ptrIKiEEEESI_EEEEESK_NSA_INS5_IJNSC_16discard_iteratorINSC_11use_defaultEEESN_EEEEEPS7_SQ_SQ_NSC_11hip_rocprim7__merge17predicate_wrapperIiiNSC_4lessIiEEEEEE10hipError_tPvRmT0_T1_T2_T3_T4_T5_mmT6_P12ihipStream_tbEUlT_E0_NS1_11comp_targetILNS1_3genE2ELNS1_11target_archE906ELNS1_3gpuE6ELNS1_3repE0EEENS1_30default_config_static_selectorELNS0_4arch9wavefront6targetE0EEEvS11_,@function
_ZN7rocprim17ROCPRIM_400000_NS6detail17trampoline_kernelINS0_14default_configENS1_21merge_config_selectorINS0_5tupleIJiiEEENS0_10empty_typeEEEZNS1_10merge_implIS3_NS0_12zip_iteratorINS5_IJN6thrust23THRUST_200600_302600_NS6detail15normal_iteratorINSC_10device_ptrIKiEEEESI_EEEEESK_NSA_INS5_IJNSC_16discard_iteratorINSC_11use_defaultEEESN_EEEEEPS7_SQ_SQ_NSC_11hip_rocprim7__merge17predicate_wrapperIiiNSC_4lessIiEEEEEE10hipError_tPvRmT0_T1_T2_T3_T4_T5_mmT6_P12ihipStream_tbEUlT_E0_NS1_11comp_targetILNS1_3genE2ELNS1_11target_archE906ELNS1_3gpuE6ELNS1_3repE0EEENS1_30default_config_static_selectorELNS0_4arch9wavefront6targetE0EEEvS11_: ; @_ZN7rocprim17ROCPRIM_400000_NS6detail17trampoline_kernelINS0_14default_configENS1_21merge_config_selectorINS0_5tupleIJiiEEENS0_10empty_typeEEEZNS1_10merge_implIS3_NS0_12zip_iteratorINS5_IJN6thrust23THRUST_200600_302600_NS6detail15normal_iteratorINSC_10device_ptrIKiEEEESI_EEEEESK_NSA_INS5_IJNSC_16discard_iteratorINSC_11use_defaultEEESN_EEEEEPS7_SQ_SQ_NSC_11hip_rocprim7__merge17predicate_wrapperIiiNSC_4lessIiEEEEEE10hipError_tPvRmT0_T1_T2_T3_T4_T5_mmT6_P12ihipStream_tbEUlT_E0_NS1_11comp_targetILNS1_3genE2ELNS1_11target_archE906ELNS1_3gpuE6ELNS1_3repE0EEENS1_30default_config_static_selectorELNS0_4arch9wavefront6targetE0EEEvS11_
; %bb.0:
	.section	.rodata,"a",@progbits
	.p2align	6, 0x0
	.amdhsa_kernel _ZN7rocprim17ROCPRIM_400000_NS6detail17trampoline_kernelINS0_14default_configENS1_21merge_config_selectorINS0_5tupleIJiiEEENS0_10empty_typeEEEZNS1_10merge_implIS3_NS0_12zip_iteratorINS5_IJN6thrust23THRUST_200600_302600_NS6detail15normal_iteratorINSC_10device_ptrIKiEEEESI_EEEEESK_NSA_INS5_IJNSC_16discard_iteratorINSC_11use_defaultEEESN_EEEEEPS7_SQ_SQ_NSC_11hip_rocprim7__merge17predicate_wrapperIiiNSC_4lessIiEEEEEE10hipError_tPvRmT0_T1_T2_T3_T4_T5_mmT6_P12ihipStream_tbEUlT_E0_NS1_11comp_targetILNS1_3genE2ELNS1_11target_archE906ELNS1_3gpuE6ELNS1_3repE0EEENS1_30default_config_static_selectorELNS0_4arch9wavefront6targetE0EEEvS11_
		.amdhsa_group_segment_fixed_size 0
		.amdhsa_private_segment_fixed_size 0
		.amdhsa_kernarg_size 128
		.amdhsa_user_sgpr_count 2
		.amdhsa_user_sgpr_dispatch_ptr 0
		.amdhsa_user_sgpr_queue_ptr 0
		.amdhsa_user_sgpr_kernarg_segment_ptr 1
		.amdhsa_user_sgpr_dispatch_id 0
		.amdhsa_user_sgpr_kernarg_preload_length 0
		.amdhsa_user_sgpr_kernarg_preload_offset 0
		.amdhsa_user_sgpr_private_segment_size 0
		.amdhsa_wavefront_size32 1
		.amdhsa_uses_dynamic_stack 0
		.amdhsa_enable_private_segment 0
		.amdhsa_system_sgpr_workgroup_id_x 1
		.amdhsa_system_sgpr_workgroup_id_y 0
		.amdhsa_system_sgpr_workgroup_id_z 0
		.amdhsa_system_sgpr_workgroup_info 0
		.amdhsa_system_vgpr_workitem_id 0
		.amdhsa_next_free_vgpr 1
		.amdhsa_next_free_sgpr 1
		.amdhsa_named_barrier_count 0
		.amdhsa_reserve_vcc 0
		.amdhsa_float_round_mode_32 0
		.amdhsa_float_round_mode_16_64 0
		.amdhsa_float_denorm_mode_32 3
		.amdhsa_float_denorm_mode_16_64 3
		.amdhsa_fp16_overflow 0
		.amdhsa_memory_ordered 1
		.amdhsa_forward_progress 1
		.amdhsa_inst_pref_size 0
		.amdhsa_round_robin_scheduling 0
		.amdhsa_exception_fp_ieee_invalid_op 0
		.amdhsa_exception_fp_denorm_src 0
		.amdhsa_exception_fp_ieee_div_zero 0
		.amdhsa_exception_fp_ieee_overflow 0
		.amdhsa_exception_fp_ieee_underflow 0
		.amdhsa_exception_fp_ieee_inexact 0
		.amdhsa_exception_int_div_zero 0
	.end_amdhsa_kernel
	.section	.text._ZN7rocprim17ROCPRIM_400000_NS6detail17trampoline_kernelINS0_14default_configENS1_21merge_config_selectorINS0_5tupleIJiiEEENS0_10empty_typeEEEZNS1_10merge_implIS3_NS0_12zip_iteratorINS5_IJN6thrust23THRUST_200600_302600_NS6detail15normal_iteratorINSC_10device_ptrIKiEEEESI_EEEEESK_NSA_INS5_IJNSC_16discard_iteratorINSC_11use_defaultEEESN_EEEEEPS7_SQ_SQ_NSC_11hip_rocprim7__merge17predicate_wrapperIiiNSC_4lessIiEEEEEE10hipError_tPvRmT0_T1_T2_T3_T4_T5_mmT6_P12ihipStream_tbEUlT_E0_NS1_11comp_targetILNS1_3genE2ELNS1_11target_archE906ELNS1_3gpuE6ELNS1_3repE0EEENS1_30default_config_static_selectorELNS0_4arch9wavefront6targetE0EEEvS11_,"axG",@progbits,_ZN7rocprim17ROCPRIM_400000_NS6detail17trampoline_kernelINS0_14default_configENS1_21merge_config_selectorINS0_5tupleIJiiEEENS0_10empty_typeEEEZNS1_10merge_implIS3_NS0_12zip_iteratorINS5_IJN6thrust23THRUST_200600_302600_NS6detail15normal_iteratorINSC_10device_ptrIKiEEEESI_EEEEESK_NSA_INS5_IJNSC_16discard_iteratorINSC_11use_defaultEEESN_EEEEEPS7_SQ_SQ_NSC_11hip_rocprim7__merge17predicate_wrapperIiiNSC_4lessIiEEEEEE10hipError_tPvRmT0_T1_T2_T3_T4_T5_mmT6_P12ihipStream_tbEUlT_E0_NS1_11comp_targetILNS1_3genE2ELNS1_11target_archE906ELNS1_3gpuE6ELNS1_3repE0EEENS1_30default_config_static_selectorELNS0_4arch9wavefront6targetE0EEEvS11_,comdat
.Lfunc_end600:
	.size	_ZN7rocprim17ROCPRIM_400000_NS6detail17trampoline_kernelINS0_14default_configENS1_21merge_config_selectorINS0_5tupleIJiiEEENS0_10empty_typeEEEZNS1_10merge_implIS3_NS0_12zip_iteratorINS5_IJN6thrust23THRUST_200600_302600_NS6detail15normal_iteratorINSC_10device_ptrIKiEEEESI_EEEEESK_NSA_INS5_IJNSC_16discard_iteratorINSC_11use_defaultEEESN_EEEEEPS7_SQ_SQ_NSC_11hip_rocprim7__merge17predicate_wrapperIiiNSC_4lessIiEEEEEE10hipError_tPvRmT0_T1_T2_T3_T4_T5_mmT6_P12ihipStream_tbEUlT_E0_NS1_11comp_targetILNS1_3genE2ELNS1_11target_archE906ELNS1_3gpuE6ELNS1_3repE0EEENS1_30default_config_static_selectorELNS0_4arch9wavefront6targetE0EEEvS11_, .Lfunc_end600-_ZN7rocprim17ROCPRIM_400000_NS6detail17trampoline_kernelINS0_14default_configENS1_21merge_config_selectorINS0_5tupleIJiiEEENS0_10empty_typeEEEZNS1_10merge_implIS3_NS0_12zip_iteratorINS5_IJN6thrust23THRUST_200600_302600_NS6detail15normal_iteratorINSC_10device_ptrIKiEEEESI_EEEEESK_NSA_INS5_IJNSC_16discard_iteratorINSC_11use_defaultEEESN_EEEEEPS7_SQ_SQ_NSC_11hip_rocprim7__merge17predicate_wrapperIiiNSC_4lessIiEEEEEE10hipError_tPvRmT0_T1_T2_T3_T4_T5_mmT6_P12ihipStream_tbEUlT_E0_NS1_11comp_targetILNS1_3genE2ELNS1_11target_archE906ELNS1_3gpuE6ELNS1_3repE0EEENS1_30default_config_static_selectorELNS0_4arch9wavefront6targetE0EEEvS11_
                                        ; -- End function
	.set _ZN7rocprim17ROCPRIM_400000_NS6detail17trampoline_kernelINS0_14default_configENS1_21merge_config_selectorINS0_5tupleIJiiEEENS0_10empty_typeEEEZNS1_10merge_implIS3_NS0_12zip_iteratorINS5_IJN6thrust23THRUST_200600_302600_NS6detail15normal_iteratorINSC_10device_ptrIKiEEEESI_EEEEESK_NSA_INS5_IJNSC_16discard_iteratorINSC_11use_defaultEEESN_EEEEEPS7_SQ_SQ_NSC_11hip_rocprim7__merge17predicate_wrapperIiiNSC_4lessIiEEEEEE10hipError_tPvRmT0_T1_T2_T3_T4_T5_mmT6_P12ihipStream_tbEUlT_E0_NS1_11comp_targetILNS1_3genE2ELNS1_11target_archE906ELNS1_3gpuE6ELNS1_3repE0EEENS1_30default_config_static_selectorELNS0_4arch9wavefront6targetE0EEEvS11_.num_vgpr, 0
	.set _ZN7rocprim17ROCPRIM_400000_NS6detail17trampoline_kernelINS0_14default_configENS1_21merge_config_selectorINS0_5tupleIJiiEEENS0_10empty_typeEEEZNS1_10merge_implIS3_NS0_12zip_iteratorINS5_IJN6thrust23THRUST_200600_302600_NS6detail15normal_iteratorINSC_10device_ptrIKiEEEESI_EEEEESK_NSA_INS5_IJNSC_16discard_iteratorINSC_11use_defaultEEESN_EEEEEPS7_SQ_SQ_NSC_11hip_rocprim7__merge17predicate_wrapperIiiNSC_4lessIiEEEEEE10hipError_tPvRmT0_T1_T2_T3_T4_T5_mmT6_P12ihipStream_tbEUlT_E0_NS1_11comp_targetILNS1_3genE2ELNS1_11target_archE906ELNS1_3gpuE6ELNS1_3repE0EEENS1_30default_config_static_selectorELNS0_4arch9wavefront6targetE0EEEvS11_.num_agpr, 0
	.set _ZN7rocprim17ROCPRIM_400000_NS6detail17trampoline_kernelINS0_14default_configENS1_21merge_config_selectorINS0_5tupleIJiiEEENS0_10empty_typeEEEZNS1_10merge_implIS3_NS0_12zip_iteratorINS5_IJN6thrust23THRUST_200600_302600_NS6detail15normal_iteratorINSC_10device_ptrIKiEEEESI_EEEEESK_NSA_INS5_IJNSC_16discard_iteratorINSC_11use_defaultEEESN_EEEEEPS7_SQ_SQ_NSC_11hip_rocprim7__merge17predicate_wrapperIiiNSC_4lessIiEEEEEE10hipError_tPvRmT0_T1_T2_T3_T4_T5_mmT6_P12ihipStream_tbEUlT_E0_NS1_11comp_targetILNS1_3genE2ELNS1_11target_archE906ELNS1_3gpuE6ELNS1_3repE0EEENS1_30default_config_static_selectorELNS0_4arch9wavefront6targetE0EEEvS11_.numbered_sgpr, 0
	.set _ZN7rocprim17ROCPRIM_400000_NS6detail17trampoline_kernelINS0_14default_configENS1_21merge_config_selectorINS0_5tupleIJiiEEENS0_10empty_typeEEEZNS1_10merge_implIS3_NS0_12zip_iteratorINS5_IJN6thrust23THRUST_200600_302600_NS6detail15normal_iteratorINSC_10device_ptrIKiEEEESI_EEEEESK_NSA_INS5_IJNSC_16discard_iteratorINSC_11use_defaultEEESN_EEEEEPS7_SQ_SQ_NSC_11hip_rocprim7__merge17predicate_wrapperIiiNSC_4lessIiEEEEEE10hipError_tPvRmT0_T1_T2_T3_T4_T5_mmT6_P12ihipStream_tbEUlT_E0_NS1_11comp_targetILNS1_3genE2ELNS1_11target_archE906ELNS1_3gpuE6ELNS1_3repE0EEENS1_30default_config_static_selectorELNS0_4arch9wavefront6targetE0EEEvS11_.num_named_barrier, 0
	.set _ZN7rocprim17ROCPRIM_400000_NS6detail17trampoline_kernelINS0_14default_configENS1_21merge_config_selectorINS0_5tupleIJiiEEENS0_10empty_typeEEEZNS1_10merge_implIS3_NS0_12zip_iteratorINS5_IJN6thrust23THRUST_200600_302600_NS6detail15normal_iteratorINSC_10device_ptrIKiEEEESI_EEEEESK_NSA_INS5_IJNSC_16discard_iteratorINSC_11use_defaultEEESN_EEEEEPS7_SQ_SQ_NSC_11hip_rocprim7__merge17predicate_wrapperIiiNSC_4lessIiEEEEEE10hipError_tPvRmT0_T1_T2_T3_T4_T5_mmT6_P12ihipStream_tbEUlT_E0_NS1_11comp_targetILNS1_3genE2ELNS1_11target_archE906ELNS1_3gpuE6ELNS1_3repE0EEENS1_30default_config_static_selectorELNS0_4arch9wavefront6targetE0EEEvS11_.private_seg_size, 0
	.set _ZN7rocprim17ROCPRIM_400000_NS6detail17trampoline_kernelINS0_14default_configENS1_21merge_config_selectorINS0_5tupleIJiiEEENS0_10empty_typeEEEZNS1_10merge_implIS3_NS0_12zip_iteratorINS5_IJN6thrust23THRUST_200600_302600_NS6detail15normal_iteratorINSC_10device_ptrIKiEEEESI_EEEEESK_NSA_INS5_IJNSC_16discard_iteratorINSC_11use_defaultEEESN_EEEEEPS7_SQ_SQ_NSC_11hip_rocprim7__merge17predicate_wrapperIiiNSC_4lessIiEEEEEE10hipError_tPvRmT0_T1_T2_T3_T4_T5_mmT6_P12ihipStream_tbEUlT_E0_NS1_11comp_targetILNS1_3genE2ELNS1_11target_archE906ELNS1_3gpuE6ELNS1_3repE0EEENS1_30default_config_static_selectorELNS0_4arch9wavefront6targetE0EEEvS11_.uses_vcc, 0
	.set _ZN7rocprim17ROCPRIM_400000_NS6detail17trampoline_kernelINS0_14default_configENS1_21merge_config_selectorINS0_5tupleIJiiEEENS0_10empty_typeEEEZNS1_10merge_implIS3_NS0_12zip_iteratorINS5_IJN6thrust23THRUST_200600_302600_NS6detail15normal_iteratorINSC_10device_ptrIKiEEEESI_EEEEESK_NSA_INS5_IJNSC_16discard_iteratorINSC_11use_defaultEEESN_EEEEEPS7_SQ_SQ_NSC_11hip_rocprim7__merge17predicate_wrapperIiiNSC_4lessIiEEEEEE10hipError_tPvRmT0_T1_T2_T3_T4_T5_mmT6_P12ihipStream_tbEUlT_E0_NS1_11comp_targetILNS1_3genE2ELNS1_11target_archE906ELNS1_3gpuE6ELNS1_3repE0EEENS1_30default_config_static_selectorELNS0_4arch9wavefront6targetE0EEEvS11_.uses_flat_scratch, 0
	.set _ZN7rocprim17ROCPRIM_400000_NS6detail17trampoline_kernelINS0_14default_configENS1_21merge_config_selectorINS0_5tupleIJiiEEENS0_10empty_typeEEEZNS1_10merge_implIS3_NS0_12zip_iteratorINS5_IJN6thrust23THRUST_200600_302600_NS6detail15normal_iteratorINSC_10device_ptrIKiEEEESI_EEEEESK_NSA_INS5_IJNSC_16discard_iteratorINSC_11use_defaultEEESN_EEEEEPS7_SQ_SQ_NSC_11hip_rocprim7__merge17predicate_wrapperIiiNSC_4lessIiEEEEEE10hipError_tPvRmT0_T1_T2_T3_T4_T5_mmT6_P12ihipStream_tbEUlT_E0_NS1_11comp_targetILNS1_3genE2ELNS1_11target_archE906ELNS1_3gpuE6ELNS1_3repE0EEENS1_30default_config_static_selectorELNS0_4arch9wavefront6targetE0EEEvS11_.has_dyn_sized_stack, 0
	.set _ZN7rocprim17ROCPRIM_400000_NS6detail17trampoline_kernelINS0_14default_configENS1_21merge_config_selectorINS0_5tupleIJiiEEENS0_10empty_typeEEEZNS1_10merge_implIS3_NS0_12zip_iteratorINS5_IJN6thrust23THRUST_200600_302600_NS6detail15normal_iteratorINSC_10device_ptrIKiEEEESI_EEEEESK_NSA_INS5_IJNSC_16discard_iteratorINSC_11use_defaultEEESN_EEEEEPS7_SQ_SQ_NSC_11hip_rocprim7__merge17predicate_wrapperIiiNSC_4lessIiEEEEEE10hipError_tPvRmT0_T1_T2_T3_T4_T5_mmT6_P12ihipStream_tbEUlT_E0_NS1_11comp_targetILNS1_3genE2ELNS1_11target_archE906ELNS1_3gpuE6ELNS1_3repE0EEENS1_30default_config_static_selectorELNS0_4arch9wavefront6targetE0EEEvS11_.has_recursion, 0
	.set _ZN7rocprim17ROCPRIM_400000_NS6detail17trampoline_kernelINS0_14default_configENS1_21merge_config_selectorINS0_5tupleIJiiEEENS0_10empty_typeEEEZNS1_10merge_implIS3_NS0_12zip_iteratorINS5_IJN6thrust23THRUST_200600_302600_NS6detail15normal_iteratorINSC_10device_ptrIKiEEEESI_EEEEESK_NSA_INS5_IJNSC_16discard_iteratorINSC_11use_defaultEEESN_EEEEEPS7_SQ_SQ_NSC_11hip_rocprim7__merge17predicate_wrapperIiiNSC_4lessIiEEEEEE10hipError_tPvRmT0_T1_T2_T3_T4_T5_mmT6_P12ihipStream_tbEUlT_E0_NS1_11comp_targetILNS1_3genE2ELNS1_11target_archE906ELNS1_3gpuE6ELNS1_3repE0EEENS1_30default_config_static_selectorELNS0_4arch9wavefront6targetE0EEEvS11_.has_indirect_call, 0
	.section	.AMDGPU.csdata,"",@progbits
; Kernel info:
; codeLenInByte = 0
; TotalNumSgprs: 0
; NumVgprs: 0
; ScratchSize: 0
; MemoryBound: 0
; FloatMode: 240
; IeeeMode: 1
; LDSByteSize: 0 bytes/workgroup (compile time only)
; SGPRBlocks: 0
; VGPRBlocks: 0
; NumSGPRsForWavesPerEU: 1
; NumVGPRsForWavesPerEU: 1
; NamedBarCnt: 0
; Occupancy: 16
; WaveLimiterHint : 0
; COMPUTE_PGM_RSRC2:SCRATCH_EN: 0
; COMPUTE_PGM_RSRC2:USER_SGPR: 2
; COMPUTE_PGM_RSRC2:TRAP_HANDLER: 0
; COMPUTE_PGM_RSRC2:TGID_X_EN: 1
; COMPUTE_PGM_RSRC2:TGID_Y_EN: 0
; COMPUTE_PGM_RSRC2:TGID_Z_EN: 0
; COMPUTE_PGM_RSRC2:TIDIG_COMP_CNT: 0
	.section	.text._ZN7rocprim17ROCPRIM_400000_NS6detail17trampoline_kernelINS0_14default_configENS1_21merge_config_selectorINS0_5tupleIJiiEEENS0_10empty_typeEEEZNS1_10merge_implIS3_NS0_12zip_iteratorINS5_IJN6thrust23THRUST_200600_302600_NS6detail15normal_iteratorINSC_10device_ptrIKiEEEESI_EEEEESK_NSA_INS5_IJNSC_16discard_iteratorINSC_11use_defaultEEESN_EEEEEPS7_SQ_SQ_NSC_11hip_rocprim7__merge17predicate_wrapperIiiNSC_4lessIiEEEEEE10hipError_tPvRmT0_T1_T2_T3_T4_T5_mmT6_P12ihipStream_tbEUlT_E0_NS1_11comp_targetILNS1_3genE10ELNS1_11target_archE1201ELNS1_3gpuE5ELNS1_3repE0EEENS1_30default_config_static_selectorELNS0_4arch9wavefront6targetE0EEEvS11_,"axG",@progbits,_ZN7rocprim17ROCPRIM_400000_NS6detail17trampoline_kernelINS0_14default_configENS1_21merge_config_selectorINS0_5tupleIJiiEEENS0_10empty_typeEEEZNS1_10merge_implIS3_NS0_12zip_iteratorINS5_IJN6thrust23THRUST_200600_302600_NS6detail15normal_iteratorINSC_10device_ptrIKiEEEESI_EEEEESK_NSA_INS5_IJNSC_16discard_iteratorINSC_11use_defaultEEESN_EEEEEPS7_SQ_SQ_NSC_11hip_rocprim7__merge17predicate_wrapperIiiNSC_4lessIiEEEEEE10hipError_tPvRmT0_T1_T2_T3_T4_T5_mmT6_P12ihipStream_tbEUlT_E0_NS1_11comp_targetILNS1_3genE10ELNS1_11target_archE1201ELNS1_3gpuE5ELNS1_3repE0EEENS1_30default_config_static_selectorELNS0_4arch9wavefront6targetE0EEEvS11_,comdat
	.protected	_ZN7rocprim17ROCPRIM_400000_NS6detail17trampoline_kernelINS0_14default_configENS1_21merge_config_selectorINS0_5tupleIJiiEEENS0_10empty_typeEEEZNS1_10merge_implIS3_NS0_12zip_iteratorINS5_IJN6thrust23THRUST_200600_302600_NS6detail15normal_iteratorINSC_10device_ptrIKiEEEESI_EEEEESK_NSA_INS5_IJNSC_16discard_iteratorINSC_11use_defaultEEESN_EEEEEPS7_SQ_SQ_NSC_11hip_rocprim7__merge17predicate_wrapperIiiNSC_4lessIiEEEEEE10hipError_tPvRmT0_T1_T2_T3_T4_T5_mmT6_P12ihipStream_tbEUlT_E0_NS1_11comp_targetILNS1_3genE10ELNS1_11target_archE1201ELNS1_3gpuE5ELNS1_3repE0EEENS1_30default_config_static_selectorELNS0_4arch9wavefront6targetE0EEEvS11_ ; -- Begin function _ZN7rocprim17ROCPRIM_400000_NS6detail17trampoline_kernelINS0_14default_configENS1_21merge_config_selectorINS0_5tupleIJiiEEENS0_10empty_typeEEEZNS1_10merge_implIS3_NS0_12zip_iteratorINS5_IJN6thrust23THRUST_200600_302600_NS6detail15normal_iteratorINSC_10device_ptrIKiEEEESI_EEEEESK_NSA_INS5_IJNSC_16discard_iteratorINSC_11use_defaultEEESN_EEEEEPS7_SQ_SQ_NSC_11hip_rocprim7__merge17predicate_wrapperIiiNSC_4lessIiEEEEEE10hipError_tPvRmT0_T1_T2_T3_T4_T5_mmT6_P12ihipStream_tbEUlT_E0_NS1_11comp_targetILNS1_3genE10ELNS1_11target_archE1201ELNS1_3gpuE5ELNS1_3repE0EEENS1_30default_config_static_selectorELNS0_4arch9wavefront6targetE0EEEvS11_
	.globl	_ZN7rocprim17ROCPRIM_400000_NS6detail17trampoline_kernelINS0_14default_configENS1_21merge_config_selectorINS0_5tupleIJiiEEENS0_10empty_typeEEEZNS1_10merge_implIS3_NS0_12zip_iteratorINS5_IJN6thrust23THRUST_200600_302600_NS6detail15normal_iteratorINSC_10device_ptrIKiEEEESI_EEEEESK_NSA_INS5_IJNSC_16discard_iteratorINSC_11use_defaultEEESN_EEEEEPS7_SQ_SQ_NSC_11hip_rocprim7__merge17predicate_wrapperIiiNSC_4lessIiEEEEEE10hipError_tPvRmT0_T1_T2_T3_T4_T5_mmT6_P12ihipStream_tbEUlT_E0_NS1_11comp_targetILNS1_3genE10ELNS1_11target_archE1201ELNS1_3gpuE5ELNS1_3repE0EEENS1_30default_config_static_selectorELNS0_4arch9wavefront6targetE0EEEvS11_
	.p2align	8
	.type	_ZN7rocprim17ROCPRIM_400000_NS6detail17trampoline_kernelINS0_14default_configENS1_21merge_config_selectorINS0_5tupleIJiiEEENS0_10empty_typeEEEZNS1_10merge_implIS3_NS0_12zip_iteratorINS5_IJN6thrust23THRUST_200600_302600_NS6detail15normal_iteratorINSC_10device_ptrIKiEEEESI_EEEEESK_NSA_INS5_IJNSC_16discard_iteratorINSC_11use_defaultEEESN_EEEEEPS7_SQ_SQ_NSC_11hip_rocprim7__merge17predicate_wrapperIiiNSC_4lessIiEEEEEE10hipError_tPvRmT0_T1_T2_T3_T4_T5_mmT6_P12ihipStream_tbEUlT_E0_NS1_11comp_targetILNS1_3genE10ELNS1_11target_archE1201ELNS1_3gpuE5ELNS1_3repE0EEENS1_30default_config_static_selectorELNS0_4arch9wavefront6targetE0EEEvS11_,@function
_ZN7rocprim17ROCPRIM_400000_NS6detail17trampoline_kernelINS0_14default_configENS1_21merge_config_selectorINS0_5tupleIJiiEEENS0_10empty_typeEEEZNS1_10merge_implIS3_NS0_12zip_iteratorINS5_IJN6thrust23THRUST_200600_302600_NS6detail15normal_iteratorINSC_10device_ptrIKiEEEESI_EEEEESK_NSA_INS5_IJNSC_16discard_iteratorINSC_11use_defaultEEESN_EEEEEPS7_SQ_SQ_NSC_11hip_rocprim7__merge17predicate_wrapperIiiNSC_4lessIiEEEEEE10hipError_tPvRmT0_T1_T2_T3_T4_T5_mmT6_P12ihipStream_tbEUlT_E0_NS1_11comp_targetILNS1_3genE10ELNS1_11target_archE1201ELNS1_3gpuE5ELNS1_3repE0EEENS1_30default_config_static_selectorELNS0_4arch9wavefront6targetE0EEEvS11_: ; @_ZN7rocprim17ROCPRIM_400000_NS6detail17trampoline_kernelINS0_14default_configENS1_21merge_config_selectorINS0_5tupleIJiiEEENS0_10empty_typeEEEZNS1_10merge_implIS3_NS0_12zip_iteratorINS5_IJN6thrust23THRUST_200600_302600_NS6detail15normal_iteratorINSC_10device_ptrIKiEEEESI_EEEEESK_NSA_INS5_IJNSC_16discard_iteratorINSC_11use_defaultEEESN_EEEEEPS7_SQ_SQ_NSC_11hip_rocprim7__merge17predicate_wrapperIiiNSC_4lessIiEEEEEE10hipError_tPvRmT0_T1_T2_T3_T4_T5_mmT6_P12ihipStream_tbEUlT_E0_NS1_11comp_targetILNS1_3genE10ELNS1_11target_archE1201ELNS1_3gpuE5ELNS1_3repE0EEENS1_30default_config_static_selectorELNS0_4arch9wavefront6targetE0EEEvS11_
; %bb.0:
	.section	.rodata,"a",@progbits
	.p2align	6, 0x0
	.amdhsa_kernel _ZN7rocprim17ROCPRIM_400000_NS6detail17trampoline_kernelINS0_14default_configENS1_21merge_config_selectorINS0_5tupleIJiiEEENS0_10empty_typeEEEZNS1_10merge_implIS3_NS0_12zip_iteratorINS5_IJN6thrust23THRUST_200600_302600_NS6detail15normal_iteratorINSC_10device_ptrIKiEEEESI_EEEEESK_NSA_INS5_IJNSC_16discard_iteratorINSC_11use_defaultEEESN_EEEEEPS7_SQ_SQ_NSC_11hip_rocprim7__merge17predicate_wrapperIiiNSC_4lessIiEEEEEE10hipError_tPvRmT0_T1_T2_T3_T4_T5_mmT6_P12ihipStream_tbEUlT_E0_NS1_11comp_targetILNS1_3genE10ELNS1_11target_archE1201ELNS1_3gpuE5ELNS1_3repE0EEENS1_30default_config_static_selectorELNS0_4arch9wavefront6targetE0EEEvS11_
		.amdhsa_group_segment_fixed_size 0
		.amdhsa_private_segment_fixed_size 0
		.amdhsa_kernarg_size 128
		.amdhsa_user_sgpr_count 2
		.amdhsa_user_sgpr_dispatch_ptr 0
		.amdhsa_user_sgpr_queue_ptr 0
		.amdhsa_user_sgpr_kernarg_segment_ptr 1
		.amdhsa_user_sgpr_dispatch_id 0
		.amdhsa_user_sgpr_kernarg_preload_length 0
		.amdhsa_user_sgpr_kernarg_preload_offset 0
		.amdhsa_user_sgpr_private_segment_size 0
		.amdhsa_wavefront_size32 1
		.amdhsa_uses_dynamic_stack 0
		.amdhsa_enable_private_segment 0
		.amdhsa_system_sgpr_workgroup_id_x 1
		.amdhsa_system_sgpr_workgroup_id_y 0
		.amdhsa_system_sgpr_workgroup_id_z 0
		.amdhsa_system_sgpr_workgroup_info 0
		.amdhsa_system_vgpr_workitem_id 0
		.amdhsa_next_free_vgpr 1
		.amdhsa_next_free_sgpr 1
		.amdhsa_named_barrier_count 0
		.amdhsa_reserve_vcc 0
		.amdhsa_float_round_mode_32 0
		.amdhsa_float_round_mode_16_64 0
		.amdhsa_float_denorm_mode_32 3
		.amdhsa_float_denorm_mode_16_64 3
		.amdhsa_fp16_overflow 0
		.amdhsa_memory_ordered 1
		.amdhsa_forward_progress 1
		.amdhsa_inst_pref_size 0
		.amdhsa_round_robin_scheduling 0
		.amdhsa_exception_fp_ieee_invalid_op 0
		.amdhsa_exception_fp_denorm_src 0
		.amdhsa_exception_fp_ieee_div_zero 0
		.amdhsa_exception_fp_ieee_overflow 0
		.amdhsa_exception_fp_ieee_underflow 0
		.amdhsa_exception_fp_ieee_inexact 0
		.amdhsa_exception_int_div_zero 0
	.end_amdhsa_kernel
	.section	.text._ZN7rocprim17ROCPRIM_400000_NS6detail17trampoline_kernelINS0_14default_configENS1_21merge_config_selectorINS0_5tupleIJiiEEENS0_10empty_typeEEEZNS1_10merge_implIS3_NS0_12zip_iteratorINS5_IJN6thrust23THRUST_200600_302600_NS6detail15normal_iteratorINSC_10device_ptrIKiEEEESI_EEEEESK_NSA_INS5_IJNSC_16discard_iteratorINSC_11use_defaultEEESN_EEEEEPS7_SQ_SQ_NSC_11hip_rocprim7__merge17predicate_wrapperIiiNSC_4lessIiEEEEEE10hipError_tPvRmT0_T1_T2_T3_T4_T5_mmT6_P12ihipStream_tbEUlT_E0_NS1_11comp_targetILNS1_3genE10ELNS1_11target_archE1201ELNS1_3gpuE5ELNS1_3repE0EEENS1_30default_config_static_selectorELNS0_4arch9wavefront6targetE0EEEvS11_,"axG",@progbits,_ZN7rocprim17ROCPRIM_400000_NS6detail17trampoline_kernelINS0_14default_configENS1_21merge_config_selectorINS0_5tupleIJiiEEENS0_10empty_typeEEEZNS1_10merge_implIS3_NS0_12zip_iteratorINS5_IJN6thrust23THRUST_200600_302600_NS6detail15normal_iteratorINSC_10device_ptrIKiEEEESI_EEEEESK_NSA_INS5_IJNSC_16discard_iteratorINSC_11use_defaultEEESN_EEEEEPS7_SQ_SQ_NSC_11hip_rocprim7__merge17predicate_wrapperIiiNSC_4lessIiEEEEEE10hipError_tPvRmT0_T1_T2_T3_T4_T5_mmT6_P12ihipStream_tbEUlT_E0_NS1_11comp_targetILNS1_3genE10ELNS1_11target_archE1201ELNS1_3gpuE5ELNS1_3repE0EEENS1_30default_config_static_selectorELNS0_4arch9wavefront6targetE0EEEvS11_,comdat
.Lfunc_end601:
	.size	_ZN7rocprim17ROCPRIM_400000_NS6detail17trampoline_kernelINS0_14default_configENS1_21merge_config_selectorINS0_5tupleIJiiEEENS0_10empty_typeEEEZNS1_10merge_implIS3_NS0_12zip_iteratorINS5_IJN6thrust23THRUST_200600_302600_NS6detail15normal_iteratorINSC_10device_ptrIKiEEEESI_EEEEESK_NSA_INS5_IJNSC_16discard_iteratorINSC_11use_defaultEEESN_EEEEEPS7_SQ_SQ_NSC_11hip_rocprim7__merge17predicate_wrapperIiiNSC_4lessIiEEEEEE10hipError_tPvRmT0_T1_T2_T3_T4_T5_mmT6_P12ihipStream_tbEUlT_E0_NS1_11comp_targetILNS1_3genE10ELNS1_11target_archE1201ELNS1_3gpuE5ELNS1_3repE0EEENS1_30default_config_static_selectorELNS0_4arch9wavefront6targetE0EEEvS11_, .Lfunc_end601-_ZN7rocprim17ROCPRIM_400000_NS6detail17trampoline_kernelINS0_14default_configENS1_21merge_config_selectorINS0_5tupleIJiiEEENS0_10empty_typeEEEZNS1_10merge_implIS3_NS0_12zip_iteratorINS5_IJN6thrust23THRUST_200600_302600_NS6detail15normal_iteratorINSC_10device_ptrIKiEEEESI_EEEEESK_NSA_INS5_IJNSC_16discard_iteratorINSC_11use_defaultEEESN_EEEEEPS7_SQ_SQ_NSC_11hip_rocprim7__merge17predicate_wrapperIiiNSC_4lessIiEEEEEE10hipError_tPvRmT0_T1_T2_T3_T4_T5_mmT6_P12ihipStream_tbEUlT_E0_NS1_11comp_targetILNS1_3genE10ELNS1_11target_archE1201ELNS1_3gpuE5ELNS1_3repE0EEENS1_30default_config_static_selectorELNS0_4arch9wavefront6targetE0EEEvS11_
                                        ; -- End function
	.set _ZN7rocprim17ROCPRIM_400000_NS6detail17trampoline_kernelINS0_14default_configENS1_21merge_config_selectorINS0_5tupleIJiiEEENS0_10empty_typeEEEZNS1_10merge_implIS3_NS0_12zip_iteratorINS5_IJN6thrust23THRUST_200600_302600_NS6detail15normal_iteratorINSC_10device_ptrIKiEEEESI_EEEEESK_NSA_INS5_IJNSC_16discard_iteratorINSC_11use_defaultEEESN_EEEEEPS7_SQ_SQ_NSC_11hip_rocprim7__merge17predicate_wrapperIiiNSC_4lessIiEEEEEE10hipError_tPvRmT0_T1_T2_T3_T4_T5_mmT6_P12ihipStream_tbEUlT_E0_NS1_11comp_targetILNS1_3genE10ELNS1_11target_archE1201ELNS1_3gpuE5ELNS1_3repE0EEENS1_30default_config_static_selectorELNS0_4arch9wavefront6targetE0EEEvS11_.num_vgpr, 0
	.set _ZN7rocprim17ROCPRIM_400000_NS6detail17trampoline_kernelINS0_14default_configENS1_21merge_config_selectorINS0_5tupleIJiiEEENS0_10empty_typeEEEZNS1_10merge_implIS3_NS0_12zip_iteratorINS5_IJN6thrust23THRUST_200600_302600_NS6detail15normal_iteratorINSC_10device_ptrIKiEEEESI_EEEEESK_NSA_INS5_IJNSC_16discard_iteratorINSC_11use_defaultEEESN_EEEEEPS7_SQ_SQ_NSC_11hip_rocprim7__merge17predicate_wrapperIiiNSC_4lessIiEEEEEE10hipError_tPvRmT0_T1_T2_T3_T4_T5_mmT6_P12ihipStream_tbEUlT_E0_NS1_11comp_targetILNS1_3genE10ELNS1_11target_archE1201ELNS1_3gpuE5ELNS1_3repE0EEENS1_30default_config_static_selectorELNS0_4arch9wavefront6targetE0EEEvS11_.num_agpr, 0
	.set _ZN7rocprim17ROCPRIM_400000_NS6detail17trampoline_kernelINS0_14default_configENS1_21merge_config_selectorINS0_5tupleIJiiEEENS0_10empty_typeEEEZNS1_10merge_implIS3_NS0_12zip_iteratorINS5_IJN6thrust23THRUST_200600_302600_NS6detail15normal_iteratorINSC_10device_ptrIKiEEEESI_EEEEESK_NSA_INS5_IJNSC_16discard_iteratorINSC_11use_defaultEEESN_EEEEEPS7_SQ_SQ_NSC_11hip_rocprim7__merge17predicate_wrapperIiiNSC_4lessIiEEEEEE10hipError_tPvRmT0_T1_T2_T3_T4_T5_mmT6_P12ihipStream_tbEUlT_E0_NS1_11comp_targetILNS1_3genE10ELNS1_11target_archE1201ELNS1_3gpuE5ELNS1_3repE0EEENS1_30default_config_static_selectorELNS0_4arch9wavefront6targetE0EEEvS11_.numbered_sgpr, 0
	.set _ZN7rocprim17ROCPRIM_400000_NS6detail17trampoline_kernelINS0_14default_configENS1_21merge_config_selectorINS0_5tupleIJiiEEENS0_10empty_typeEEEZNS1_10merge_implIS3_NS0_12zip_iteratorINS5_IJN6thrust23THRUST_200600_302600_NS6detail15normal_iteratorINSC_10device_ptrIKiEEEESI_EEEEESK_NSA_INS5_IJNSC_16discard_iteratorINSC_11use_defaultEEESN_EEEEEPS7_SQ_SQ_NSC_11hip_rocprim7__merge17predicate_wrapperIiiNSC_4lessIiEEEEEE10hipError_tPvRmT0_T1_T2_T3_T4_T5_mmT6_P12ihipStream_tbEUlT_E0_NS1_11comp_targetILNS1_3genE10ELNS1_11target_archE1201ELNS1_3gpuE5ELNS1_3repE0EEENS1_30default_config_static_selectorELNS0_4arch9wavefront6targetE0EEEvS11_.num_named_barrier, 0
	.set _ZN7rocprim17ROCPRIM_400000_NS6detail17trampoline_kernelINS0_14default_configENS1_21merge_config_selectorINS0_5tupleIJiiEEENS0_10empty_typeEEEZNS1_10merge_implIS3_NS0_12zip_iteratorINS5_IJN6thrust23THRUST_200600_302600_NS6detail15normal_iteratorINSC_10device_ptrIKiEEEESI_EEEEESK_NSA_INS5_IJNSC_16discard_iteratorINSC_11use_defaultEEESN_EEEEEPS7_SQ_SQ_NSC_11hip_rocprim7__merge17predicate_wrapperIiiNSC_4lessIiEEEEEE10hipError_tPvRmT0_T1_T2_T3_T4_T5_mmT6_P12ihipStream_tbEUlT_E0_NS1_11comp_targetILNS1_3genE10ELNS1_11target_archE1201ELNS1_3gpuE5ELNS1_3repE0EEENS1_30default_config_static_selectorELNS0_4arch9wavefront6targetE0EEEvS11_.private_seg_size, 0
	.set _ZN7rocprim17ROCPRIM_400000_NS6detail17trampoline_kernelINS0_14default_configENS1_21merge_config_selectorINS0_5tupleIJiiEEENS0_10empty_typeEEEZNS1_10merge_implIS3_NS0_12zip_iteratorINS5_IJN6thrust23THRUST_200600_302600_NS6detail15normal_iteratorINSC_10device_ptrIKiEEEESI_EEEEESK_NSA_INS5_IJNSC_16discard_iteratorINSC_11use_defaultEEESN_EEEEEPS7_SQ_SQ_NSC_11hip_rocprim7__merge17predicate_wrapperIiiNSC_4lessIiEEEEEE10hipError_tPvRmT0_T1_T2_T3_T4_T5_mmT6_P12ihipStream_tbEUlT_E0_NS1_11comp_targetILNS1_3genE10ELNS1_11target_archE1201ELNS1_3gpuE5ELNS1_3repE0EEENS1_30default_config_static_selectorELNS0_4arch9wavefront6targetE0EEEvS11_.uses_vcc, 0
	.set _ZN7rocprim17ROCPRIM_400000_NS6detail17trampoline_kernelINS0_14default_configENS1_21merge_config_selectorINS0_5tupleIJiiEEENS0_10empty_typeEEEZNS1_10merge_implIS3_NS0_12zip_iteratorINS5_IJN6thrust23THRUST_200600_302600_NS6detail15normal_iteratorINSC_10device_ptrIKiEEEESI_EEEEESK_NSA_INS5_IJNSC_16discard_iteratorINSC_11use_defaultEEESN_EEEEEPS7_SQ_SQ_NSC_11hip_rocprim7__merge17predicate_wrapperIiiNSC_4lessIiEEEEEE10hipError_tPvRmT0_T1_T2_T3_T4_T5_mmT6_P12ihipStream_tbEUlT_E0_NS1_11comp_targetILNS1_3genE10ELNS1_11target_archE1201ELNS1_3gpuE5ELNS1_3repE0EEENS1_30default_config_static_selectorELNS0_4arch9wavefront6targetE0EEEvS11_.uses_flat_scratch, 0
	.set _ZN7rocprim17ROCPRIM_400000_NS6detail17trampoline_kernelINS0_14default_configENS1_21merge_config_selectorINS0_5tupleIJiiEEENS0_10empty_typeEEEZNS1_10merge_implIS3_NS0_12zip_iteratorINS5_IJN6thrust23THRUST_200600_302600_NS6detail15normal_iteratorINSC_10device_ptrIKiEEEESI_EEEEESK_NSA_INS5_IJNSC_16discard_iteratorINSC_11use_defaultEEESN_EEEEEPS7_SQ_SQ_NSC_11hip_rocprim7__merge17predicate_wrapperIiiNSC_4lessIiEEEEEE10hipError_tPvRmT0_T1_T2_T3_T4_T5_mmT6_P12ihipStream_tbEUlT_E0_NS1_11comp_targetILNS1_3genE10ELNS1_11target_archE1201ELNS1_3gpuE5ELNS1_3repE0EEENS1_30default_config_static_selectorELNS0_4arch9wavefront6targetE0EEEvS11_.has_dyn_sized_stack, 0
	.set _ZN7rocprim17ROCPRIM_400000_NS6detail17trampoline_kernelINS0_14default_configENS1_21merge_config_selectorINS0_5tupleIJiiEEENS0_10empty_typeEEEZNS1_10merge_implIS3_NS0_12zip_iteratorINS5_IJN6thrust23THRUST_200600_302600_NS6detail15normal_iteratorINSC_10device_ptrIKiEEEESI_EEEEESK_NSA_INS5_IJNSC_16discard_iteratorINSC_11use_defaultEEESN_EEEEEPS7_SQ_SQ_NSC_11hip_rocprim7__merge17predicate_wrapperIiiNSC_4lessIiEEEEEE10hipError_tPvRmT0_T1_T2_T3_T4_T5_mmT6_P12ihipStream_tbEUlT_E0_NS1_11comp_targetILNS1_3genE10ELNS1_11target_archE1201ELNS1_3gpuE5ELNS1_3repE0EEENS1_30default_config_static_selectorELNS0_4arch9wavefront6targetE0EEEvS11_.has_recursion, 0
	.set _ZN7rocprim17ROCPRIM_400000_NS6detail17trampoline_kernelINS0_14default_configENS1_21merge_config_selectorINS0_5tupleIJiiEEENS0_10empty_typeEEEZNS1_10merge_implIS3_NS0_12zip_iteratorINS5_IJN6thrust23THRUST_200600_302600_NS6detail15normal_iteratorINSC_10device_ptrIKiEEEESI_EEEEESK_NSA_INS5_IJNSC_16discard_iteratorINSC_11use_defaultEEESN_EEEEEPS7_SQ_SQ_NSC_11hip_rocprim7__merge17predicate_wrapperIiiNSC_4lessIiEEEEEE10hipError_tPvRmT0_T1_T2_T3_T4_T5_mmT6_P12ihipStream_tbEUlT_E0_NS1_11comp_targetILNS1_3genE10ELNS1_11target_archE1201ELNS1_3gpuE5ELNS1_3repE0EEENS1_30default_config_static_selectorELNS0_4arch9wavefront6targetE0EEEvS11_.has_indirect_call, 0
	.section	.AMDGPU.csdata,"",@progbits
; Kernel info:
; codeLenInByte = 0
; TotalNumSgprs: 0
; NumVgprs: 0
; ScratchSize: 0
; MemoryBound: 0
; FloatMode: 240
; IeeeMode: 1
; LDSByteSize: 0 bytes/workgroup (compile time only)
; SGPRBlocks: 0
; VGPRBlocks: 0
; NumSGPRsForWavesPerEU: 1
; NumVGPRsForWavesPerEU: 1
; NamedBarCnt: 0
; Occupancy: 16
; WaveLimiterHint : 0
; COMPUTE_PGM_RSRC2:SCRATCH_EN: 0
; COMPUTE_PGM_RSRC2:USER_SGPR: 2
; COMPUTE_PGM_RSRC2:TRAP_HANDLER: 0
; COMPUTE_PGM_RSRC2:TGID_X_EN: 1
; COMPUTE_PGM_RSRC2:TGID_Y_EN: 0
; COMPUTE_PGM_RSRC2:TGID_Z_EN: 0
; COMPUTE_PGM_RSRC2:TIDIG_COMP_CNT: 0
	.section	.text._ZN7rocprim17ROCPRIM_400000_NS6detail17trampoline_kernelINS0_14default_configENS1_21merge_config_selectorINS0_5tupleIJiiEEENS0_10empty_typeEEEZNS1_10merge_implIS3_NS0_12zip_iteratorINS5_IJN6thrust23THRUST_200600_302600_NS6detail15normal_iteratorINSC_10device_ptrIKiEEEESI_EEEEESK_NSA_INS5_IJNSC_16discard_iteratorINSC_11use_defaultEEESN_EEEEEPS7_SQ_SQ_NSC_11hip_rocprim7__merge17predicate_wrapperIiiNSC_4lessIiEEEEEE10hipError_tPvRmT0_T1_T2_T3_T4_T5_mmT6_P12ihipStream_tbEUlT_E0_NS1_11comp_targetILNS1_3genE10ELNS1_11target_archE1200ELNS1_3gpuE4ELNS1_3repE0EEENS1_30default_config_static_selectorELNS0_4arch9wavefront6targetE0EEEvS11_,"axG",@progbits,_ZN7rocprim17ROCPRIM_400000_NS6detail17trampoline_kernelINS0_14default_configENS1_21merge_config_selectorINS0_5tupleIJiiEEENS0_10empty_typeEEEZNS1_10merge_implIS3_NS0_12zip_iteratorINS5_IJN6thrust23THRUST_200600_302600_NS6detail15normal_iteratorINSC_10device_ptrIKiEEEESI_EEEEESK_NSA_INS5_IJNSC_16discard_iteratorINSC_11use_defaultEEESN_EEEEEPS7_SQ_SQ_NSC_11hip_rocprim7__merge17predicate_wrapperIiiNSC_4lessIiEEEEEE10hipError_tPvRmT0_T1_T2_T3_T4_T5_mmT6_P12ihipStream_tbEUlT_E0_NS1_11comp_targetILNS1_3genE10ELNS1_11target_archE1200ELNS1_3gpuE4ELNS1_3repE0EEENS1_30default_config_static_selectorELNS0_4arch9wavefront6targetE0EEEvS11_,comdat
	.protected	_ZN7rocprim17ROCPRIM_400000_NS6detail17trampoline_kernelINS0_14default_configENS1_21merge_config_selectorINS0_5tupleIJiiEEENS0_10empty_typeEEEZNS1_10merge_implIS3_NS0_12zip_iteratorINS5_IJN6thrust23THRUST_200600_302600_NS6detail15normal_iteratorINSC_10device_ptrIKiEEEESI_EEEEESK_NSA_INS5_IJNSC_16discard_iteratorINSC_11use_defaultEEESN_EEEEEPS7_SQ_SQ_NSC_11hip_rocprim7__merge17predicate_wrapperIiiNSC_4lessIiEEEEEE10hipError_tPvRmT0_T1_T2_T3_T4_T5_mmT6_P12ihipStream_tbEUlT_E0_NS1_11comp_targetILNS1_3genE10ELNS1_11target_archE1200ELNS1_3gpuE4ELNS1_3repE0EEENS1_30default_config_static_selectorELNS0_4arch9wavefront6targetE0EEEvS11_ ; -- Begin function _ZN7rocprim17ROCPRIM_400000_NS6detail17trampoline_kernelINS0_14default_configENS1_21merge_config_selectorINS0_5tupleIJiiEEENS0_10empty_typeEEEZNS1_10merge_implIS3_NS0_12zip_iteratorINS5_IJN6thrust23THRUST_200600_302600_NS6detail15normal_iteratorINSC_10device_ptrIKiEEEESI_EEEEESK_NSA_INS5_IJNSC_16discard_iteratorINSC_11use_defaultEEESN_EEEEEPS7_SQ_SQ_NSC_11hip_rocprim7__merge17predicate_wrapperIiiNSC_4lessIiEEEEEE10hipError_tPvRmT0_T1_T2_T3_T4_T5_mmT6_P12ihipStream_tbEUlT_E0_NS1_11comp_targetILNS1_3genE10ELNS1_11target_archE1200ELNS1_3gpuE4ELNS1_3repE0EEENS1_30default_config_static_selectorELNS0_4arch9wavefront6targetE0EEEvS11_
	.globl	_ZN7rocprim17ROCPRIM_400000_NS6detail17trampoline_kernelINS0_14default_configENS1_21merge_config_selectorINS0_5tupleIJiiEEENS0_10empty_typeEEEZNS1_10merge_implIS3_NS0_12zip_iteratorINS5_IJN6thrust23THRUST_200600_302600_NS6detail15normal_iteratorINSC_10device_ptrIKiEEEESI_EEEEESK_NSA_INS5_IJNSC_16discard_iteratorINSC_11use_defaultEEESN_EEEEEPS7_SQ_SQ_NSC_11hip_rocprim7__merge17predicate_wrapperIiiNSC_4lessIiEEEEEE10hipError_tPvRmT0_T1_T2_T3_T4_T5_mmT6_P12ihipStream_tbEUlT_E0_NS1_11comp_targetILNS1_3genE10ELNS1_11target_archE1200ELNS1_3gpuE4ELNS1_3repE0EEENS1_30default_config_static_selectorELNS0_4arch9wavefront6targetE0EEEvS11_
	.p2align	8
	.type	_ZN7rocprim17ROCPRIM_400000_NS6detail17trampoline_kernelINS0_14default_configENS1_21merge_config_selectorINS0_5tupleIJiiEEENS0_10empty_typeEEEZNS1_10merge_implIS3_NS0_12zip_iteratorINS5_IJN6thrust23THRUST_200600_302600_NS6detail15normal_iteratorINSC_10device_ptrIKiEEEESI_EEEEESK_NSA_INS5_IJNSC_16discard_iteratorINSC_11use_defaultEEESN_EEEEEPS7_SQ_SQ_NSC_11hip_rocprim7__merge17predicate_wrapperIiiNSC_4lessIiEEEEEE10hipError_tPvRmT0_T1_T2_T3_T4_T5_mmT6_P12ihipStream_tbEUlT_E0_NS1_11comp_targetILNS1_3genE10ELNS1_11target_archE1200ELNS1_3gpuE4ELNS1_3repE0EEENS1_30default_config_static_selectorELNS0_4arch9wavefront6targetE0EEEvS11_,@function
_ZN7rocprim17ROCPRIM_400000_NS6detail17trampoline_kernelINS0_14default_configENS1_21merge_config_selectorINS0_5tupleIJiiEEENS0_10empty_typeEEEZNS1_10merge_implIS3_NS0_12zip_iteratorINS5_IJN6thrust23THRUST_200600_302600_NS6detail15normal_iteratorINSC_10device_ptrIKiEEEESI_EEEEESK_NSA_INS5_IJNSC_16discard_iteratorINSC_11use_defaultEEESN_EEEEEPS7_SQ_SQ_NSC_11hip_rocprim7__merge17predicate_wrapperIiiNSC_4lessIiEEEEEE10hipError_tPvRmT0_T1_T2_T3_T4_T5_mmT6_P12ihipStream_tbEUlT_E0_NS1_11comp_targetILNS1_3genE10ELNS1_11target_archE1200ELNS1_3gpuE4ELNS1_3repE0EEENS1_30default_config_static_selectorELNS0_4arch9wavefront6targetE0EEEvS11_: ; @_ZN7rocprim17ROCPRIM_400000_NS6detail17trampoline_kernelINS0_14default_configENS1_21merge_config_selectorINS0_5tupleIJiiEEENS0_10empty_typeEEEZNS1_10merge_implIS3_NS0_12zip_iteratorINS5_IJN6thrust23THRUST_200600_302600_NS6detail15normal_iteratorINSC_10device_ptrIKiEEEESI_EEEEESK_NSA_INS5_IJNSC_16discard_iteratorINSC_11use_defaultEEESN_EEEEEPS7_SQ_SQ_NSC_11hip_rocprim7__merge17predicate_wrapperIiiNSC_4lessIiEEEEEE10hipError_tPvRmT0_T1_T2_T3_T4_T5_mmT6_P12ihipStream_tbEUlT_E0_NS1_11comp_targetILNS1_3genE10ELNS1_11target_archE1200ELNS1_3gpuE4ELNS1_3repE0EEENS1_30default_config_static_selectorELNS0_4arch9wavefront6targetE0EEEvS11_
; %bb.0:
	.section	.rodata,"a",@progbits
	.p2align	6, 0x0
	.amdhsa_kernel _ZN7rocprim17ROCPRIM_400000_NS6detail17trampoline_kernelINS0_14default_configENS1_21merge_config_selectorINS0_5tupleIJiiEEENS0_10empty_typeEEEZNS1_10merge_implIS3_NS0_12zip_iteratorINS5_IJN6thrust23THRUST_200600_302600_NS6detail15normal_iteratorINSC_10device_ptrIKiEEEESI_EEEEESK_NSA_INS5_IJNSC_16discard_iteratorINSC_11use_defaultEEESN_EEEEEPS7_SQ_SQ_NSC_11hip_rocprim7__merge17predicate_wrapperIiiNSC_4lessIiEEEEEE10hipError_tPvRmT0_T1_T2_T3_T4_T5_mmT6_P12ihipStream_tbEUlT_E0_NS1_11comp_targetILNS1_3genE10ELNS1_11target_archE1200ELNS1_3gpuE4ELNS1_3repE0EEENS1_30default_config_static_selectorELNS0_4arch9wavefront6targetE0EEEvS11_
		.amdhsa_group_segment_fixed_size 0
		.amdhsa_private_segment_fixed_size 0
		.amdhsa_kernarg_size 128
		.amdhsa_user_sgpr_count 2
		.amdhsa_user_sgpr_dispatch_ptr 0
		.amdhsa_user_sgpr_queue_ptr 0
		.amdhsa_user_sgpr_kernarg_segment_ptr 1
		.amdhsa_user_sgpr_dispatch_id 0
		.amdhsa_user_sgpr_kernarg_preload_length 0
		.amdhsa_user_sgpr_kernarg_preload_offset 0
		.amdhsa_user_sgpr_private_segment_size 0
		.amdhsa_wavefront_size32 1
		.amdhsa_uses_dynamic_stack 0
		.amdhsa_enable_private_segment 0
		.amdhsa_system_sgpr_workgroup_id_x 1
		.amdhsa_system_sgpr_workgroup_id_y 0
		.amdhsa_system_sgpr_workgroup_id_z 0
		.amdhsa_system_sgpr_workgroup_info 0
		.amdhsa_system_vgpr_workitem_id 0
		.amdhsa_next_free_vgpr 1
		.amdhsa_next_free_sgpr 1
		.amdhsa_named_barrier_count 0
		.amdhsa_reserve_vcc 0
		.amdhsa_float_round_mode_32 0
		.amdhsa_float_round_mode_16_64 0
		.amdhsa_float_denorm_mode_32 3
		.amdhsa_float_denorm_mode_16_64 3
		.amdhsa_fp16_overflow 0
		.amdhsa_memory_ordered 1
		.amdhsa_forward_progress 1
		.amdhsa_inst_pref_size 0
		.amdhsa_round_robin_scheduling 0
		.amdhsa_exception_fp_ieee_invalid_op 0
		.amdhsa_exception_fp_denorm_src 0
		.amdhsa_exception_fp_ieee_div_zero 0
		.amdhsa_exception_fp_ieee_overflow 0
		.amdhsa_exception_fp_ieee_underflow 0
		.amdhsa_exception_fp_ieee_inexact 0
		.amdhsa_exception_int_div_zero 0
	.end_amdhsa_kernel
	.section	.text._ZN7rocprim17ROCPRIM_400000_NS6detail17trampoline_kernelINS0_14default_configENS1_21merge_config_selectorINS0_5tupleIJiiEEENS0_10empty_typeEEEZNS1_10merge_implIS3_NS0_12zip_iteratorINS5_IJN6thrust23THRUST_200600_302600_NS6detail15normal_iteratorINSC_10device_ptrIKiEEEESI_EEEEESK_NSA_INS5_IJNSC_16discard_iteratorINSC_11use_defaultEEESN_EEEEEPS7_SQ_SQ_NSC_11hip_rocprim7__merge17predicate_wrapperIiiNSC_4lessIiEEEEEE10hipError_tPvRmT0_T1_T2_T3_T4_T5_mmT6_P12ihipStream_tbEUlT_E0_NS1_11comp_targetILNS1_3genE10ELNS1_11target_archE1200ELNS1_3gpuE4ELNS1_3repE0EEENS1_30default_config_static_selectorELNS0_4arch9wavefront6targetE0EEEvS11_,"axG",@progbits,_ZN7rocprim17ROCPRIM_400000_NS6detail17trampoline_kernelINS0_14default_configENS1_21merge_config_selectorINS0_5tupleIJiiEEENS0_10empty_typeEEEZNS1_10merge_implIS3_NS0_12zip_iteratorINS5_IJN6thrust23THRUST_200600_302600_NS6detail15normal_iteratorINSC_10device_ptrIKiEEEESI_EEEEESK_NSA_INS5_IJNSC_16discard_iteratorINSC_11use_defaultEEESN_EEEEEPS7_SQ_SQ_NSC_11hip_rocprim7__merge17predicate_wrapperIiiNSC_4lessIiEEEEEE10hipError_tPvRmT0_T1_T2_T3_T4_T5_mmT6_P12ihipStream_tbEUlT_E0_NS1_11comp_targetILNS1_3genE10ELNS1_11target_archE1200ELNS1_3gpuE4ELNS1_3repE0EEENS1_30default_config_static_selectorELNS0_4arch9wavefront6targetE0EEEvS11_,comdat
.Lfunc_end602:
	.size	_ZN7rocprim17ROCPRIM_400000_NS6detail17trampoline_kernelINS0_14default_configENS1_21merge_config_selectorINS0_5tupleIJiiEEENS0_10empty_typeEEEZNS1_10merge_implIS3_NS0_12zip_iteratorINS5_IJN6thrust23THRUST_200600_302600_NS6detail15normal_iteratorINSC_10device_ptrIKiEEEESI_EEEEESK_NSA_INS5_IJNSC_16discard_iteratorINSC_11use_defaultEEESN_EEEEEPS7_SQ_SQ_NSC_11hip_rocprim7__merge17predicate_wrapperIiiNSC_4lessIiEEEEEE10hipError_tPvRmT0_T1_T2_T3_T4_T5_mmT6_P12ihipStream_tbEUlT_E0_NS1_11comp_targetILNS1_3genE10ELNS1_11target_archE1200ELNS1_3gpuE4ELNS1_3repE0EEENS1_30default_config_static_selectorELNS0_4arch9wavefront6targetE0EEEvS11_, .Lfunc_end602-_ZN7rocprim17ROCPRIM_400000_NS6detail17trampoline_kernelINS0_14default_configENS1_21merge_config_selectorINS0_5tupleIJiiEEENS0_10empty_typeEEEZNS1_10merge_implIS3_NS0_12zip_iteratorINS5_IJN6thrust23THRUST_200600_302600_NS6detail15normal_iteratorINSC_10device_ptrIKiEEEESI_EEEEESK_NSA_INS5_IJNSC_16discard_iteratorINSC_11use_defaultEEESN_EEEEEPS7_SQ_SQ_NSC_11hip_rocprim7__merge17predicate_wrapperIiiNSC_4lessIiEEEEEE10hipError_tPvRmT0_T1_T2_T3_T4_T5_mmT6_P12ihipStream_tbEUlT_E0_NS1_11comp_targetILNS1_3genE10ELNS1_11target_archE1200ELNS1_3gpuE4ELNS1_3repE0EEENS1_30default_config_static_selectorELNS0_4arch9wavefront6targetE0EEEvS11_
                                        ; -- End function
	.set _ZN7rocprim17ROCPRIM_400000_NS6detail17trampoline_kernelINS0_14default_configENS1_21merge_config_selectorINS0_5tupleIJiiEEENS0_10empty_typeEEEZNS1_10merge_implIS3_NS0_12zip_iteratorINS5_IJN6thrust23THRUST_200600_302600_NS6detail15normal_iteratorINSC_10device_ptrIKiEEEESI_EEEEESK_NSA_INS5_IJNSC_16discard_iteratorINSC_11use_defaultEEESN_EEEEEPS7_SQ_SQ_NSC_11hip_rocprim7__merge17predicate_wrapperIiiNSC_4lessIiEEEEEE10hipError_tPvRmT0_T1_T2_T3_T4_T5_mmT6_P12ihipStream_tbEUlT_E0_NS1_11comp_targetILNS1_3genE10ELNS1_11target_archE1200ELNS1_3gpuE4ELNS1_3repE0EEENS1_30default_config_static_selectorELNS0_4arch9wavefront6targetE0EEEvS11_.num_vgpr, 0
	.set _ZN7rocprim17ROCPRIM_400000_NS6detail17trampoline_kernelINS0_14default_configENS1_21merge_config_selectorINS0_5tupleIJiiEEENS0_10empty_typeEEEZNS1_10merge_implIS3_NS0_12zip_iteratorINS5_IJN6thrust23THRUST_200600_302600_NS6detail15normal_iteratorINSC_10device_ptrIKiEEEESI_EEEEESK_NSA_INS5_IJNSC_16discard_iteratorINSC_11use_defaultEEESN_EEEEEPS7_SQ_SQ_NSC_11hip_rocprim7__merge17predicate_wrapperIiiNSC_4lessIiEEEEEE10hipError_tPvRmT0_T1_T2_T3_T4_T5_mmT6_P12ihipStream_tbEUlT_E0_NS1_11comp_targetILNS1_3genE10ELNS1_11target_archE1200ELNS1_3gpuE4ELNS1_3repE0EEENS1_30default_config_static_selectorELNS0_4arch9wavefront6targetE0EEEvS11_.num_agpr, 0
	.set _ZN7rocprim17ROCPRIM_400000_NS6detail17trampoline_kernelINS0_14default_configENS1_21merge_config_selectorINS0_5tupleIJiiEEENS0_10empty_typeEEEZNS1_10merge_implIS3_NS0_12zip_iteratorINS5_IJN6thrust23THRUST_200600_302600_NS6detail15normal_iteratorINSC_10device_ptrIKiEEEESI_EEEEESK_NSA_INS5_IJNSC_16discard_iteratorINSC_11use_defaultEEESN_EEEEEPS7_SQ_SQ_NSC_11hip_rocprim7__merge17predicate_wrapperIiiNSC_4lessIiEEEEEE10hipError_tPvRmT0_T1_T2_T3_T4_T5_mmT6_P12ihipStream_tbEUlT_E0_NS1_11comp_targetILNS1_3genE10ELNS1_11target_archE1200ELNS1_3gpuE4ELNS1_3repE0EEENS1_30default_config_static_selectorELNS0_4arch9wavefront6targetE0EEEvS11_.numbered_sgpr, 0
	.set _ZN7rocprim17ROCPRIM_400000_NS6detail17trampoline_kernelINS0_14default_configENS1_21merge_config_selectorINS0_5tupleIJiiEEENS0_10empty_typeEEEZNS1_10merge_implIS3_NS0_12zip_iteratorINS5_IJN6thrust23THRUST_200600_302600_NS6detail15normal_iteratorINSC_10device_ptrIKiEEEESI_EEEEESK_NSA_INS5_IJNSC_16discard_iteratorINSC_11use_defaultEEESN_EEEEEPS7_SQ_SQ_NSC_11hip_rocprim7__merge17predicate_wrapperIiiNSC_4lessIiEEEEEE10hipError_tPvRmT0_T1_T2_T3_T4_T5_mmT6_P12ihipStream_tbEUlT_E0_NS1_11comp_targetILNS1_3genE10ELNS1_11target_archE1200ELNS1_3gpuE4ELNS1_3repE0EEENS1_30default_config_static_selectorELNS0_4arch9wavefront6targetE0EEEvS11_.num_named_barrier, 0
	.set _ZN7rocprim17ROCPRIM_400000_NS6detail17trampoline_kernelINS0_14default_configENS1_21merge_config_selectorINS0_5tupleIJiiEEENS0_10empty_typeEEEZNS1_10merge_implIS3_NS0_12zip_iteratorINS5_IJN6thrust23THRUST_200600_302600_NS6detail15normal_iteratorINSC_10device_ptrIKiEEEESI_EEEEESK_NSA_INS5_IJNSC_16discard_iteratorINSC_11use_defaultEEESN_EEEEEPS7_SQ_SQ_NSC_11hip_rocprim7__merge17predicate_wrapperIiiNSC_4lessIiEEEEEE10hipError_tPvRmT0_T1_T2_T3_T4_T5_mmT6_P12ihipStream_tbEUlT_E0_NS1_11comp_targetILNS1_3genE10ELNS1_11target_archE1200ELNS1_3gpuE4ELNS1_3repE0EEENS1_30default_config_static_selectorELNS0_4arch9wavefront6targetE0EEEvS11_.private_seg_size, 0
	.set _ZN7rocprim17ROCPRIM_400000_NS6detail17trampoline_kernelINS0_14default_configENS1_21merge_config_selectorINS0_5tupleIJiiEEENS0_10empty_typeEEEZNS1_10merge_implIS3_NS0_12zip_iteratorINS5_IJN6thrust23THRUST_200600_302600_NS6detail15normal_iteratorINSC_10device_ptrIKiEEEESI_EEEEESK_NSA_INS5_IJNSC_16discard_iteratorINSC_11use_defaultEEESN_EEEEEPS7_SQ_SQ_NSC_11hip_rocprim7__merge17predicate_wrapperIiiNSC_4lessIiEEEEEE10hipError_tPvRmT0_T1_T2_T3_T4_T5_mmT6_P12ihipStream_tbEUlT_E0_NS1_11comp_targetILNS1_3genE10ELNS1_11target_archE1200ELNS1_3gpuE4ELNS1_3repE0EEENS1_30default_config_static_selectorELNS0_4arch9wavefront6targetE0EEEvS11_.uses_vcc, 0
	.set _ZN7rocprim17ROCPRIM_400000_NS6detail17trampoline_kernelINS0_14default_configENS1_21merge_config_selectorINS0_5tupleIJiiEEENS0_10empty_typeEEEZNS1_10merge_implIS3_NS0_12zip_iteratorINS5_IJN6thrust23THRUST_200600_302600_NS6detail15normal_iteratorINSC_10device_ptrIKiEEEESI_EEEEESK_NSA_INS5_IJNSC_16discard_iteratorINSC_11use_defaultEEESN_EEEEEPS7_SQ_SQ_NSC_11hip_rocprim7__merge17predicate_wrapperIiiNSC_4lessIiEEEEEE10hipError_tPvRmT0_T1_T2_T3_T4_T5_mmT6_P12ihipStream_tbEUlT_E0_NS1_11comp_targetILNS1_3genE10ELNS1_11target_archE1200ELNS1_3gpuE4ELNS1_3repE0EEENS1_30default_config_static_selectorELNS0_4arch9wavefront6targetE0EEEvS11_.uses_flat_scratch, 0
	.set _ZN7rocprim17ROCPRIM_400000_NS6detail17trampoline_kernelINS0_14default_configENS1_21merge_config_selectorINS0_5tupleIJiiEEENS0_10empty_typeEEEZNS1_10merge_implIS3_NS0_12zip_iteratorINS5_IJN6thrust23THRUST_200600_302600_NS6detail15normal_iteratorINSC_10device_ptrIKiEEEESI_EEEEESK_NSA_INS5_IJNSC_16discard_iteratorINSC_11use_defaultEEESN_EEEEEPS7_SQ_SQ_NSC_11hip_rocprim7__merge17predicate_wrapperIiiNSC_4lessIiEEEEEE10hipError_tPvRmT0_T1_T2_T3_T4_T5_mmT6_P12ihipStream_tbEUlT_E0_NS1_11comp_targetILNS1_3genE10ELNS1_11target_archE1200ELNS1_3gpuE4ELNS1_3repE0EEENS1_30default_config_static_selectorELNS0_4arch9wavefront6targetE0EEEvS11_.has_dyn_sized_stack, 0
	.set _ZN7rocprim17ROCPRIM_400000_NS6detail17trampoline_kernelINS0_14default_configENS1_21merge_config_selectorINS0_5tupleIJiiEEENS0_10empty_typeEEEZNS1_10merge_implIS3_NS0_12zip_iteratorINS5_IJN6thrust23THRUST_200600_302600_NS6detail15normal_iteratorINSC_10device_ptrIKiEEEESI_EEEEESK_NSA_INS5_IJNSC_16discard_iteratorINSC_11use_defaultEEESN_EEEEEPS7_SQ_SQ_NSC_11hip_rocprim7__merge17predicate_wrapperIiiNSC_4lessIiEEEEEE10hipError_tPvRmT0_T1_T2_T3_T4_T5_mmT6_P12ihipStream_tbEUlT_E0_NS1_11comp_targetILNS1_3genE10ELNS1_11target_archE1200ELNS1_3gpuE4ELNS1_3repE0EEENS1_30default_config_static_selectorELNS0_4arch9wavefront6targetE0EEEvS11_.has_recursion, 0
	.set _ZN7rocprim17ROCPRIM_400000_NS6detail17trampoline_kernelINS0_14default_configENS1_21merge_config_selectorINS0_5tupleIJiiEEENS0_10empty_typeEEEZNS1_10merge_implIS3_NS0_12zip_iteratorINS5_IJN6thrust23THRUST_200600_302600_NS6detail15normal_iteratorINSC_10device_ptrIKiEEEESI_EEEEESK_NSA_INS5_IJNSC_16discard_iteratorINSC_11use_defaultEEESN_EEEEEPS7_SQ_SQ_NSC_11hip_rocprim7__merge17predicate_wrapperIiiNSC_4lessIiEEEEEE10hipError_tPvRmT0_T1_T2_T3_T4_T5_mmT6_P12ihipStream_tbEUlT_E0_NS1_11comp_targetILNS1_3genE10ELNS1_11target_archE1200ELNS1_3gpuE4ELNS1_3repE0EEENS1_30default_config_static_selectorELNS0_4arch9wavefront6targetE0EEEvS11_.has_indirect_call, 0
	.section	.AMDGPU.csdata,"",@progbits
; Kernel info:
; codeLenInByte = 0
; TotalNumSgprs: 0
; NumVgprs: 0
; ScratchSize: 0
; MemoryBound: 0
; FloatMode: 240
; IeeeMode: 1
; LDSByteSize: 0 bytes/workgroup (compile time only)
; SGPRBlocks: 0
; VGPRBlocks: 0
; NumSGPRsForWavesPerEU: 1
; NumVGPRsForWavesPerEU: 1
; NamedBarCnt: 0
; Occupancy: 16
; WaveLimiterHint : 0
; COMPUTE_PGM_RSRC2:SCRATCH_EN: 0
; COMPUTE_PGM_RSRC2:USER_SGPR: 2
; COMPUTE_PGM_RSRC2:TRAP_HANDLER: 0
; COMPUTE_PGM_RSRC2:TGID_X_EN: 1
; COMPUTE_PGM_RSRC2:TGID_Y_EN: 0
; COMPUTE_PGM_RSRC2:TGID_Z_EN: 0
; COMPUTE_PGM_RSRC2:TIDIG_COMP_CNT: 0
	.section	.text._ZN7rocprim17ROCPRIM_400000_NS6detail17trampoline_kernelINS0_14default_configENS1_21merge_config_selectorINS0_5tupleIJiiEEENS0_10empty_typeEEEZNS1_10merge_implIS3_NS0_12zip_iteratorINS5_IJN6thrust23THRUST_200600_302600_NS6detail15normal_iteratorINSC_10device_ptrIKiEEEESI_EEEEESK_NSA_INS5_IJNSC_16discard_iteratorINSC_11use_defaultEEESN_EEEEEPS7_SQ_SQ_NSC_11hip_rocprim7__merge17predicate_wrapperIiiNSC_4lessIiEEEEEE10hipError_tPvRmT0_T1_T2_T3_T4_T5_mmT6_P12ihipStream_tbEUlT_E0_NS1_11comp_targetILNS1_3genE9ELNS1_11target_archE1100ELNS1_3gpuE3ELNS1_3repE0EEENS1_30default_config_static_selectorELNS0_4arch9wavefront6targetE0EEEvS11_,"axG",@progbits,_ZN7rocprim17ROCPRIM_400000_NS6detail17trampoline_kernelINS0_14default_configENS1_21merge_config_selectorINS0_5tupleIJiiEEENS0_10empty_typeEEEZNS1_10merge_implIS3_NS0_12zip_iteratorINS5_IJN6thrust23THRUST_200600_302600_NS6detail15normal_iteratorINSC_10device_ptrIKiEEEESI_EEEEESK_NSA_INS5_IJNSC_16discard_iteratorINSC_11use_defaultEEESN_EEEEEPS7_SQ_SQ_NSC_11hip_rocprim7__merge17predicate_wrapperIiiNSC_4lessIiEEEEEE10hipError_tPvRmT0_T1_T2_T3_T4_T5_mmT6_P12ihipStream_tbEUlT_E0_NS1_11comp_targetILNS1_3genE9ELNS1_11target_archE1100ELNS1_3gpuE3ELNS1_3repE0EEENS1_30default_config_static_selectorELNS0_4arch9wavefront6targetE0EEEvS11_,comdat
	.protected	_ZN7rocprim17ROCPRIM_400000_NS6detail17trampoline_kernelINS0_14default_configENS1_21merge_config_selectorINS0_5tupleIJiiEEENS0_10empty_typeEEEZNS1_10merge_implIS3_NS0_12zip_iteratorINS5_IJN6thrust23THRUST_200600_302600_NS6detail15normal_iteratorINSC_10device_ptrIKiEEEESI_EEEEESK_NSA_INS5_IJNSC_16discard_iteratorINSC_11use_defaultEEESN_EEEEEPS7_SQ_SQ_NSC_11hip_rocprim7__merge17predicate_wrapperIiiNSC_4lessIiEEEEEE10hipError_tPvRmT0_T1_T2_T3_T4_T5_mmT6_P12ihipStream_tbEUlT_E0_NS1_11comp_targetILNS1_3genE9ELNS1_11target_archE1100ELNS1_3gpuE3ELNS1_3repE0EEENS1_30default_config_static_selectorELNS0_4arch9wavefront6targetE0EEEvS11_ ; -- Begin function _ZN7rocprim17ROCPRIM_400000_NS6detail17trampoline_kernelINS0_14default_configENS1_21merge_config_selectorINS0_5tupleIJiiEEENS0_10empty_typeEEEZNS1_10merge_implIS3_NS0_12zip_iteratorINS5_IJN6thrust23THRUST_200600_302600_NS6detail15normal_iteratorINSC_10device_ptrIKiEEEESI_EEEEESK_NSA_INS5_IJNSC_16discard_iteratorINSC_11use_defaultEEESN_EEEEEPS7_SQ_SQ_NSC_11hip_rocprim7__merge17predicate_wrapperIiiNSC_4lessIiEEEEEE10hipError_tPvRmT0_T1_T2_T3_T4_T5_mmT6_P12ihipStream_tbEUlT_E0_NS1_11comp_targetILNS1_3genE9ELNS1_11target_archE1100ELNS1_3gpuE3ELNS1_3repE0EEENS1_30default_config_static_selectorELNS0_4arch9wavefront6targetE0EEEvS11_
	.globl	_ZN7rocprim17ROCPRIM_400000_NS6detail17trampoline_kernelINS0_14default_configENS1_21merge_config_selectorINS0_5tupleIJiiEEENS0_10empty_typeEEEZNS1_10merge_implIS3_NS0_12zip_iteratorINS5_IJN6thrust23THRUST_200600_302600_NS6detail15normal_iteratorINSC_10device_ptrIKiEEEESI_EEEEESK_NSA_INS5_IJNSC_16discard_iteratorINSC_11use_defaultEEESN_EEEEEPS7_SQ_SQ_NSC_11hip_rocprim7__merge17predicate_wrapperIiiNSC_4lessIiEEEEEE10hipError_tPvRmT0_T1_T2_T3_T4_T5_mmT6_P12ihipStream_tbEUlT_E0_NS1_11comp_targetILNS1_3genE9ELNS1_11target_archE1100ELNS1_3gpuE3ELNS1_3repE0EEENS1_30default_config_static_selectorELNS0_4arch9wavefront6targetE0EEEvS11_
	.p2align	8
	.type	_ZN7rocprim17ROCPRIM_400000_NS6detail17trampoline_kernelINS0_14default_configENS1_21merge_config_selectorINS0_5tupleIJiiEEENS0_10empty_typeEEEZNS1_10merge_implIS3_NS0_12zip_iteratorINS5_IJN6thrust23THRUST_200600_302600_NS6detail15normal_iteratorINSC_10device_ptrIKiEEEESI_EEEEESK_NSA_INS5_IJNSC_16discard_iteratorINSC_11use_defaultEEESN_EEEEEPS7_SQ_SQ_NSC_11hip_rocprim7__merge17predicate_wrapperIiiNSC_4lessIiEEEEEE10hipError_tPvRmT0_T1_T2_T3_T4_T5_mmT6_P12ihipStream_tbEUlT_E0_NS1_11comp_targetILNS1_3genE9ELNS1_11target_archE1100ELNS1_3gpuE3ELNS1_3repE0EEENS1_30default_config_static_selectorELNS0_4arch9wavefront6targetE0EEEvS11_,@function
_ZN7rocprim17ROCPRIM_400000_NS6detail17trampoline_kernelINS0_14default_configENS1_21merge_config_selectorINS0_5tupleIJiiEEENS0_10empty_typeEEEZNS1_10merge_implIS3_NS0_12zip_iteratorINS5_IJN6thrust23THRUST_200600_302600_NS6detail15normal_iteratorINSC_10device_ptrIKiEEEESI_EEEEESK_NSA_INS5_IJNSC_16discard_iteratorINSC_11use_defaultEEESN_EEEEEPS7_SQ_SQ_NSC_11hip_rocprim7__merge17predicate_wrapperIiiNSC_4lessIiEEEEEE10hipError_tPvRmT0_T1_T2_T3_T4_T5_mmT6_P12ihipStream_tbEUlT_E0_NS1_11comp_targetILNS1_3genE9ELNS1_11target_archE1100ELNS1_3gpuE3ELNS1_3repE0EEENS1_30default_config_static_selectorELNS0_4arch9wavefront6targetE0EEEvS11_: ; @_ZN7rocprim17ROCPRIM_400000_NS6detail17trampoline_kernelINS0_14default_configENS1_21merge_config_selectorINS0_5tupleIJiiEEENS0_10empty_typeEEEZNS1_10merge_implIS3_NS0_12zip_iteratorINS5_IJN6thrust23THRUST_200600_302600_NS6detail15normal_iteratorINSC_10device_ptrIKiEEEESI_EEEEESK_NSA_INS5_IJNSC_16discard_iteratorINSC_11use_defaultEEESN_EEEEEPS7_SQ_SQ_NSC_11hip_rocprim7__merge17predicate_wrapperIiiNSC_4lessIiEEEEEE10hipError_tPvRmT0_T1_T2_T3_T4_T5_mmT6_P12ihipStream_tbEUlT_E0_NS1_11comp_targetILNS1_3genE9ELNS1_11target_archE1100ELNS1_3gpuE3ELNS1_3repE0EEENS1_30default_config_static_selectorELNS0_4arch9wavefront6targetE0EEEvS11_
; %bb.0:
	.section	.rodata,"a",@progbits
	.p2align	6, 0x0
	.amdhsa_kernel _ZN7rocprim17ROCPRIM_400000_NS6detail17trampoline_kernelINS0_14default_configENS1_21merge_config_selectorINS0_5tupleIJiiEEENS0_10empty_typeEEEZNS1_10merge_implIS3_NS0_12zip_iteratorINS5_IJN6thrust23THRUST_200600_302600_NS6detail15normal_iteratorINSC_10device_ptrIKiEEEESI_EEEEESK_NSA_INS5_IJNSC_16discard_iteratorINSC_11use_defaultEEESN_EEEEEPS7_SQ_SQ_NSC_11hip_rocprim7__merge17predicate_wrapperIiiNSC_4lessIiEEEEEE10hipError_tPvRmT0_T1_T2_T3_T4_T5_mmT6_P12ihipStream_tbEUlT_E0_NS1_11comp_targetILNS1_3genE9ELNS1_11target_archE1100ELNS1_3gpuE3ELNS1_3repE0EEENS1_30default_config_static_selectorELNS0_4arch9wavefront6targetE0EEEvS11_
		.amdhsa_group_segment_fixed_size 0
		.amdhsa_private_segment_fixed_size 0
		.amdhsa_kernarg_size 128
		.amdhsa_user_sgpr_count 2
		.amdhsa_user_sgpr_dispatch_ptr 0
		.amdhsa_user_sgpr_queue_ptr 0
		.amdhsa_user_sgpr_kernarg_segment_ptr 1
		.amdhsa_user_sgpr_dispatch_id 0
		.amdhsa_user_sgpr_kernarg_preload_length 0
		.amdhsa_user_sgpr_kernarg_preload_offset 0
		.amdhsa_user_sgpr_private_segment_size 0
		.amdhsa_wavefront_size32 1
		.amdhsa_uses_dynamic_stack 0
		.amdhsa_enable_private_segment 0
		.amdhsa_system_sgpr_workgroup_id_x 1
		.amdhsa_system_sgpr_workgroup_id_y 0
		.amdhsa_system_sgpr_workgroup_id_z 0
		.amdhsa_system_sgpr_workgroup_info 0
		.amdhsa_system_vgpr_workitem_id 0
		.amdhsa_next_free_vgpr 1
		.amdhsa_next_free_sgpr 1
		.amdhsa_named_barrier_count 0
		.amdhsa_reserve_vcc 0
		.amdhsa_float_round_mode_32 0
		.amdhsa_float_round_mode_16_64 0
		.amdhsa_float_denorm_mode_32 3
		.amdhsa_float_denorm_mode_16_64 3
		.amdhsa_fp16_overflow 0
		.amdhsa_memory_ordered 1
		.amdhsa_forward_progress 1
		.amdhsa_inst_pref_size 0
		.amdhsa_round_robin_scheduling 0
		.amdhsa_exception_fp_ieee_invalid_op 0
		.amdhsa_exception_fp_denorm_src 0
		.amdhsa_exception_fp_ieee_div_zero 0
		.amdhsa_exception_fp_ieee_overflow 0
		.amdhsa_exception_fp_ieee_underflow 0
		.amdhsa_exception_fp_ieee_inexact 0
		.amdhsa_exception_int_div_zero 0
	.end_amdhsa_kernel
	.section	.text._ZN7rocprim17ROCPRIM_400000_NS6detail17trampoline_kernelINS0_14default_configENS1_21merge_config_selectorINS0_5tupleIJiiEEENS0_10empty_typeEEEZNS1_10merge_implIS3_NS0_12zip_iteratorINS5_IJN6thrust23THRUST_200600_302600_NS6detail15normal_iteratorINSC_10device_ptrIKiEEEESI_EEEEESK_NSA_INS5_IJNSC_16discard_iteratorINSC_11use_defaultEEESN_EEEEEPS7_SQ_SQ_NSC_11hip_rocprim7__merge17predicate_wrapperIiiNSC_4lessIiEEEEEE10hipError_tPvRmT0_T1_T2_T3_T4_T5_mmT6_P12ihipStream_tbEUlT_E0_NS1_11comp_targetILNS1_3genE9ELNS1_11target_archE1100ELNS1_3gpuE3ELNS1_3repE0EEENS1_30default_config_static_selectorELNS0_4arch9wavefront6targetE0EEEvS11_,"axG",@progbits,_ZN7rocprim17ROCPRIM_400000_NS6detail17trampoline_kernelINS0_14default_configENS1_21merge_config_selectorINS0_5tupleIJiiEEENS0_10empty_typeEEEZNS1_10merge_implIS3_NS0_12zip_iteratorINS5_IJN6thrust23THRUST_200600_302600_NS6detail15normal_iteratorINSC_10device_ptrIKiEEEESI_EEEEESK_NSA_INS5_IJNSC_16discard_iteratorINSC_11use_defaultEEESN_EEEEEPS7_SQ_SQ_NSC_11hip_rocprim7__merge17predicate_wrapperIiiNSC_4lessIiEEEEEE10hipError_tPvRmT0_T1_T2_T3_T4_T5_mmT6_P12ihipStream_tbEUlT_E0_NS1_11comp_targetILNS1_3genE9ELNS1_11target_archE1100ELNS1_3gpuE3ELNS1_3repE0EEENS1_30default_config_static_selectorELNS0_4arch9wavefront6targetE0EEEvS11_,comdat
.Lfunc_end603:
	.size	_ZN7rocprim17ROCPRIM_400000_NS6detail17trampoline_kernelINS0_14default_configENS1_21merge_config_selectorINS0_5tupleIJiiEEENS0_10empty_typeEEEZNS1_10merge_implIS3_NS0_12zip_iteratorINS5_IJN6thrust23THRUST_200600_302600_NS6detail15normal_iteratorINSC_10device_ptrIKiEEEESI_EEEEESK_NSA_INS5_IJNSC_16discard_iteratorINSC_11use_defaultEEESN_EEEEEPS7_SQ_SQ_NSC_11hip_rocprim7__merge17predicate_wrapperIiiNSC_4lessIiEEEEEE10hipError_tPvRmT0_T1_T2_T3_T4_T5_mmT6_P12ihipStream_tbEUlT_E0_NS1_11comp_targetILNS1_3genE9ELNS1_11target_archE1100ELNS1_3gpuE3ELNS1_3repE0EEENS1_30default_config_static_selectorELNS0_4arch9wavefront6targetE0EEEvS11_, .Lfunc_end603-_ZN7rocprim17ROCPRIM_400000_NS6detail17trampoline_kernelINS0_14default_configENS1_21merge_config_selectorINS0_5tupleIJiiEEENS0_10empty_typeEEEZNS1_10merge_implIS3_NS0_12zip_iteratorINS5_IJN6thrust23THRUST_200600_302600_NS6detail15normal_iteratorINSC_10device_ptrIKiEEEESI_EEEEESK_NSA_INS5_IJNSC_16discard_iteratorINSC_11use_defaultEEESN_EEEEEPS7_SQ_SQ_NSC_11hip_rocprim7__merge17predicate_wrapperIiiNSC_4lessIiEEEEEE10hipError_tPvRmT0_T1_T2_T3_T4_T5_mmT6_P12ihipStream_tbEUlT_E0_NS1_11comp_targetILNS1_3genE9ELNS1_11target_archE1100ELNS1_3gpuE3ELNS1_3repE0EEENS1_30default_config_static_selectorELNS0_4arch9wavefront6targetE0EEEvS11_
                                        ; -- End function
	.set _ZN7rocprim17ROCPRIM_400000_NS6detail17trampoline_kernelINS0_14default_configENS1_21merge_config_selectorINS0_5tupleIJiiEEENS0_10empty_typeEEEZNS1_10merge_implIS3_NS0_12zip_iteratorINS5_IJN6thrust23THRUST_200600_302600_NS6detail15normal_iteratorINSC_10device_ptrIKiEEEESI_EEEEESK_NSA_INS5_IJNSC_16discard_iteratorINSC_11use_defaultEEESN_EEEEEPS7_SQ_SQ_NSC_11hip_rocprim7__merge17predicate_wrapperIiiNSC_4lessIiEEEEEE10hipError_tPvRmT0_T1_T2_T3_T4_T5_mmT6_P12ihipStream_tbEUlT_E0_NS1_11comp_targetILNS1_3genE9ELNS1_11target_archE1100ELNS1_3gpuE3ELNS1_3repE0EEENS1_30default_config_static_selectorELNS0_4arch9wavefront6targetE0EEEvS11_.num_vgpr, 0
	.set _ZN7rocprim17ROCPRIM_400000_NS6detail17trampoline_kernelINS0_14default_configENS1_21merge_config_selectorINS0_5tupleIJiiEEENS0_10empty_typeEEEZNS1_10merge_implIS3_NS0_12zip_iteratorINS5_IJN6thrust23THRUST_200600_302600_NS6detail15normal_iteratorINSC_10device_ptrIKiEEEESI_EEEEESK_NSA_INS5_IJNSC_16discard_iteratorINSC_11use_defaultEEESN_EEEEEPS7_SQ_SQ_NSC_11hip_rocprim7__merge17predicate_wrapperIiiNSC_4lessIiEEEEEE10hipError_tPvRmT0_T1_T2_T3_T4_T5_mmT6_P12ihipStream_tbEUlT_E0_NS1_11comp_targetILNS1_3genE9ELNS1_11target_archE1100ELNS1_3gpuE3ELNS1_3repE0EEENS1_30default_config_static_selectorELNS0_4arch9wavefront6targetE0EEEvS11_.num_agpr, 0
	.set _ZN7rocprim17ROCPRIM_400000_NS6detail17trampoline_kernelINS0_14default_configENS1_21merge_config_selectorINS0_5tupleIJiiEEENS0_10empty_typeEEEZNS1_10merge_implIS3_NS0_12zip_iteratorINS5_IJN6thrust23THRUST_200600_302600_NS6detail15normal_iteratorINSC_10device_ptrIKiEEEESI_EEEEESK_NSA_INS5_IJNSC_16discard_iteratorINSC_11use_defaultEEESN_EEEEEPS7_SQ_SQ_NSC_11hip_rocprim7__merge17predicate_wrapperIiiNSC_4lessIiEEEEEE10hipError_tPvRmT0_T1_T2_T3_T4_T5_mmT6_P12ihipStream_tbEUlT_E0_NS1_11comp_targetILNS1_3genE9ELNS1_11target_archE1100ELNS1_3gpuE3ELNS1_3repE0EEENS1_30default_config_static_selectorELNS0_4arch9wavefront6targetE0EEEvS11_.numbered_sgpr, 0
	.set _ZN7rocprim17ROCPRIM_400000_NS6detail17trampoline_kernelINS0_14default_configENS1_21merge_config_selectorINS0_5tupleIJiiEEENS0_10empty_typeEEEZNS1_10merge_implIS3_NS0_12zip_iteratorINS5_IJN6thrust23THRUST_200600_302600_NS6detail15normal_iteratorINSC_10device_ptrIKiEEEESI_EEEEESK_NSA_INS5_IJNSC_16discard_iteratorINSC_11use_defaultEEESN_EEEEEPS7_SQ_SQ_NSC_11hip_rocprim7__merge17predicate_wrapperIiiNSC_4lessIiEEEEEE10hipError_tPvRmT0_T1_T2_T3_T4_T5_mmT6_P12ihipStream_tbEUlT_E0_NS1_11comp_targetILNS1_3genE9ELNS1_11target_archE1100ELNS1_3gpuE3ELNS1_3repE0EEENS1_30default_config_static_selectorELNS0_4arch9wavefront6targetE0EEEvS11_.num_named_barrier, 0
	.set _ZN7rocprim17ROCPRIM_400000_NS6detail17trampoline_kernelINS0_14default_configENS1_21merge_config_selectorINS0_5tupleIJiiEEENS0_10empty_typeEEEZNS1_10merge_implIS3_NS0_12zip_iteratorINS5_IJN6thrust23THRUST_200600_302600_NS6detail15normal_iteratorINSC_10device_ptrIKiEEEESI_EEEEESK_NSA_INS5_IJNSC_16discard_iteratorINSC_11use_defaultEEESN_EEEEEPS7_SQ_SQ_NSC_11hip_rocprim7__merge17predicate_wrapperIiiNSC_4lessIiEEEEEE10hipError_tPvRmT0_T1_T2_T3_T4_T5_mmT6_P12ihipStream_tbEUlT_E0_NS1_11comp_targetILNS1_3genE9ELNS1_11target_archE1100ELNS1_3gpuE3ELNS1_3repE0EEENS1_30default_config_static_selectorELNS0_4arch9wavefront6targetE0EEEvS11_.private_seg_size, 0
	.set _ZN7rocprim17ROCPRIM_400000_NS6detail17trampoline_kernelINS0_14default_configENS1_21merge_config_selectorINS0_5tupleIJiiEEENS0_10empty_typeEEEZNS1_10merge_implIS3_NS0_12zip_iteratorINS5_IJN6thrust23THRUST_200600_302600_NS6detail15normal_iteratorINSC_10device_ptrIKiEEEESI_EEEEESK_NSA_INS5_IJNSC_16discard_iteratorINSC_11use_defaultEEESN_EEEEEPS7_SQ_SQ_NSC_11hip_rocprim7__merge17predicate_wrapperIiiNSC_4lessIiEEEEEE10hipError_tPvRmT0_T1_T2_T3_T4_T5_mmT6_P12ihipStream_tbEUlT_E0_NS1_11comp_targetILNS1_3genE9ELNS1_11target_archE1100ELNS1_3gpuE3ELNS1_3repE0EEENS1_30default_config_static_selectorELNS0_4arch9wavefront6targetE0EEEvS11_.uses_vcc, 0
	.set _ZN7rocprim17ROCPRIM_400000_NS6detail17trampoline_kernelINS0_14default_configENS1_21merge_config_selectorINS0_5tupleIJiiEEENS0_10empty_typeEEEZNS1_10merge_implIS3_NS0_12zip_iteratorINS5_IJN6thrust23THRUST_200600_302600_NS6detail15normal_iteratorINSC_10device_ptrIKiEEEESI_EEEEESK_NSA_INS5_IJNSC_16discard_iteratorINSC_11use_defaultEEESN_EEEEEPS7_SQ_SQ_NSC_11hip_rocprim7__merge17predicate_wrapperIiiNSC_4lessIiEEEEEE10hipError_tPvRmT0_T1_T2_T3_T4_T5_mmT6_P12ihipStream_tbEUlT_E0_NS1_11comp_targetILNS1_3genE9ELNS1_11target_archE1100ELNS1_3gpuE3ELNS1_3repE0EEENS1_30default_config_static_selectorELNS0_4arch9wavefront6targetE0EEEvS11_.uses_flat_scratch, 0
	.set _ZN7rocprim17ROCPRIM_400000_NS6detail17trampoline_kernelINS0_14default_configENS1_21merge_config_selectorINS0_5tupleIJiiEEENS0_10empty_typeEEEZNS1_10merge_implIS3_NS0_12zip_iteratorINS5_IJN6thrust23THRUST_200600_302600_NS6detail15normal_iteratorINSC_10device_ptrIKiEEEESI_EEEEESK_NSA_INS5_IJNSC_16discard_iteratorINSC_11use_defaultEEESN_EEEEEPS7_SQ_SQ_NSC_11hip_rocprim7__merge17predicate_wrapperIiiNSC_4lessIiEEEEEE10hipError_tPvRmT0_T1_T2_T3_T4_T5_mmT6_P12ihipStream_tbEUlT_E0_NS1_11comp_targetILNS1_3genE9ELNS1_11target_archE1100ELNS1_3gpuE3ELNS1_3repE0EEENS1_30default_config_static_selectorELNS0_4arch9wavefront6targetE0EEEvS11_.has_dyn_sized_stack, 0
	.set _ZN7rocprim17ROCPRIM_400000_NS6detail17trampoline_kernelINS0_14default_configENS1_21merge_config_selectorINS0_5tupleIJiiEEENS0_10empty_typeEEEZNS1_10merge_implIS3_NS0_12zip_iteratorINS5_IJN6thrust23THRUST_200600_302600_NS6detail15normal_iteratorINSC_10device_ptrIKiEEEESI_EEEEESK_NSA_INS5_IJNSC_16discard_iteratorINSC_11use_defaultEEESN_EEEEEPS7_SQ_SQ_NSC_11hip_rocprim7__merge17predicate_wrapperIiiNSC_4lessIiEEEEEE10hipError_tPvRmT0_T1_T2_T3_T4_T5_mmT6_P12ihipStream_tbEUlT_E0_NS1_11comp_targetILNS1_3genE9ELNS1_11target_archE1100ELNS1_3gpuE3ELNS1_3repE0EEENS1_30default_config_static_selectorELNS0_4arch9wavefront6targetE0EEEvS11_.has_recursion, 0
	.set _ZN7rocprim17ROCPRIM_400000_NS6detail17trampoline_kernelINS0_14default_configENS1_21merge_config_selectorINS0_5tupleIJiiEEENS0_10empty_typeEEEZNS1_10merge_implIS3_NS0_12zip_iteratorINS5_IJN6thrust23THRUST_200600_302600_NS6detail15normal_iteratorINSC_10device_ptrIKiEEEESI_EEEEESK_NSA_INS5_IJNSC_16discard_iteratorINSC_11use_defaultEEESN_EEEEEPS7_SQ_SQ_NSC_11hip_rocprim7__merge17predicate_wrapperIiiNSC_4lessIiEEEEEE10hipError_tPvRmT0_T1_T2_T3_T4_T5_mmT6_P12ihipStream_tbEUlT_E0_NS1_11comp_targetILNS1_3genE9ELNS1_11target_archE1100ELNS1_3gpuE3ELNS1_3repE0EEENS1_30default_config_static_selectorELNS0_4arch9wavefront6targetE0EEEvS11_.has_indirect_call, 0
	.section	.AMDGPU.csdata,"",@progbits
; Kernel info:
; codeLenInByte = 0
; TotalNumSgprs: 0
; NumVgprs: 0
; ScratchSize: 0
; MemoryBound: 0
; FloatMode: 240
; IeeeMode: 1
; LDSByteSize: 0 bytes/workgroup (compile time only)
; SGPRBlocks: 0
; VGPRBlocks: 0
; NumSGPRsForWavesPerEU: 1
; NumVGPRsForWavesPerEU: 1
; NamedBarCnt: 0
; Occupancy: 16
; WaveLimiterHint : 0
; COMPUTE_PGM_RSRC2:SCRATCH_EN: 0
; COMPUTE_PGM_RSRC2:USER_SGPR: 2
; COMPUTE_PGM_RSRC2:TRAP_HANDLER: 0
; COMPUTE_PGM_RSRC2:TGID_X_EN: 1
; COMPUTE_PGM_RSRC2:TGID_Y_EN: 0
; COMPUTE_PGM_RSRC2:TGID_Z_EN: 0
; COMPUTE_PGM_RSRC2:TIDIG_COMP_CNT: 0
	.section	.text._ZN7rocprim17ROCPRIM_400000_NS6detail17trampoline_kernelINS0_14default_configENS1_21merge_config_selectorINS0_5tupleIJiiEEENS0_10empty_typeEEEZNS1_10merge_implIS3_NS0_12zip_iteratorINS5_IJN6thrust23THRUST_200600_302600_NS6detail15normal_iteratorINSC_10device_ptrIKiEEEESI_EEEEESK_NSA_INS5_IJNSC_16discard_iteratorINSC_11use_defaultEEESN_EEEEEPS7_SQ_SQ_NSC_11hip_rocprim7__merge17predicate_wrapperIiiNSC_4lessIiEEEEEE10hipError_tPvRmT0_T1_T2_T3_T4_T5_mmT6_P12ihipStream_tbEUlT_E0_NS1_11comp_targetILNS1_3genE8ELNS1_11target_archE1030ELNS1_3gpuE2ELNS1_3repE0EEENS1_30default_config_static_selectorELNS0_4arch9wavefront6targetE0EEEvS11_,"axG",@progbits,_ZN7rocprim17ROCPRIM_400000_NS6detail17trampoline_kernelINS0_14default_configENS1_21merge_config_selectorINS0_5tupleIJiiEEENS0_10empty_typeEEEZNS1_10merge_implIS3_NS0_12zip_iteratorINS5_IJN6thrust23THRUST_200600_302600_NS6detail15normal_iteratorINSC_10device_ptrIKiEEEESI_EEEEESK_NSA_INS5_IJNSC_16discard_iteratorINSC_11use_defaultEEESN_EEEEEPS7_SQ_SQ_NSC_11hip_rocprim7__merge17predicate_wrapperIiiNSC_4lessIiEEEEEE10hipError_tPvRmT0_T1_T2_T3_T4_T5_mmT6_P12ihipStream_tbEUlT_E0_NS1_11comp_targetILNS1_3genE8ELNS1_11target_archE1030ELNS1_3gpuE2ELNS1_3repE0EEENS1_30default_config_static_selectorELNS0_4arch9wavefront6targetE0EEEvS11_,comdat
	.protected	_ZN7rocprim17ROCPRIM_400000_NS6detail17trampoline_kernelINS0_14default_configENS1_21merge_config_selectorINS0_5tupleIJiiEEENS0_10empty_typeEEEZNS1_10merge_implIS3_NS0_12zip_iteratorINS5_IJN6thrust23THRUST_200600_302600_NS6detail15normal_iteratorINSC_10device_ptrIKiEEEESI_EEEEESK_NSA_INS5_IJNSC_16discard_iteratorINSC_11use_defaultEEESN_EEEEEPS7_SQ_SQ_NSC_11hip_rocprim7__merge17predicate_wrapperIiiNSC_4lessIiEEEEEE10hipError_tPvRmT0_T1_T2_T3_T4_T5_mmT6_P12ihipStream_tbEUlT_E0_NS1_11comp_targetILNS1_3genE8ELNS1_11target_archE1030ELNS1_3gpuE2ELNS1_3repE0EEENS1_30default_config_static_selectorELNS0_4arch9wavefront6targetE0EEEvS11_ ; -- Begin function _ZN7rocprim17ROCPRIM_400000_NS6detail17trampoline_kernelINS0_14default_configENS1_21merge_config_selectorINS0_5tupleIJiiEEENS0_10empty_typeEEEZNS1_10merge_implIS3_NS0_12zip_iteratorINS5_IJN6thrust23THRUST_200600_302600_NS6detail15normal_iteratorINSC_10device_ptrIKiEEEESI_EEEEESK_NSA_INS5_IJNSC_16discard_iteratorINSC_11use_defaultEEESN_EEEEEPS7_SQ_SQ_NSC_11hip_rocprim7__merge17predicate_wrapperIiiNSC_4lessIiEEEEEE10hipError_tPvRmT0_T1_T2_T3_T4_T5_mmT6_P12ihipStream_tbEUlT_E0_NS1_11comp_targetILNS1_3genE8ELNS1_11target_archE1030ELNS1_3gpuE2ELNS1_3repE0EEENS1_30default_config_static_selectorELNS0_4arch9wavefront6targetE0EEEvS11_
	.globl	_ZN7rocprim17ROCPRIM_400000_NS6detail17trampoline_kernelINS0_14default_configENS1_21merge_config_selectorINS0_5tupleIJiiEEENS0_10empty_typeEEEZNS1_10merge_implIS3_NS0_12zip_iteratorINS5_IJN6thrust23THRUST_200600_302600_NS6detail15normal_iteratorINSC_10device_ptrIKiEEEESI_EEEEESK_NSA_INS5_IJNSC_16discard_iteratorINSC_11use_defaultEEESN_EEEEEPS7_SQ_SQ_NSC_11hip_rocprim7__merge17predicate_wrapperIiiNSC_4lessIiEEEEEE10hipError_tPvRmT0_T1_T2_T3_T4_T5_mmT6_P12ihipStream_tbEUlT_E0_NS1_11comp_targetILNS1_3genE8ELNS1_11target_archE1030ELNS1_3gpuE2ELNS1_3repE0EEENS1_30default_config_static_selectorELNS0_4arch9wavefront6targetE0EEEvS11_
	.p2align	8
	.type	_ZN7rocprim17ROCPRIM_400000_NS6detail17trampoline_kernelINS0_14default_configENS1_21merge_config_selectorINS0_5tupleIJiiEEENS0_10empty_typeEEEZNS1_10merge_implIS3_NS0_12zip_iteratorINS5_IJN6thrust23THRUST_200600_302600_NS6detail15normal_iteratorINSC_10device_ptrIKiEEEESI_EEEEESK_NSA_INS5_IJNSC_16discard_iteratorINSC_11use_defaultEEESN_EEEEEPS7_SQ_SQ_NSC_11hip_rocprim7__merge17predicate_wrapperIiiNSC_4lessIiEEEEEE10hipError_tPvRmT0_T1_T2_T3_T4_T5_mmT6_P12ihipStream_tbEUlT_E0_NS1_11comp_targetILNS1_3genE8ELNS1_11target_archE1030ELNS1_3gpuE2ELNS1_3repE0EEENS1_30default_config_static_selectorELNS0_4arch9wavefront6targetE0EEEvS11_,@function
_ZN7rocprim17ROCPRIM_400000_NS6detail17trampoline_kernelINS0_14default_configENS1_21merge_config_selectorINS0_5tupleIJiiEEENS0_10empty_typeEEEZNS1_10merge_implIS3_NS0_12zip_iteratorINS5_IJN6thrust23THRUST_200600_302600_NS6detail15normal_iteratorINSC_10device_ptrIKiEEEESI_EEEEESK_NSA_INS5_IJNSC_16discard_iteratorINSC_11use_defaultEEESN_EEEEEPS7_SQ_SQ_NSC_11hip_rocprim7__merge17predicate_wrapperIiiNSC_4lessIiEEEEEE10hipError_tPvRmT0_T1_T2_T3_T4_T5_mmT6_P12ihipStream_tbEUlT_E0_NS1_11comp_targetILNS1_3genE8ELNS1_11target_archE1030ELNS1_3gpuE2ELNS1_3repE0EEENS1_30default_config_static_selectorELNS0_4arch9wavefront6targetE0EEEvS11_: ; @_ZN7rocprim17ROCPRIM_400000_NS6detail17trampoline_kernelINS0_14default_configENS1_21merge_config_selectorINS0_5tupleIJiiEEENS0_10empty_typeEEEZNS1_10merge_implIS3_NS0_12zip_iteratorINS5_IJN6thrust23THRUST_200600_302600_NS6detail15normal_iteratorINSC_10device_ptrIKiEEEESI_EEEEESK_NSA_INS5_IJNSC_16discard_iteratorINSC_11use_defaultEEESN_EEEEEPS7_SQ_SQ_NSC_11hip_rocprim7__merge17predicate_wrapperIiiNSC_4lessIiEEEEEE10hipError_tPvRmT0_T1_T2_T3_T4_T5_mmT6_P12ihipStream_tbEUlT_E0_NS1_11comp_targetILNS1_3genE8ELNS1_11target_archE1030ELNS1_3gpuE2ELNS1_3repE0EEENS1_30default_config_static_selectorELNS0_4arch9wavefront6targetE0EEEvS11_
; %bb.0:
	.section	.rodata,"a",@progbits
	.p2align	6, 0x0
	.amdhsa_kernel _ZN7rocprim17ROCPRIM_400000_NS6detail17trampoline_kernelINS0_14default_configENS1_21merge_config_selectorINS0_5tupleIJiiEEENS0_10empty_typeEEEZNS1_10merge_implIS3_NS0_12zip_iteratorINS5_IJN6thrust23THRUST_200600_302600_NS6detail15normal_iteratorINSC_10device_ptrIKiEEEESI_EEEEESK_NSA_INS5_IJNSC_16discard_iteratorINSC_11use_defaultEEESN_EEEEEPS7_SQ_SQ_NSC_11hip_rocprim7__merge17predicate_wrapperIiiNSC_4lessIiEEEEEE10hipError_tPvRmT0_T1_T2_T3_T4_T5_mmT6_P12ihipStream_tbEUlT_E0_NS1_11comp_targetILNS1_3genE8ELNS1_11target_archE1030ELNS1_3gpuE2ELNS1_3repE0EEENS1_30default_config_static_selectorELNS0_4arch9wavefront6targetE0EEEvS11_
		.amdhsa_group_segment_fixed_size 0
		.amdhsa_private_segment_fixed_size 0
		.amdhsa_kernarg_size 128
		.amdhsa_user_sgpr_count 2
		.amdhsa_user_sgpr_dispatch_ptr 0
		.amdhsa_user_sgpr_queue_ptr 0
		.amdhsa_user_sgpr_kernarg_segment_ptr 1
		.amdhsa_user_sgpr_dispatch_id 0
		.amdhsa_user_sgpr_kernarg_preload_length 0
		.amdhsa_user_sgpr_kernarg_preload_offset 0
		.amdhsa_user_sgpr_private_segment_size 0
		.amdhsa_wavefront_size32 1
		.amdhsa_uses_dynamic_stack 0
		.amdhsa_enable_private_segment 0
		.amdhsa_system_sgpr_workgroup_id_x 1
		.amdhsa_system_sgpr_workgroup_id_y 0
		.amdhsa_system_sgpr_workgroup_id_z 0
		.amdhsa_system_sgpr_workgroup_info 0
		.amdhsa_system_vgpr_workitem_id 0
		.amdhsa_next_free_vgpr 1
		.amdhsa_next_free_sgpr 1
		.amdhsa_named_barrier_count 0
		.amdhsa_reserve_vcc 0
		.amdhsa_float_round_mode_32 0
		.amdhsa_float_round_mode_16_64 0
		.amdhsa_float_denorm_mode_32 3
		.amdhsa_float_denorm_mode_16_64 3
		.amdhsa_fp16_overflow 0
		.amdhsa_memory_ordered 1
		.amdhsa_forward_progress 1
		.amdhsa_inst_pref_size 0
		.amdhsa_round_robin_scheduling 0
		.amdhsa_exception_fp_ieee_invalid_op 0
		.amdhsa_exception_fp_denorm_src 0
		.amdhsa_exception_fp_ieee_div_zero 0
		.amdhsa_exception_fp_ieee_overflow 0
		.amdhsa_exception_fp_ieee_underflow 0
		.amdhsa_exception_fp_ieee_inexact 0
		.amdhsa_exception_int_div_zero 0
	.end_amdhsa_kernel
	.section	.text._ZN7rocprim17ROCPRIM_400000_NS6detail17trampoline_kernelINS0_14default_configENS1_21merge_config_selectorINS0_5tupleIJiiEEENS0_10empty_typeEEEZNS1_10merge_implIS3_NS0_12zip_iteratorINS5_IJN6thrust23THRUST_200600_302600_NS6detail15normal_iteratorINSC_10device_ptrIKiEEEESI_EEEEESK_NSA_INS5_IJNSC_16discard_iteratorINSC_11use_defaultEEESN_EEEEEPS7_SQ_SQ_NSC_11hip_rocprim7__merge17predicate_wrapperIiiNSC_4lessIiEEEEEE10hipError_tPvRmT0_T1_T2_T3_T4_T5_mmT6_P12ihipStream_tbEUlT_E0_NS1_11comp_targetILNS1_3genE8ELNS1_11target_archE1030ELNS1_3gpuE2ELNS1_3repE0EEENS1_30default_config_static_selectorELNS0_4arch9wavefront6targetE0EEEvS11_,"axG",@progbits,_ZN7rocprim17ROCPRIM_400000_NS6detail17trampoline_kernelINS0_14default_configENS1_21merge_config_selectorINS0_5tupleIJiiEEENS0_10empty_typeEEEZNS1_10merge_implIS3_NS0_12zip_iteratorINS5_IJN6thrust23THRUST_200600_302600_NS6detail15normal_iteratorINSC_10device_ptrIKiEEEESI_EEEEESK_NSA_INS5_IJNSC_16discard_iteratorINSC_11use_defaultEEESN_EEEEEPS7_SQ_SQ_NSC_11hip_rocprim7__merge17predicate_wrapperIiiNSC_4lessIiEEEEEE10hipError_tPvRmT0_T1_T2_T3_T4_T5_mmT6_P12ihipStream_tbEUlT_E0_NS1_11comp_targetILNS1_3genE8ELNS1_11target_archE1030ELNS1_3gpuE2ELNS1_3repE0EEENS1_30default_config_static_selectorELNS0_4arch9wavefront6targetE0EEEvS11_,comdat
.Lfunc_end604:
	.size	_ZN7rocprim17ROCPRIM_400000_NS6detail17trampoline_kernelINS0_14default_configENS1_21merge_config_selectorINS0_5tupleIJiiEEENS0_10empty_typeEEEZNS1_10merge_implIS3_NS0_12zip_iteratorINS5_IJN6thrust23THRUST_200600_302600_NS6detail15normal_iteratorINSC_10device_ptrIKiEEEESI_EEEEESK_NSA_INS5_IJNSC_16discard_iteratorINSC_11use_defaultEEESN_EEEEEPS7_SQ_SQ_NSC_11hip_rocprim7__merge17predicate_wrapperIiiNSC_4lessIiEEEEEE10hipError_tPvRmT0_T1_T2_T3_T4_T5_mmT6_P12ihipStream_tbEUlT_E0_NS1_11comp_targetILNS1_3genE8ELNS1_11target_archE1030ELNS1_3gpuE2ELNS1_3repE0EEENS1_30default_config_static_selectorELNS0_4arch9wavefront6targetE0EEEvS11_, .Lfunc_end604-_ZN7rocprim17ROCPRIM_400000_NS6detail17trampoline_kernelINS0_14default_configENS1_21merge_config_selectorINS0_5tupleIJiiEEENS0_10empty_typeEEEZNS1_10merge_implIS3_NS0_12zip_iteratorINS5_IJN6thrust23THRUST_200600_302600_NS6detail15normal_iteratorINSC_10device_ptrIKiEEEESI_EEEEESK_NSA_INS5_IJNSC_16discard_iteratorINSC_11use_defaultEEESN_EEEEEPS7_SQ_SQ_NSC_11hip_rocprim7__merge17predicate_wrapperIiiNSC_4lessIiEEEEEE10hipError_tPvRmT0_T1_T2_T3_T4_T5_mmT6_P12ihipStream_tbEUlT_E0_NS1_11comp_targetILNS1_3genE8ELNS1_11target_archE1030ELNS1_3gpuE2ELNS1_3repE0EEENS1_30default_config_static_selectorELNS0_4arch9wavefront6targetE0EEEvS11_
                                        ; -- End function
	.set _ZN7rocprim17ROCPRIM_400000_NS6detail17trampoline_kernelINS0_14default_configENS1_21merge_config_selectorINS0_5tupleIJiiEEENS0_10empty_typeEEEZNS1_10merge_implIS3_NS0_12zip_iteratorINS5_IJN6thrust23THRUST_200600_302600_NS6detail15normal_iteratorINSC_10device_ptrIKiEEEESI_EEEEESK_NSA_INS5_IJNSC_16discard_iteratorINSC_11use_defaultEEESN_EEEEEPS7_SQ_SQ_NSC_11hip_rocprim7__merge17predicate_wrapperIiiNSC_4lessIiEEEEEE10hipError_tPvRmT0_T1_T2_T3_T4_T5_mmT6_P12ihipStream_tbEUlT_E0_NS1_11comp_targetILNS1_3genE8ELNS1_11target_archE1030ELNS1_3gpuE2ELNS1_3repE0EEENS1_30default_config_static_selectorELNS0_4arch9wavefront6targetE0EEEvS11_.num_vgpr, 0
	.set _ZN7rocprim17ROCPRIM_400000_NS6detail17trampoline_kernelINS0_14default_configENS1_21merge_config_selectorINS0_5tupleIJiiEEENS0_10empty_typeEEEZNS1_10merge_implIS3_NS0_12zip_iteratorINS5_IJN6thrust23THRUST_200600_302600_NS6detail15normal_iteratorINSC_10device_ptrIKiEEEESI_EEEEESK_NSA_INS5_IJNSC_16discard_iteratorINSC_11use_defaultEEESN_EEEEEPS7_SQ_SQ_NSC_11hip_rocprim7__merge17predicate_wrapperIiiNSC_4lessIiEEEEEE10hipError_tPvRmT0_T1_T2_T3_T4_T5_mmT6_P12ihipStream_tbEUlT_E0_NS1_11comp_targetILNS1_3genE8ELNS1_11target_archE1030ELNS1_3gpuE2ELNS1_3repE0EEENS1_30default_config_static_selectorELNS0_4arch9wavefront6targetE0EEEvS11_.num_agpr, 0
	.set _ZN7rocprim17ROCPRIM_400000_NS6detail17trampoline_kernelINS0_14default_configENS1_21merge_config_selectorINS0_5tupleIJiiEEENS0_10empty_typeEEEZNS1_10merge_implIS3_NS0_12zip_iteratorINS5_IJN6thrust23THRUST_200600_302600_NS6detail15normal_iteratorINSC_10device_ptrIKiEEEESI_EEEEESK_NSA_INS5_IJNSC_16discard_iteratorINSC_11use_defaultEEESN_EEEEEPS7_SQ_SQ_NSC_11hip_rocprim7__merge17predicate_wrapperIiiNSC_4lessIiEEEEEE10hipError_tPvRmT0_T1_T2_T3_T4_T5_mmT6_P12ihipStream_tbEUlT_E0_NS1_11comp_targetILNS1_3genE8ELNS1_11target_archE1030ELNS1_3gpuE2ELNS1_3repE0EEENS1_30default_config_static_selectorELNS0_4arch9wavefront6targetE0EEEvS11_.numbered_sgpr, 0
	.set _ZN7rocprim17ROCPRIM_400000_NS6detail17trampoline_kernelINS0_14default_configENS1_21merge_config_selectorINS0_5tupleIJiiEEENS0_10empty_typeEEEZNS1_10merge_implIS3_NS0_12zip_iteratorINS5_IJN6thrust23THRUST_200600_302600_NS6detail15normal_iteratorINSC_10device_ptrIKiEEEESI_EEEEESK_NSA_INS5_IJNSC_16discard_iteratorINSC_11use_defaultEEESN_EEEEEPS7_SQ_SQ_NSC_11hip_rocprim7__merge17predicate_wrapperIiiNSC_4lessIiEEEEEE10hipError_tPvRmT0_T1_T2_T3_T4_T5_mmT6_P12ihipStream_tbEUlT_E0_NS1_11comp_targetILNS1_3genE8ELNS1_11target_archE1030ELNS1_3gpuE2ELNS1_3repE0EEENS1_30default_config_static_selectorELNS0_4arch9wavefront6targetE0EEEvS11_.num_named_barrier, 0
	.set _ZN7rocprim17ROCPRIM_400000_NS6detail17trampoline_kernelINS0_14default_configENS1_21merge_config_selectorINS0_5tupleIJiiEEENS0_10empty_typeEEEZNS1_10merge_implIS3_NS0_12zip_iteratorINS5_IJN6thrust23THRUST_200600_302600_NS6detail15normal_iteratorINSC_10device_ptrIKiEEEESI_EEEEESK_NSA_INS5_IJNSC_16discard_iteratorINSC_11use_defaultEEESN_EEEEEPS7_SQ_SQ_NSC_11hip_rocprim7__merge17predicate_wrapperIiiNSC_4lessIiEEEEEE10hipError_tPvRmT0_T1_T2_T3_T4_T5_mmT6_P12ihipStream_tbEUlT_E0_NS1_11comp_targetILNS1_3genE8ELNS1_11target_archE1030ELNS1_3gpuE2ELNS1_3repE0EEENS1_30default_config_static_selectorELNS0_4arch9wavefront6targetE0EEEvS11_.private_seg_size, 0
	.set _ZN7rocprim17ROCPRIM_400000_NS6detail17trampoline_kernelINS0_14default_configENS1_21merge_config_selectorINS0_5tupleIJiiEEENS0_10empty_typeEEEZNS1_10merge_implIS3_NS0_12zip_iteratorINS5_IJN6thrust23THRUST_200600_302600_NS6detail15normal_iteratorINSC_10device_ptrIKiEEEESI_EEEEESK_NSA_INS5_IJNSC_16discard_iteratorINSC_11use_defaultEEESN_EEEEEPS7_SQ_SQ_NSC_11hip_rocprim7__merge17predicate_wrapperIiiNSC_4lessIiEEEEEE10hipError_tPvRmT0_T1_T2_T3_T4_T5_mmT6_P12ihipStream_tbEUlT_E0_NS1_11comp_targetILNS1_3genE8ELNS1_11target_archE1030ELNS1_3gpuE2ELNS1_3repE0EEENS1_30default_config_static_selectorELNS0_4arch9wavefront6targetE0EEEvS11_.uses_vcc, 0
	.set _ZN7rocprim17ROCPRIM_400000_NS6detail17trampoline_kernelINS0_14default_configENS1_21merge_config_selectorINS0_5tupleIJiiEEENS0_10empty_typeEEEZNS1_10merge_implIS3_NS0_12zip_iteratorINS5_IJN6thrust23THRUST_200600_302600_NS6detail15normal_iteratorINSC_10device_ptrIKiEEEESI_EEEEESK_NSA_INS5_IJNSC_16discard_iteratorINSC_11use_defaultEEESN_EEEEEPS7_SQ_SQ_NSC_11hip_rocprim7__merge17predicate_wrapperIiiNSC_4lessIiEEEEEE10hipError_tPvRmT0_T1_T2_T3_T4_T5_mmT6_P12ihipStream_tbEUlT_E0_NS1_11comp_targetILNS1_3genE8ELNS1_11target_archE1030ELNS1_3gpuE2ELNS1_3repE0EEENS1_30default_config_static_selectorELNS0_4arch9wavefront6targetE0EEEvS11_.uses_flat_scratch, 0
	.set _ZN7rocprim17ROCPRIM_400000_NS6detail17trampoline_kernelINS0_14default_configENS1_21merge_config_selectorINS0_5tupleIJiiEEENS0_10empty_typeEEEZNS1_10merge_implIS3_NS0_12zip_iteratorINS5_IJN6thrust23THRUST_200600_302600_NS6detail15normal_iteratorINSC_10device_ptrIKiEEEESI_EEEEESK_NSA_INS5_IJNSC_16discard_iteratorINSC_11use_defaultEEESN_EEEEEPS7_SQ_SQ_NSC_11hip_rocprim7__merge17predicate_wrapperIiiNSC_4lessIiEEEEEE10hipError_tPvRmT0_T1_T2_T3_T4_T5_mmT6_P12ihipStream_tbEUlT_E0_NS1_11comp_targetILNS1_3genE8ELNS1_11target_archE1030ELNS1_3gpuE2ELNS1_3repE0EEENS1_30default_config_static_selectorELNS0_4arch9wavefront6targetE0EEEvS11_.has_dyn_sized_stack, 0
	.set _ZN7rocprim17ROCPRIM_400000_NS6detail17trampoline_kernelINS0_14default_configENS1_21merge_config_selectorINS0_5tupleIJiiEEENS0_10empty_typeEEEZNS1_10merge_implIS3_NS0_12zip_iteratorINS5_IJN6thrust23THRUST_200600_302600_NS6detail15normal_iteratorINSC_10device_ptrIKiEEEESI_EEEEESK_NSA_INS5_IJNSC_16discard_iteratorINSC_11use_defaultEEESN_EEEEEPS7_SQ_SQ_NSC_11hip_rocprim7__merge17predicate_wrapperIiiNSC_4lessIiEEEEEE10hipError_tPvRmT0_T1_T2_T3_T4_T5_mmT6_P12ihipStream_tbEUlT_E0_NS1_11comp_targetILNS1_3genE8ELNS1_11target_archE1030ELNS1_3gpuE2ELNS1_3repE0EEENS1_30default_config_static_selectorELNS0_4arch9wavefront6targetE0EEEvS11_.has_recursion, 0
	.set _ZN7rocprim17ROCPRIM_400000_NS6detail17trampoline_kernelINS0_14default_configENS1_21merge_config_selectorINS0_5tupleIJiiEEENS0_10empty_typeEEEZNS1_10merge_implIS3_NS0_12zip_iteratorINS5_IJN6thrust23THRUST_200600_302600_NS6detail15normal_iteratorINSC_10device_ptrIKiEEEESI_EEEEESK_NSA_INS5_IJNSC_16discard_iteratorINSC_11use_defaultEEESN_EEEEEPS7_SQ_SQ_NSC_11hip_rocprim7__merge17predicate_wrapperIiiNSC_4lessIiEEEEEE10hipError_tPvRmT0_T1_T2_T3_T4_T5_mmT6_P12ihipStream_tbEUlT_E0_NS1_11comp_targetILNS1_3genE8ELNS1_11target_archE1030ELNS1_3gpuE2ELNS1_3repE0EEENS1_30default_config_static_selectorELNS0_4arch9wavefront6targetE0EEEvS11_.has_indirect_call, 0
	.section	.AMDGPU.csdata,"",@progbits
; Kernel info:
; codeLenInByte = 0
; TotalNumSgprs: 0
; NumVgprs: 0
; ScratchSize: 0
; MemoryBound: 0
; FloatMode: 240
; IeeeMode: 1
; LDSByteSize: 0 bytes/workgroup (compile time only)
; SGPRBlocks: 0
; VGPRBlocks: 0
; NumSGPRsForWavesPerEU: 1
; NumVGPRsForWavesPerEU: 1
; NamedBarCnt: 0
; Occupancy: 16
; WaveLimiterHint : 0
; COMPUTE_PGM_RSRC2:SCRATCH_EN: 0
; COMPUTE_PGM_RSRC2:USER_SGPR: 2
; COMPUTE_PGM_RSRC2:TRAP_HANDLER: 0
; COMPUTE_PGM_RSRC2:TGID_X_EN: 1
; COMPUTE_PGM_RSRC2:TGID_Y_EN: 0
; COMPUTE_PGM_RSRC2:TGID_Z_EN: 0
; COMPUTE_PGM_RSRC2:TIDIG_COMP_CNT: 0
	.section	.text._ZN7rocprim17ROCPRIM_400000_NS6detail17trampoline_kernelINS0_14default_configENS1_21merge_config_selectorINS0_5tupleIJssEEENS0_10empty_typeEEEZNS1_10merge_implIS3_NS0_12zip_iteratorINS5_IJN6thrust23THRUST_200600_302600_NS6detail15normal_iteratorINSC_10device_ptrIKsEEEESI_EEEEESK_NSA_INS5_IJNSC_16discard_iteratorINSC_11use_defaultEEESN_EEEEEPS7_SQ_SQ_NSC_11hip_rocprim7__merge17predicate_wrapperIssNSC_4lessIsEEEEEE10hipError_tPvRmT0_T1_T2_T3_T4_T5_mmT6_P12ihipStream_tbEUlT_E_NS1_11comp_targetILNS1_3genE0ELNS1_11target_archE4294967295ELNS1_3gpuE0ELNS1_3repE0EEENS1_30default_config_static_selectorELNS0_4arch9wavefront6targetE0EEEvS11_,"axG",@progbits,_ZN7rocprim17ROCPRIM_400000_NS6detail17trampoline_kernelINS0_14default_configENS1_21merge_config_selectorINS0_5tupleIJssEEENS0_10empty_typeEEEZNS1_10merge_implIS3_NS0_12zip_iteratorINS5_IJN6thrust23THRUST_200600_302600_NS6detail15normal_iteratorINSC_10device_ptrIKsEEEESI_EEEEESK_NSA_INS5_IJNSC_16discard_iteratorINSC_11use_defaultEEESN_EEEEEPS7_SQ_SQ_NSC_11hip_rocprim7__merge17predicate_wrapperIssNSC_4lessIsEEEEEE10hipError_tPvRmT0_T1_T2_T3_T4_T5_mmT6_P12ihipStream_tbEUlT_E_NS1_11comp_targetILNS1_3genE0ELNS1_11target_archE4294967295ELNS1_3gpuE0ELNS1_3repE0EEENS1_30default_config_static_selectorELNS0_4arch9wavefront6targetE0EEEvS11_,comdat
	.protected	_ZN7rocprim17ROCPRIM_400000_NS6detail17trampoline_kernelINS0_14default_configENS1_21merge_config_selectorINS0_5tupleIJssEEENS0_10empty_typeEEEZNS1_10merge_implIS3_NS0_12zip_iteratorINS5_IJN6thrust23THRUST_200600_302600_NS6detail15normal_iteratorINSC_10device_ptrIKsEEEESI_EEEEESK_NSA_INS5_IJNSC_16discard_iteratorINSC_11use_defaultEEESN_EEEEEPS7_SQ_SQ_NSC_11hip_rocprim7__merge17predicate_wrapperIssNSC_4lessIsEEEEEE10hipError_tPvRmT0_T1_T2_T3_T4_T5_mmT6_P12ihipStream_tbEUlT_E_NS1_11comp_targetILNS1_3genE0ELNS1_11target_archE4294967295ELNS1_3gpuE0ELNS1_3repE0EEENS1_30default_config_static_selectorELNS0_4arch9wavefront6targetE0EEEvS11_ ; -- Begin function _ZN7rocprim17ROCPRIM_400000_NS6detail17trampoline_kernelINS0_14default_configENS1_21merge_config_selectorINS0_5tupleIJssEEENS0_10empty_typeEEEZNS1_10merge_implIS3_NS0_12zip_iteratorINS5_IJN6thrust23THRUST_200600_302600_NS6detail15normal_iteratorINSC_10device_ptrIKsEEEESI_EEEEESK_NSA_INS5_IJNSC_16discard_iteratorINSC_11use_defaultEEESN_EEEEEPS7_SQ_SQ_NSC_11hip_rocprim7__merge17predicate_wrapperIssNSC_4lessIsEEEEEE10hipError_tPvRmT0_T1_T2_T3_T4_T5_mmT6_P12ihipStream_tbEUlT_E_NS1_11comp_targetILNS1_3genE0ELNS1_11target_archE4294967295ELNS1_3gpuE0ELNS1_3repE0EEENS1_30default_config_static_selectorELNS0_4arch9wavefront6targetE0EEEvS11_
	.globl	_ZN7rocprim17ROCPRIM_400000_NS6detail17trampoline_kernelINS0_14default_configENS1_21merge_config_selectorINS0_5tupleIJssEEENS0_10empty_typeEEEZNS1_10merge_implIS3_NS0_12zip_iteratorINS5_IJN6thrust23THRUST_200600_302600_NS6detail15normal_iteratorINSC_10device_ptrIKsEEEESI_EEEEESK_NSA_INS5_IJNSC_16discard_iteratorINSC_11use_defaultEEESN_EEEEEPS7_SQ_SQ_NSC_11hip_rocprim7__merge17predicate_wrapperIssNSC_4lessIsEEEEEE10hipError_tPvRmT0_T1_T2_T3_T4_T5_mmT6_P12ihipStream_tbEUlT_E_NS1_11comp_targetILNS1_3genE0ELNS1_11target_archE4294967295ELNS1_3gpuE0ELNS1_3repE0EEENS1_30default_config_static_selectorELNS0_4arch9wavefront6targetE0EEEvS11_
	.p2align	8
	.type	_ZN7rocprim17ROCPRIM_400000_NS6detail17trampoline_kernelINS0_14default_configENS1_21merge_config_selectorINS0_5tupleIJssEEENS0_10empty_typeEEEZNS1_10merge_implIS3_NS0_12zip_iteratorINS5_IJN6thrust23THRUST_200600_302600_NS6detail15normal_iteratorINSC_10device_ptrIKsEEEESI_EEEEESK_NSA_INS5_IJNSC_16discard_iteratorINSC_11use_defaultEEESN_EEEEEPS7_SQ_SQ_NSC_11hip_rocprim7__merge17predicate_wrapperIssNSC_4lessIsEEEEEE10hipError_tPvRmT0_T1_T2_T3_T4_T5_mmT6_P12ihipStream_tbEUlT_E_NS1_11comp_targetILNS1_3genE0ELNS1_11target_archE4294967295ELNS1_3gpuE0ELNS1_3repE0EEENS1_30default_config_static_selectorELNS0_4arch9wavefront6targetE0EEEvS11_,@function
_ZN7rocprim17ROCPRIM_400000_NS6detail17trampoline_kernelINS0_14default_configENS1_21merge_config_selectorINS0_5tupleIJssEEENS0_10empty_typeEEEZNS1_10merge_implIS3_NS0_12zip_iteratorINS5_IJN6thrust23THRUST_200600_302600_NS6detail15normal_iteratorINSC_10device_ptrIKsEEEESI_EEEEESK_NSA_INS5_IJNSC_16discard_iteratorINSC_11use_defaultEEESN_EEEEEPS7_SQ_SQ_NSC_11hip_rocprim7__merge17predicate_wrapperIssNSC_4lessIsEEEEEE10hipError_tPvRmT0_T1_T2_T3_T4_T5_mmT6_P12ihipStream_tbEUlT_E_NS1_11comp_targetILNS1_3genE0ELNS1_11target_archE4294967295ELNS1_3gpuE0ELNS1_3repE0EEENS1_30default_config_static_selectorELNS0_4arch9wavefront6targetE0EEEvS11_: ; @_ZN7rocprim17ROCPRIM_400000_NS6detail17trampoline_kernelINS0_14default_configENS1_21merge_config_selectorINS0_5tupleIJssEEENS0_10empty_typeEEEZNS1_10merge_implIS3_NS0_12zip_iteratorINS5_IJN6thrust23THRUST_200600_302600_NS6detail15normal_iteratorINSC_10device_ptrIKsEEEESI_EEEEESK_NSA_INS5_IJNSC_16discard_iteratorINSC_11use_defaultEEESN_EEEEEPS7_SQ_SQ_NSC_11hip_rocprim7__merge17predicate_wrapperIssNSC_4lessIsEEEEEE10hipError_tPvRmT0_T1_T2_T3_T4_T5_mmT6_P12ihipStream_tbEUlT_E_NS1_11comp_targetILNS1_3genE0ELNS1_11target_archE4294967295ELNS1_3gpuE0ELNS1_3repE0EEENS1_30default_config_static_selectorELNS0_4arch9wavefront6targetE0EEEvS11_
; %bb.0:
	s_clause 0x2
	s_load_b32 s4, s[0:1], 0x38
	s_load_b32 s2, s[0:1], 0x4c
	s_load_b128 s[8:11], s[0:1], 0x28
	s_getreg_b32 s7, hwreg(HW_REG_IB_STS2, 6, 4)
	s_wait_kmcnt 0x0
	s_cvt_f32_u32 s3, s4
	s_and_b32 s6, s2, 0xffff
	s_and_b32 s2, ttmp6, 15
	s_delay_alu instid0(SALU_CYCLE_1) | instskip(SKIP_1) | instid1(SALU_CYCLE_1)
	v_rcp_iflag_f32_e32 v1, s3
	s_bfe_u32 s3, ttmp6, 0x4000c
	s_add_co_i32 s3, s3, 1
	s_delay_alu instid0(SALU_CYCLE_1) | instskip(NEXT) | instid1(SALU_CYCLE_1)
	s_mul_i32 s3, ttmp9, s3
	s_add_co_i32 s2, s2, s3
	v_nop
	s_delay_alu instid0(TRANS32_DEP_1)
	v_readfirstlane_b32 s5, v1
	s_cmp_eq_u32 s7, 0
	s_cselect_b32 s7, ttmp9, s2
	s_sub_co_i32 s12, 0, s4
	s_mul_f32 s5, s5, 0x4f7ffffe
	s_add_nc_u64 s[2:3], s[10:11], s[8:9]
	v_mad_u32 v6, s7, s6, v0
	s_add_co_i32 s13, s4, s2
	s_cvt_u32_f32 s5, s5
	s_add_co_i32 s13, s13, -1
	s_delay_alu instid0(SALU_CYCLE_2) | instskip(NEXT) | instid1(SALU_CYCLE_1)
	s_mul_i32 s12, s12, s5
	s_mul_hi_u32 s12, s5, s12
	s_delay_alu instid0(SALU_CYCLE_1) | instskip(NEXT) | instid1(SALU_CYCLE_1)
	s_add_co_i32 s5, s5, s12
	s_mul_hi_u32 s5, s13, s5
	s_delay_alu instid0(SALU_CYCLE_1) | instskip(SKIP_2) | instid1(SALU_CYCLE_1)
	s_mul_i32 s12, s5, s4
	s_add_co_i32 s7, s5, 1
	s_sub_co_i32 s6, s13, s12
	s_sub_co_i32 s12, s6, s4
	s_cmp_ge_u32 s6, s4
	s_cselect_b32 s5, s7, s5
	s_cselect_b32 s6, s12, s6
	s_add_co_i32 s7, s5, 1
	s_cmp_ge_u32 s6, s4
	s_cselect_b32 s5, s7, s5
	s_delay_alu instid0(SALU_CYCLE_1)
	v_cmp_ge_u32_e32 vcc_lo, s5, v6
	s_and_saveexec_b32 s5, vcc_lo
	s_cbranch_execz .LBB605_6
; %bb.1:
	v_mul_lo_u32 v0, v6, s4
	v_mov_b32_e32 v1, 0
	s_load_b128 s[4:7], s[0:1], 0x0
	s_delay_alu instid0(VALU_DEP_1) | instskip(SKIP_1) | instid1(VALU_DEP_1)
	v_min_u64 v[4:5], v[0:1], s[2:3]
	s_mov_b32 s2, exec_lo
	v_max_u64 v[0:1], v[4:5], s[10:11]
	v_min_u64 v[2:3], v[4:5], s[8:9]
	s_delay_alu instid0(VALU_DEP_2) | instskip(NEXT) | instid1(VALU_DEP_1)
	v_sub_nc_u64_e64 v[0:1], v[0:1], s[10:11]
	v_cmpx_lt_u64_e64 v[0:1], v[2:3]
	s_cbranch_execz .LBB605_5
; %bb.2:
	s_wait_xcnt 0x0
	s_load_b64 s[0:1], s[0:1], 0x18
	s_wait_kmcnt 0x0
	v_lshl_add_u64 v[4:5], v[4:5], 1, s[0:1]
	s_mov_b32 s0, 0
.LBB605_3:                              ; =>This Inner Loop Header: Depth=1
	v_add_nc_u64_e32 v[8:9], v[2:3], v[0:1]
	s_delay_alu instid0(VALU_DEP_1) | instskip(SKIP_2) | instid1(VALU_DEP_2)
	v_lshrrev_b64 v[10:11], 1, v[8:9]
	v_and_b32_e32 v8, -2, v8
	v_xor_b32_e32 v13, -1, v9
	v_xor_b32_e32 v12, -2, v8
	v_add_nc_u64_e32 v[8:9], s[6:7], v[8:9]
	s_delay_alu instid0(VALU_DEP_2)
	v_add_nc_u64_e32 v[12:13], v[4:5], v[12:13]
	global_load_u16 v7, v[8:9], off
	global_load_u16 v14, v[12:13], off
	s_wait_xcnt 0x1
	v_add_nc_u64_e32 v[8:9], 1, v[10:11]
	s_wait_loadcnt 0x0
	v_cmp_lt_i16_e32 vcc_lo, v14, v7
	v_dual_cndmask_b32 v3, v3, v11 :: v_dual_cndmask_b32 v2, v2, v10
	s_delay_alu instid0(VALU_DEP_3) | instskip(NEXT) | instid1(VALU_DEP_1)
	v_dual_cndmask_b32 v1, v9, v1 :: v_dual_cndmask_b32 v0, v8, v0
	v_cmp_ge_u64_e32 vcc_lo, v[0:1], v[2:3]
	s_or_b32 s0, vcc_lo, s0
	s_delay_alu instid0(SALU_CYCLE_1)
	s_and_not1_b32 exec_lo, exec_lo, s0
	s_cbranch_execnz .LBB605_3
; %bb.4:
	s_or_b32 exec_lo, exec_lo, s0
.LBB605_5:
	s_delay_alu instid0(SALU_CYCLE_1)
	s_or_b32 exec_lo, exec_lo, s2
	s_wait_kmcnt 0x0
	global_store_b32 v6, v0, s[4:5] scale_offset
.LBB605_6:
	s_endpgm
	.section	.rodata,"a",@progbits
	.p2align	6, 0x0
	.amdhsa_kernel _ZN7rocprim17ROCPRIM_400000_NS6detail17trampoline_kernelINS0_14default_configENS1_21merge_config_selectorINS0_5tupleIJssEEENS0_10empty_typeEEEZNS1_10merge_implIS3_NS0_12zip_iteratorINS5_IJN6thrust23THRUST_200600_302600_NS6detail15normal_iteratorINSC_10device_ptrIKsEEEESI_EEEEESK_NSA_INS5_IJNSC_16discard_iteratorINSC_11use_defaultEEESN_EEEEEPS7_SQ_SQ_NSC_11hip_rocprim7__merge17predicate_wrapperIssNSC_4lessIsEEEEEE10hipError_tPvRmT0_T1_T2_T3_T4_T5_mmT6_P12ihipStream_tbEUlT_E_NS1_11comp_targetILNS1_3genE0ELNS1_11target_archE4294967295ELNS1_3gpuE0ELNS1_3repE0EEENS1_30default_config_static_selectorELNS0_4arch9wavefront6targetE0EEEvS11_
		.amdhsa_group_segment_fixed_size 0
		.amdhsa_private_segment_fixed_size 0
		.amdhsa_kernarg_size 320
		.amdhsa_user_sgpr_count 2
		.amdhsa_user_sgpr_dispatch_ptr 0
		.amdhsa_user_sgpr_queue_ptr 0
		.amdhsa_user_sgpr_kernarg_segment_ptr 1
		.amdhsa_user_sgpr_dispatch_id 0
		.amdhsa_user_sgpr_kernarg_preload_length 0
		.amdhsa_user_sgpr_kernarg_preload_offset 0
		.amdhsa_user_sgpr_private_segment_size 0
		.amdhsa_wavefront_size32 1
		.amdhsa_uses_dynamic_stack 0
		.amdhsa_enable_private_segment 0
		.amdhsa_system_sgpr_workgroup_id_x 1
		.amdhsa_system_sgpr_workgroup_id_y 0
		.amdhsa_system_sgpr_workgroup_id_z 0
		.amdhsa_system_sgpr_workgroup_info 0
		.amdhsa_system_vgpr_workitem_id 0
		.amdhsa_next_free_vgpr 15
		.amdhsa_next_free_sgpr 14
		.amdhsa_named_barrier_count 0
		.amdhsa_reserve_vcc 1
		.amdhsa_float_round_mode_32 0
		.amdhsa_float_round_mode_16_64 0
		.amdhsa_float_denorm_mode_32 3
		.amdhsa_float_denorm_mode_16_64 3
		.amdhsa_fp16_overflow 0
		.amdhsa_memory_ordered 1
		.amdhsa_forward_progress 1
		.amdhsa_inst_pref_size 4
		.amdhsa_round_robin_scheduling 0
		.amdhsa_exception_fp_ieee_invalid_op 0
		.amdhsa_exception_fp_denorm_src 0
		.amdhsa_exception_fp_ieee_div_zero 0
		.amdhsa_exception_fp_ieee_overflow 0
		.amdhsa_exception_fp_ieee_underflow 0
		.amdhsa_exception_fp_ieee_inexact 0
		.amdhsa_exception_int_div_zero 0
	.end_amdhsa_kernel
	.section	.text._ZN7rocprim17ROCPRIM_400000_NS6detail17trampoline_kernelINS0_14default_configENS1_21merge_config_selectorINS0_5tupleIJssEEENS0_10empty_typeEEEZNS1_10merge_implIS3_NS0_12zip_iteratorINS5_IJN6thrust23THRUST_200600_302600_NS6detail15normal_iteratorINSC_10device_ptrIKsEEEESI_EEEEESK_NSA_INS5_IJNSC_16discard_iteratorINSC_11use_defaultEEESN_EEEEEPS7_SQ_SQ_NSC_11hip_rocprim7__merge17predicate_wrapperIssNSC_4lessIsEEEEEE10hipError_tPvRmT0_T1_T2_T3_T4_T5_mmT6_P12ihipStream_tbEUlT_E_NS1_11comp_targetILNS1_3genE0ELNS1_11target_archE4294967295ELNS1_3gpuE0ELNS1_3repE0EEENS1_30default_config_static_selectorELNS0_4arch9wavefront6targetE0EEEvS11_,"axG",@progbits,_ZN7rocprim17ROCPRIM_400000_NS6detail17trampoline_kernelINS0_14default_configENS1_21merge_config_selectorINS0_5tupleIJssEEENS0_10empty_typeEEEZNS1_10merge_implIS3_NS0_12zip_iteratorINS5_IJN6thrust23THRUST_200600_302600_NS6detail15normal_iteratorINSC_10device_ptrIKsEEEESI_EEEEESK_NSA_INS5_IJNSC_16discard_iteratorINSC_11use_defaultEEESN_EEEEEPS7_SQ_SQ_NSC_11hip_rocprim7__merge17predicate_wrapperIssNSC_4lessIsEEEEEE10hipError_tPvRmT0_T1_T2_T3_T4_T5_mmT6_P12ihipStream_tbEUlT_E_NS1_11comp_targetILNS1_3genE0ELNS1_11target_archE4294967295ELNS1_3gpuE0ELNS1_3repE0EEENS1_30default_config_static_selectorELNS0_4arch9wavefront6targetE0EEEvS11_,comdat
.Lfunc_end605:
	.size	_ZN7rocprim17ROCPRIM_400000_NS6detail17trampoline_kernelINS0_14default_configENS1_21merge_config_selectorINS0_5tupleIJssEEENS0_10empty_typeEEEZNS1_10merge_implIS3_NS0_12zip_iteratorINS5_IJN6thrust23THRUST_200600_302600_NS6detail15normal_iteratorINSC_10device_ptrIKsEEEESI_EEEEESK_NSA_INS5_IJNSC_16discard_iteratorINSC_11use_defaultEEESN_EEEEEPS7_SQ_SQ_NSC_11hip_rocprim7__merge17predicate_wrapperIssNSC_4lessIsEEEEEE10hipError_tPvRmT0_T1_T2_T3_T4_T5_mmT6_P12ihipStream_tbEUlT_E_NS1_11comp_targetILNS1_3genE0ELNS1_11target_archE4294967295ELNS1_3gpuE0ELNS1_3repE0EEENS1_30default_config_static_selectorELNS0_4arch9wavefront6targetE0EEEvS11_, .Lfunc_end605-_ZN7rocprim17ROCPRIM_400000_NS6detail17trampoline_kernelINS0_14default_configENS1_21merge_config_selectorINS0_5tupleIJssEEENS0_10empty_typeEEEZNS1_10merge_implIS3_NS0_12zip_iteratorINS5_IJN6thrust23THRUST_200600_302600_NS6detail15normal_iteratorINSC_10device_ptrIKsEEEESI_EEEEESK_NSA_INS5_IJNSC_16discard_iteratorINSC_11use_defaultEEESN_EEEEEPS7_SQ_SQ_NSC_11hip_rocprim7__merge17predicate_wrapperIssNSC_4lessIsEEEEEE10hipError_tPvRmT0_T1_T2_T3_T4_T5_mmT6_P12ihipStream_tbEUlT_E_NS1_11comp_targetILNS1_3genE0ELNS1_11target_archE4294967295ELNS1_3gpuE0ELNS1_3repE0EEENS1_30default_config_static_selectorELNS0_4arch9wavefront6targetE0EEEvS11_
                                        ; -- End function
	.set _ZN7rocprim17ROCPRIM_400000_NS6detail17trampoline_kernelINS0_14default_configENS1_21merge_config_selectorINS0_5tupleIJssEEENS0_10empty_typeEEEZNS1_10merge_implIS3_NS0_12zip_iteratorINS5_IJN6thrust23THRUST_200600_302600_NS6detail15normal_iteratorINSC_10device_ptrIKsEEEESI_EEEEESK_NSA_INS5_IJNSC_16discard_iteratorINSC_11use_defaultEEESN_EEEEEPS7_SQ_SQ_NSC_11hip_rocprim7__merge17predicate_wrapperIssNSC_4lessIsEEEEEE10hipError_tPvRmT0_T1_T2_T3_T4_T5_mmT6_P12ihipStream_tbEUlT_E_NS1_11comp_targetILNS1_3genE0ELNS1_11target_archE4294967295ELNS1_3gpuE0ELNS1_3repE0EEENS1_30default_config_static_selectorELNS0_4arch9wavefront6targetE0EEEvS11_.num_vgpr, 15
	.set _ZN7rocprim17ROCPRIM_400000_NS6detail17trampoline_kernelINS0_14default_configENS1_21merge_config_selectorINS0_5tupleIJssEEENS0_10empty_typeEEEZNS1_10merge_implIS3_NS0_12zip_iteratorINS5_IJN6thrust23THRUST_200600_302600_NS6detail15normal_iteratorINSC_10device_ptrIKsEEEESI_EEEEESK_NSA_INS5_IJNSC_16discard_iteratorINSC_11use_defaultEEESN_EEEEEPS7_SQ_SQ_NSC_11hip_rocprim7__merge17predicate_wrapperIssNSC_4lessIsEEEEEE10hipError_tPvRmT0_T1_T2_T3_T4_T5_mmT6_P12ihipStream_tbEUlT_E_NS1_11comp_targetILNS1_3genE0ELNS1_11target_archE4294967295ELNS1_3gpuE0ELNS1_3repE0EEENS1_30default_config_static_selectorELNS0_4arch9wavefront6targetE0EEEvS11_.num_agpr, 0
	.set _ZN7rocprim17ROCPRIM_400000_NS6detail17trampoline_kernelINS0_14default_configENS1_21merge_config_selectorINS0_5tupleIJssEEENS0_10empty_typeEEEZNS1_10merge_implIS3_NS0_12zip_iteratorINS5_IJN6thrust23THRUST_200600_302600_NS6detail15normal_iteratorINSC_10device_ptrIKsEEEESI_EEEEESK_NSA_INS5_IJNSC_16discard_iteratorINSC_11use_defaultEEESN_EEEEEPS7_SQ_SQ_NSC_11hip_rocprim7__merge17predicate_wrapperIssNSC_4lessIsEEEEEE10hipError_tPvRmT0_T1_T2_T3_T4_T5_mmT6_P12ihipStream_tbEUlT_E_NS1_11comp_targetILNS1_3genE0ELNS1_11target_archE4294967295ELNS1_3gpuE0ELNS1_3repE0EEENS1_30default_config_static_selectorELNS0_4arch9wavefront6targetE0EEEvS11_.numbered_sgpr, 14
	.set _ZN7rocprim17ROCPRIM_400000_NS6detail17trampoline_kernelINS0_14default_configENS1_21merge_config_selectorINS0_5tupleIJssEEENS0_10empty_typeEEEZNS1_10merge_implIS3_NS0_12zip_iteratorINS5_IJN6thrust23THRUST_200600_302600_NS6detail15normal_iteratorINSC_10device_ptrIKsEEEESI_EEEEESK_NSA_INS5_IJNSC_16discard_iteratorINSC_11use_defaultEEESN_EEEEEPS7_SQ_SQ_NSC_11hip_rocprim7__merge17predicate_wrapperIssNSC_4lessIsEEEEEE10hipError_tPvRmT0_T1_T2_T3_T4_T5_mmT6_P12ihipStream_tbEUlT_E_NS1_11comp_targetILNS1_3genE0ELNS1_11target_archE4294967295ELNS1_3gpuE0ELNS1_3repE0EEENS1_30default_config_static_selectorELNS0_4arch9wavefront6targetE0EEEvS11_.num_named_barrier, 0
	.set _ZN7rocprim17ROCPRIM_400000_NS6detail17trampoline_kernelINS0_14default_configENS1_21merge_config_selectorINS0_5tupleIJssEEENS0_10empty_typeEEEZNS1_10merge_implIS3_NS0_12zip_iteratorINS5_IJN6thrust23THRUST_200600_302600_NS6detail15normal_iteratorINSC_10device_ptrIKsEEEESI_EEEEESK_NSA_INS5_IJNSC_16discard_iteratorINSC_11use_defaultEEESN_EEEEEPS7_SQ_SQ_NSC_11hip_rocprim7__merge17predicate_wrapperIssNSC_4lessIsEEEEEE10hipError_tPvRmT0_T1_T2_T3_T4_T5_mmT6_P12ihipStream_tbEUlT_E_NS1_11comp_targetILNS1_3genE0ELNS1_11target_archE4294967295ELNS1_3gpuE0ELNS1_3repE0EEENS1_30default_config_static_selectorELNS0_4arch9wavefront6targetE0EEEvS11_.private_seg_size, 0
	.set _ZN7rocprim17ROCPRIM_400000_NS6detail17trampoline_kernelINS0_14default_configENS1_21merge_config_selectorINS0_5tupleIJssEEENS0_10empty_typeEEEZNS1_10merge_implIS3_NS0_12zip_iteratorINS5_IJN6thrust23THRUST_200600_302600_NS6detail15normal_iteratorINSC_10device_ptrIKsEEEESI_EEEEESK_NSA_INS5_IJNSC_16discard_iteratorINSC_11use_defaultEEESN_EEEEEPS7_SQ_SQ_NSC_11hip_rocprim7__merge17predicate_wrapperIssNSC_4lessIsEEEEEE10hipError_tPvRmT0_T1_T2_T3_T4_T5_mmT6_P12ihipStream_tbEUlT_E_NS1_11comp_targetILNS1_3genE0ELNS1_11target_archE4294967295ELNS1_3gpuE0ELNS1_3repE0EEENS1_30default_config_static_selectorELNS0_4arch9wavefront6targetE0EEEvS11_.uses_vcc, 1
	.set _ZN7rocprim17ROCPRIM_400000_NS6detail17trampoline_kernelINS0_14default_configENS1_21merge_config_selectorINS0_5tupleIJssEEENS0_10empty_typeEEEZNS1_10merge_implIS3_NS0_12zip_iteratorINS5_IJN6thrust23THRUST_200600_302600_NS6detail15normal_iteratorINSC_10device_ptrIKsEEEESI_EEEEESK_NSA_INS5_IJNSC_16discard_iteratorINSC_11use_defaultEEESN_EEEEEPS7_SQ_SQ_NSC_11hip_rocprim7__merge17predicate_wrapperIssNSC_4lessIsEEEEEE10hipError_tPvRmT0_T1_T2_T3_T4_T5_mmT6_P12ihipStream_tbEUlT_E_NS1_11comp_targetILNS1_3genE0ELNS1_11target_archE4294967295ELNS1_3gpuE0ELNS1_3repE0EEENS1_30default_config_static_selectorELNS0_4arch9wavefront6targetE0EEEvS11_.uses_flat_scratch, 0
	.set _ZN7rocprim17ROCPRIM_400000_NS6detail17trampoline_kernelINS0_14default_configENS1_21merge_config_selectorINS0_5tupleIJssEEENS0_10empty_typeEEEZNS1_10merge_implIS3_NS0_12zip_iteratorINS5_IJN6thrust23THRUST_200600_302600_NS6detail15normal_iteratorINSC_10device_ptrIKsEEEESI_EEEEESK_NSA_INS5_IJNSC_16discard_iteratorINSC_11use_defaultEEESN_EEEEEPS7_SQ_SQ_NSC_11hip_rocprim7__merge17predicate_wrapperIssNSC_4lessIsEEEEEE10hipError_tPvRmT0_T1_T2_T3_T4_T5_mmT6_P12ihipStream_tbEUlT_E_NS1_11comp_targetILNS1_3genE0ELNS1_11target_archE4294967295ELNS1_3gpuE0ELNS1_3repE0EEENS1_30default_config_static_selectorELNS0_4arch9wavefront6targetE0EEEvS11_.has_dyn_sized_stack, 0
	.set _ZN7rocprim17ROCPRIM_400000_NS6detail17trampoline_kernelINS0_14default_configENS1_21merge_config_selectorINS0_5tupleIJssEEENS0_10empty_typeEEEZNS1_10merge_implIS3_NS0_12zip_iteratorINS5_IJN6thrust23THRUST_200600_302600_NS6detail15normal_iteratorINSC_10device_ptrIKsEEEESI_EEEEESK_NSA_INS5_IJNSC_16discard_iteratorINSC_11use_defaultEEESN_EEEEEPS7_SQ_SQ_NSC_11hip_rocprim7__merge17predicate_wrapperIssNSC_4lessIsEEEEEE10hipError_tPvRmT0_T1_T2_T3_T4_T5_mmT6_P12ihipStream_tbEUlT_E_NS1_11comp_targetILNS1_3genE0ELNS1_11target_archE4294967295ELNS1_3gpuE0ELNS1_3repE0EEENS1_30default_config_static_selectorELNS0_4arch9wavefront6targetE0EEEvS11_.has_recursion, 0
	.set _ZN7rocprim17ROCPRIM_400000_NS6detail17trampoline_kernelINS0_14default_configENS1_21merge_config_selectorINS0_5tupleIJssEEENS0_10empty_typeEEEZNS1_10merge_implIS3_NS0_12zip_iteratorINS5_IJN6thrust23THRUST_200600_302600_NS6detail15normal_iteratorINSC_10device_ptrIKsEEEESI_EEEEESK_NSA_INS5_IJNSC_16discard_iteratorINSC_11use_defaultEEESN_EEEEEPS7_SQ_SQ_NSC_11hip_rocprim7__merge17predicate_wrapperIssNSC_4lessIsEEEEEE10hipError_tPvRmT0_T1_T2_T3_T4_T5_mmT6_P12ihipStream_tbEUlT_E_NS1_11comp_targetILNS1_3genE0ELNS1_11target_archE4294967295ELNS1_3gpuE0ELNS1_3repE0EEENS1_30default_config_static_selectorELNS0_4arch9wavefront6targetE0EEEvS11_.has_indirect_call, 0
	.section	.AMDGPU.csdata,"",@progbits
; Kernel info:
; codeLenInByte = 480
; TotalNumSgprs: 16
; NumVgprs: 15
; ScratchSize: 0
; MemoryBound: 0
; FloatMode: 240
; IeeeMode: 1
; LDSByteSize: 0 bytes/workgroup (compile time only)
; SGPRBlocks: 0
; VGPRBlocks: 0
; NumSGPRsForWavesPerEU: 16
; NumVGPRsForWavesPerEU: 15
; NamedBarCnt: 0
; Occupancy: 16
; WaveLimiterHint : 0
; COMPUTE_PGM_RSRC2:SCRATCH_EN: 0
; COMPUTE_PGM_RSRC2:USER_SGPR: 2
; COMPUTE_PGM_RSRC2:TRAP_HANDLER: 0
; COMPUTE_PGM_RSRC2:TGID_X_EN: 1
; COMPUTE_PGM_RSRC2:TGID_Y_EN: 0
; COMPUTE_PGM_RSRC2:TGID_Z_EN: 0
; COMPUTE_PGM_RSRC2:TIDIG_COMP_CNT: 0
	.section	.text._ZN7rocprim17ROCPRIM_400000_NS6detail17trampoline_kernelINS0_14default_configENS1_21merge_config_selectorINS0_5tupleIJssEEENS0_10empty_typeEEEZNS1_10merge_implIS3_NS0_12zip_iteratorINS5_IJN6thrust23THRUST_200600_302600_NS6detail15normal_iteratorINSC_10device_ptrIKsEEEESI_EEEEESK_NSA_INS5_IJNSC_16discard_iteratorINSC_11use_defaultEEESN_EEEEEPS7_SQ_SQ_NSC_11hip_rocprim7__merge17predicate_wrapperIssNSC_4lessIsEEEEEE10hipError_tPvRmT0_T1_T2_T3_T4_T5_mmT6_P12ihipStream_tbEUlT_E_NS1_11comp_targetILNS1_3genE5ELNS1_11target_archE942ELNS1_3gpuE9ELNS1_3repE0EEENS1_30default_config_static_selectorELNS0_4arch9wavefront6targetE0EEEvS11_,"axG",@progbits,_ZN7rocprim17ROCPRIM_400000_NS6detail17trampoline_kernelINS0_14default_configENS1_21merge_config_selectorINS0_5tupleIJssEEENS0_10empty_typeEEEZNS1_10merge_implIS3_NS0_12zip_iteratorINS5_IJN6thrust23THRUST_200600_302600_NS6detail15normal_iteratorINSC_10device_ptrIKsEEEESI_EEEEESK_NSA_INS5_IJNSC_16discard_iteratorINSC_11use_defaultEEESN_EEEEEPS7_SQ_SQ_NSC_11hip_rocprim7__merge17predicate_wrapperIssNSC_4lessIsEEEEEE10hipError_tPvRmT0_T1_T2_T3_T4_T5_mmT6_P12ihipStream_tbEUlT_E_NS1_11comp_targetILNS1_3genE5ELNS1_11target_archE942ELNS1_3gpuE9ELNS1_3repE0EEENS1_30default_config_static_selectorELNS0_4arch9wavefront6targetE0EEEvS11_,comdat
	.protected	_ZN7rocprim17ROCPRIM_400000_NS6detail17trampoline_kernelINS0_14default_configENS1_21merge_config_selectorINS0_5tupleIJssEEENS0_10empty_typeEEEZNS1_10merge_implIS3_NS0_12zip_iteratorINS5_IJN6thrust23THRUST_200600_302600_NS6detail15normal_iteratorINSC_10device_ptrIKsEEEESI_EEEEESK_NSA_INS5_IJNSC_16discard_iteratorINSC_11use_defaultEEESN_EEEEEPS7_SQ_SQ_NSC_11hip_rocprim7__merge17predicate_wrapperIssNSC_4lessIsEEEEEE10hipError_tPvRmT0_T1_T2_T3_T4_T5_mmT6_P12ihipStream_tbEUlT_E_NS1_11comp_targetILNS1_3genE5ELNS1_11target_archE942ELNS1_3gpuE9ELNS1_3repE0EEENS1_30default_config_static_selectorELNS0_4arch9wavefront6targetE0EEEvS11_ ; -- Begin function _ZN7rocprim17ROCPRIM_400000_NS6detail17trampoline_kernelINS0_14default_configENS1_21merge_config_selectorINS0_5tupleIJssEEENS0_10empty_typeEEEZNS1_10merge_implIS3_NS0_12zip_iteratorINS5_IJN6thrust23THRUST_200600_302600_NS6detail15normal_iteratorINSC_10device_ptrIKsEEEESI_EEEEESK_NSA_INS5_IJNSC_16discard_iteratorINSC_11use_defaultEEESN_EEEEEPS7_SQ_SQ_NSC_11hip_rocprim7__merge17predicate_wrapperIssNSC_4lessIsEEEEEE10hipError_tPvRmT0_T1_T2_T3_T4_T5_mmT6_P12ihipStream_tbEUlT_E_NS1_11comp_targetILNS1_3genE5ELNS1_11target_archE942ELNS1_3gpuE9ELNS1_3repE0EEENS1_30default_config_static_selectorELNS0_4arch9wavefront6targetE0EEEvS11_
	.globl	_ZN7rocprim17ROCPRIM_400000_NS6detail17trampoline_kernelINS0_14default_configENS1_21merge_config_selectorINS0_5tupleIJssEEENS0_10empty_typeEEEZNS1_10merge_implIS3_NS0_12zip_iteratorINS5_IJN6thrust23THRUST_200600_302600_NS6detail15normal_iteratorINSC_10device_ptrIKsEEEESI_EEEEESK_NSA_INS5_IJNSC_16discard_iteratorINSC_11use_defaultEEESN_EEEEEPS7_SQ_SQ_NSC_11hip_rocprim7__merge17predicate_wrapperIssNSC_4lessIsEEEEEE10hipError_tPvRmT0_T1_T2_T3_T4_T5_mmT6_P12ihipStream_tbEUlT_E_NS1_11comp_targetILNS1_3genE5ELNS1_11target_archE942ELNS1_3gpuE9ELNS1_3repE0EEENS1_30default_config_static_selectorELNS0_4arch9wavefront6targetE0EEEvS11_
	.p2align	8
	.type	_ZN7rocprim17ROCPRIM_400000_NS6detail17trampoline_kernelINS0_14default_configENS1_21merge_config_selectorINS0_5tupleIJssEEENS0_10empty_typeEEEZNS1_10merge_implIS3_NS0_12zip_iteratorINS5_IJN6thrust23THRUST_200600_302600_NS6detail15normal_iteratorINSC_10device_ptrIKsEEEESI_EEEEESK_NSA_INS5_IJNSC_16discard_iteratorINSC_11use_defaultEEESN_EEEEEPS7_SQ_SQ_NSC_11hip_rocprim7__merge17predicate_wrapperIssNSC_4lessIsEEEEEE10hipError_tPvRmT0_T1_T2_T3_T4_T5_mmT6_P12ihipStream_tbEUlT_E_NS1_11comp_targetILNS1_3genE5ELNS1_11target_archE942ELNS1_3gpuE9ELNS1_3repE0EEENS1_30default_config_static_selectorELNS0_4arch9wavefront6targetE0EEEvS11_,@function
_ZN7rocprim17ROCPRIM_400000_NS6detail17trampoline_kernelINS0_14default_configENS1_21merge_config_selectorINS0_5tupleIJssEEENS0_10empty_typeEEEZNS1_10merge_implIS3_NS0_12zip_iteratorINS5_IJN6thrust23THRUST_200600_302600_NS6detail15normal_iteratorINSC_10device_ptrIKsEEEESI_EEEEESK_NSA_INS5_IJNSC_16discard_iteratorINSC_11use_defaultEEESN_EEEEEPS7_SQ_SQ_NSC_11hip_rocprim7__merge17predicate_wrapperIssNSC_4lessIsEEEEEE10hipError_tPvRmT0_T1_T2_T3_T4_T5_mmT6_P12ihipStream_tbEUlT_E_NS1_11comp_targetILNS1_3genE5ELNS1_11target_archE942ELNS1_3gpuE9ELNS1_3repE0EEENS1_30default_config_static_selectorELNS0_4arch9wavefront6targetE0EEEvS11_: ; @_ZN7rocprim17ROCPRIM_400000_NS6detail17trampoline_kernelINS0_14default_configENS1_21merge_config_selectorINS0_5tupleIJssEEENS0_10empty_typeEEEZNS1_10merge_implIS3_NS0_12zip_iteratorINS5_IJN6thrust23THRUST_200600_302600_NS6detail15normal_iteratorINSC_10device_ptrIKsEEEESI_EEEEESK_NSA_INS5_IJNSC_16discard_iteratorINSC_11use_defaultEEESN_EEEEEPS7_SQ_SQ_NSC_11hip_rocprim7__merge17predicate_wrapperIssNSC_4lessIsEEEEEE10hipError_tPvRmT0_T1_T2_T3_T4_T5_mmT6_P12ihipStream_tbEUlT_E_NS1_11comp_targetILNS1_3genE5ELNS1_11target_archE942ELNS1_3gpuE9ELNS1_3repE0EEENS1_30default_config_static_selectorELNS0_4arch9wavefront6targetE0EEEvS11_
; %bb.0:
	.section	.rodata,"a",@progbits
	.p2align	6, 0x0
	.amdhsa_kernel _ZN7rocprim17ROCPRIM_400000_NS6detail17trampoline_kernelINS0_14default_configENS1_21merge_config_selectorINS0_5tupleIJssEEENS0_10empty_typeEEEZNS1_10merge_implIS3_NS0_12zip_iteratorINS5_IJN6thrust23THRUST_200600_302600_NS6detail15normal_iteratorINSC_10device_ptrIKsEEEESI_EEEEESK_NSA_INS5_IJNSC_16discard_iteratorINSC_11use_defaultEEESN_EEEEEPS7_SQ_SQ_NSC_11hip_rocprim7__merge17predicate_wrapperIssNSC_4lessIsEEEEEE10hipError_tPvRmT0_T1_T2_T3_T4_T5_mmT6_P12ihipStream_tbEUlT_E_NS1_11comp_targetILNS1_3genE5ELNS1_11target_archE942ELNS1_3gpuE9ELNS1_3repE0EEENS1_30default_config_static_selectorELNS0_4arch9wavefront6targetE0EEEvS11_
		.amdhsa_group_segment_fixed_size 0
		.amdhsa_private_segment_fixed_size 0
		.amdhsa_kernarg_size 64
		.amdhsa_user_sgpr_count 2
		.amdhsa_user_sgpr_dispatch_ptr 0
		.amdhsa_user_sgpr_queue_ptr 0
		.amdhsa_user_sgpr_kernarg_segment_ptr 1
		.amdhsa_user_sgpr_dispatch_id 0
		.amdhsa_user_sgpr_kernarg_preload_length 0
		.amdhsa_user_sgpr_kernarg_preload_offset 0
		.amdhsa_user_sgpr_private_segment_size 0
		.amdhsa_wavefront_size32 1
		.amdhsa_uses_dynamic_stack 0
		.amdhsa_enable_private_segment 0
		.amdhsa_system_sgpr_workgroup_id_x 1
		.amdhsa_system_sgpr_workgroup_id_y 0
		.amdhsa_system_sgpr_workgroup_id_z 0
		.amdhsa_system_sgpr_workgroup_info 0
		.amdhsa_system_vgpr_workitem_id 0
		.amdhsa_next_free_vgpr 1
		.amdhsa_next_free_sgpr 1
		.amdhsa_named_barrier_count 0
		.amdhsa_reserve_vcc 0
		.amdhsa_float_round_mode_32 0
		.amdhsa_float_round_mode_16_64 0
		.amdhsa_float_denorm_mode_32 3
		.amdhsa_float_denorm_mode_16_64 3
		.amdhsa_fp16_overflow 0
		.amdhsa_memory_ordered 1
		.amdhsa_forward_progress 1
		.amdhsa_inst_pref_size 0
		.amdhsa_round_robin_scheduling 0
		.amdhsa_exception_fp_ieee_invalid_op 0
		.amdhsa_exception_fp_denorm_src 0
		.amdhsa_exception_fp_ieee_div_zero 0
		.amdhsa_exception_fp_ieee_overflow 0
		.amdhsa_exception_fp_ieee_underflow 0
		.amdhsa_exception_fp_ieee_inexact 0
		.amdhsa_exception_int_div_zero 0
	.end_amdhsa_kernel
	.section	.text._ZN7rocprim17ROCPRIM_400000_NS6detail17trampoline_kernelINS0_14default_configENS1_21merge_config_selectorINS0_5tupleIJssEEENS0_10empty_typeEEEZNS1_10merge_implIS3_NS0_12zip_iteratorINS5_IJN6thrust23THRUST_200600_302600_NS6detail15normal_iteratorINSC_10device_ptrIKsEEEESI_EEEEESK_NSA_INS5_IJNSC_16discard_iteratorINSC_11use_defaultEEESN_EEEEEPS7_SQ_SQ_NSC_11hip_rocprim7__merge17predicate_wrapperIssNSC_4lessIsEEEEEE10hipError_tPvRmT0_T1_T2_T3_T4_T5_mmT6_P12ihipStream_tbEUlT_E_NS1_11comp_targetILNS1_3genE5ELNS1_11target_archE942ELNS1_3gpuE9ELNS1_3repE0EEENS1_30default_config_static_selectorELNS0_4arch9wavefront6targetE0EEEvS11_,"axG",@progbits,_ZN7rocprim17ROCPRIM_400000_NS6detail17trampoline_kernelINS0_14default_configENS1_21merge_config_selectorINS0_5tupleIJssEEENS0_10empty_typeEEEZNS1_10merge_implIS3_NS0_12zip_iteratorINS5_IJN6thrust23THRUST_200600_302600_NS6detail15normal_iteratorINSC_10device_ptrIKsEEEESI_EEEEESK_NSA_INS5_IJNSC_16discard_iteratorINSC_11use_defaultEEESN_EEEEEPS7_SQ_SQ_NSC_11hip_rocprim7__merge17predicate_wrapperIssNSC_4lessIsEEEEEE10hipError_tPvRmT0_T1_T2_T3_T4_T5_mmT6_P12ihipStream_tbEUlT_E_NS1_11comp_targetILNS1_3genE5ELNS1_11target_archE942ELNS1_3gpuE9ELNS1_3repE0EEENS1_30default_config_static_selectorELNS0_4arch9wavefront6targetE0EEEvS11_,comdat
.Lfunc_end606:
	.size	_ZN7rocprim17ROCPRIM_400000_NS6detail17trampoline_kernelINS0_14default_configENS1_21merge_config_selectorINS0_5tupleIJssEEENS0_10empty_typeEEEZNS1_10merge_implIS3_NS0_12zip_iteratorINS5_IJN6thrust23THRUST_200600_302600_NS6detail15normal_iteratorINSC_10device_ptrIKsEEEESI_EEEEESK_NSA_INS5_IJNSC_16discard_iteratorINSC_11use_defaultEEESN_EEEEEPS7_SQ_SQ_NSC_11hip_rocprim7__merge17predicate_wrapperIssNSC_4lessIsEEEEEE10hipError_tPvRmT0_T1_T2_T3_T4_T5_mmT6_P12ihipStream_tbEUlT_E_NS1_11comp_targetILNS1_3genE5ELNS1_11target_archE942ELNS1_3gpuE9ELNS1_3repE0EEENS1_30default_config_static_selectorELNS0_4arch9wavefront6targetE0EEEvS11_, .Lfunc_end606-_ZN7rocprim17ROCPRIM_400000_NS6detail17trampoline_kernelINS0_14default_configENS1_21merge_config_selectorINS0_5tupleIJssEEENS0_10empty_typeEEEZNS1_10merge_implIS3_NS0_12zip_iteratorINS5_IJN6thrust23THRUST_200600_302600_NS6detail15normal_iteratorINSC_10device_ptrIKsEEEESI_EEEEESK_NSA_INS5_IJNSC_16discard_iteratorINSC_11use_defaultEEESN_EEEEEPS7_SQ_SQ_NSC_11hip_rocprim7__merge17predicate_wrapperIssNSC_4lessIsEEEEEE10hipError_tPvRmT0_T1_T2_T3_T4_T5_mmT6_P12ihipStream_tbEUlT_E_NS1_11comp_targetILNS1_3genE5ELNS1_11target_archE942ELNS1_3gpuE9ELNS1_3repE0EEENS1_30default_config_static_selectorELNS0_4arch9wavefront6targetE0EEEvS11_
                                        ; -- End function
	.set _ZN7rocprim17ROCPRIM_400000_NS6detail17trampoline_kernelINS0_14default_configENS1_21merge_config_selectorINS0_5tupleIJssEEENS0_10empty_typeEEEZNS1_10merge_implIS3_NS0_12zip_iteratorINS5_IJN6thrust23THRUST_200600_302600_NS6detail15normal_iteratorINSC_10device_ptrIKsEEEESI_EEEEESK_NSA_INS5_IJNSC_16discard_iteratorINSC_11use_defaultEEESN_EEEEEPS7_SQ_SQ_NSC_11hip_rocprim7__merge17predicate_wrapperIssNSC_4lessIsEEEEEE10hipError_tPvRmT0_T1_T2_T3_T4_T5_mmT6_P12ihipStream_tbEUlT_E_NS1_11comp_targetILNS1_3genE5ELNS1_11target_archE942ELNS1_3gpuE9ELNS1_3repE0EEENS1_30default_config_static_selectorELNS0_4arch9wavefront6targetE0EEEvS11_.num_vgpr, 0
	.set _ZN7rocprim17ROCPRIM_400000_NS6detail17trampoline_kernelINS0_14default_configENS1_21merge_config_selectorINS0_5tupleIJssEEENS0_10empty_typeEEEZNS1_10merge_implIS3_NS0_12zip_iteratorINS5_IJN6thrust23THRUST_200600_302600_NS6detail15normal_iteratorINSC_10device_ptrIKsEEEESI_EEEEESK_NSA_INS5_IJNSC_16discard_iteratorINSC_11use_defaultEEESN_EEEEEPS7_SQ_SQ_NSC_11hip_rocprim7__merge17predicate_wrapperIssNSC_4lessIsEEEEEE10hipError_tPvRmT0_T1_T2_T3_T4_T5_mmT6_P12ihipStream_tbEUlT_E_NS1_11comp_targetILNS1_3genE5ELNS1_11target_archE942ELNS1_3gpuE9ELNS1_3repE0EEENS1_30default_config_static_selectorELNS0_4arch9wavefront6targetE0EEEvS11_.num_agpr, 0
	.set _ZN7rocprim17ROCPRIM_400000_NS6detail17trampoline_kernelINS0_14default_configENS1_21merge_config_selectorINS0_5tupleIJssEEENS0_10empty_typeEEEZNS1_10merge_implIS3_NS0_12zip_iteratorINS5_IJN6thrust23THRUST_200600_302600_NS6detail15normal_iteratorINSC_10device_ptrIKsEEEESI_EEEEESK_NSA_INS5_IJNSC_16discard_iteratorINSC_11use_defaultEEESN_EEEEEPS7_SQ_SQ_NSC_11hip_rocprim7__merge17predicate_wrapperIssNSC_4lessIsEEEEEE10hipError_tPvRmT0_T1_T2_T3_T4_T5_mmT6_P12ihipStream_tbEUlT_E_NS1_11comp_targetILNS1_3genE5ELNS1_11target_archE942ELNS1_3gpuE9ELNS1_3repE0EEENS1_30default_config_static_selectorELNS0_4arch9wavefront6targetE0EEEvS11_.numbered_sgpr, 0
	.set _ZN7rocprim17ROCPRIM_400000_NS6detail17trampoline_kernelINS0_14default_configENS1_21merge_config_selectorINS0_5tupleIJssEEENS0_10empty_typeEEEZNS1_10merge_implIS3_NS0_12zip_iteratorINS5_IJN6thrust23THRUST_200600_302600_NS6detail15normal_iteratorINSC_10device_ptrIKsEEEESI_EEEEESK_NSA_INS5_IJNSC_16discard_iteratorINSC_11use_defaultEEESN_EEEEEPS7_SQ_SQ_NSC_11hip_rocprim7__merge17predicate_wrapperIssNSC_4lessIsEEEEEE10hipError_tPvRmT0_T1_T2_T3_T4_T5_mmT6_P12ihipStream_tbEUlT_E_NS1_11comp_targetILNS1_3genE5ELNS1_11target_archE942ELNS1_3gpuE9ELNS1_3repE0EEENS1_30default_config_static_selectorELNS0_4arch9wavefront6targetE0EEEvS11_.num_named_barrier, 0
	.set _ZN7rocprim17ROCPRIM_400000_NS6detail17trampoline_kernelINS0_14default_configENS1_21merge_config_selectorINS0_5tupleIJssEEENS0_10empty_typeEEEZNS1_10merge_implIS3_NS0_12zip_iteratorINS5_IJN6thrust23THRUST_200600_302600_NS6detail15normal_iteratorINSC_10device_ptrIKsEEEESI_EEEEESK_NSA_INS5_IJNSC_16discard_iteratorINSC_11use_defaultEEESN_EEEEEPS7_SQ_SQ_NSC_11hip_rocprim7__merge17predicate_wrapperIssNSC_4lessIsEEEEEE10hipError_tPvRmT0_T1_T2_T3_T4_T5_mmT6_P12ihipStream_tbEUlT_E_NS1_11comp_targetILNS1_3genE5ELNS1_11target_archE942ELNS1_3gpuE9ELNS1_3repE0EEENS1_30default_config_static_selectorELNS0_4arch9wavefront6targetE0EEEvS11_.private_seg_size, 0
	.set _ZN7rocprim17ROCPRIM_400000_NS6detail17trampoline_kernelINS0_14default_configENS1_21merge_config_selectorINS0_5tupleIJssEEENS0_10empty_typeEEEZNS1_10merge_implIS3_NS0_12zip_iteratorINS5_IJN6thrust23THRUST_200600_302600_NS6detail15normal_iteratorINSC_10device_ptrIKsEEEESI_EEEEESK_NSA_INS5_IJNSC_16discard_iteratorINSC_11use_defaultEEESN_EEEEEPS7_SQ_SQ_NSC_11hip_rocprim7__merge17predicate_wrapperIssNSC_4lessIsEEEEEE10hipError_tPvRmT0_T1_T2_T3_T4_T5_mmT6_P12ihipStream_tbEUlT_E_NS1_11comp_targetILNS1_3genE5ELNS1_11target_archE942ELNS1_3gpuE9ELNS1_3repE0EEENS1_30default_config_static_selectorELNS0_4arch9wavefront6targetE0EEEvS11_.uses_vcc, 0
	.set _ZN7rocprim17ROCPRIM_400000_NS6detail17trampoline_kernelINS0_14default_configENS1_21merge_config_selectorINS0_5tupleIJssEEENS0_10empty_typeEEEZNS1_10merge_implIS3_NS0_12zip_iteratorINS5_IJN6thrust23THRUST_200600_302600_NS6detail15normal_iteratorINSC_10device_ptrIKsEEEESI_EEEEESK_NSA_INS5_IJNSC_16discard_iteratorINSC_11use_defaultEEESN_EEEEEPS7_SQ_SQ_NSC_11hip_rocprim7__merge17predicate_wrapperIssNSC_4lessIsEEEEEE10hipError_tPvRmT0_T1_T2_T3_T4_T5_mmT6_P12ihipStream_tbEUlT_E_NS1_11comp_targetILNS1_3genE5ELNS1_11target_archE942ELNS1_3gpuE9ELNS1_3repE0EEENS1_30default_config_static_selectorELNS0_4arch9wavefront6targetE0EEEvS11_.uses_flat_scratch, 0
	.set _ZN7rocprim17ROCPRIM_400000_NS6detail17trampoline_kernelINS0_14default_configENS1_21merge_config_selectorINS0_5tupleIJssEEENS0_10empty_typeEEEZNS1_10merge_implIS3_NS0_12zip_iteratorINS5_IJN6thrust23THRUST_200600_302600_NS6detail15normal_iteratorINSC_10device_ptrIKsEEEESI_EEEEESK_NSA_INS5_IJNSC_16discard_iteratorINSC_11use_defaultEEESN_EEEEEPS7_SQ_SQ_NSC_11hip_rocprim7__merge17predicate_wrapperIssNSC_4lessIsEEEEEE10hipError_tPvRmT0_T1_T2_T3_T4_T5_mmT6_P12ihipStream_tbEUlT_E_NS1_11comp_targetILNS1_3genE5ELNS1_11target_archE942ELNS1_3gpuE9ELNS1_3repE0EEENS1_30default_config_static_selectorELNS0_4arch9wavefront6targetE0EEEvS11_.has_dyn_sized_stack, 0
	.set _ZN7rocprim17ROCPRIM_400000_NS6detail17trampoline_kernelINS0_14default_configENS1_21merge_config_selectorINS0_5tupleIJssEEENS0_10empty_typeEEEZNS1_10merge_implIS3_NS0_12zip_iteratorINS5_IJN6thrust23THRUST_200600_302600_NS6detail15normal_iteratorINSC_10device_ptrIKsEEEESI_EEEEESK_NSA_INS5_IJNSC_16discard_iteratorINSC_11use_defaultEEESN_EEEEEPS7_SQ_SQ_NSC_11hip_rocprim7__merge17predicate_wrapperIssNSC_4lessIsEEEEEE10hipError_tPvRmT0_T1_T2_T3_T4_T5_mmT6_P12ihipStream_tbEUlT_E_NS1_11comp_targetILNS1_3genE5ELNS1_11target_archE942ELNS1_3gpuE9ELNS1_3repE0EEENS1_30default_config_static_selectorELNS0_4arch9wavefront6targetE0EEEvS11_.has_recursion, 0
	.set _ZN7rocprim17ROCPRIM_400000_NS6detail17trampoline_kernelINS0_14default_configENS1_21merge_config_selectorINS0_5tupleIJssEEENS0_10empty_typeEEEZNS1_10merge_implIS3_NS0_12zip_iteratorINS5_IJN6thrust23THRUST_200600_302600_NS6detail15normal_iteratorINSC_10device_ptrIKsEEEESI_EEEEESK_NSA_INS5_IJNSC_16discard_iteratorINSC_11use_defaultEEESN_EEEEEPS7_SQ_SQ_NSC_11hip_rocprim7__merge17predicate_wrapperIssNSC_4lessIsEEEEEE10hipError_tPvRmT0_T1_T2_T3_T4_T5_mmT6_P12ihipStream_tbEUlT_E_NS1_11comp_targetILNS1_3genE5ELNS1_11target_archE942ELNS1_3gpuE9ELNS1_3repE0EEENS1_30default_config_static_selectorELNS0_4arch9wavefront6targetE0EEEvS11_.has_indirect_call, 0
	.section	.AMDGPU.csdata,"",@progbits
; Kernel info:
; codeLenInByte = 0
; TotalNumSgprs: 0
; NumVgprs: 0
; ScratchSize: 0
; MemoryBound: 0
; FloatMode: 240
; IeeeMode: 1
; LDSByteSize: 0 bytes/workgroup (compile time only)
; SGPRBlocks: 0
; VGPRBlocks: 0
; NumSGPRsForWavesPerEU: 1
; NumVGPRsForWavesPerEU: 1
; NamedBarCnt: 0
; Occupancy: 16
; WaveLimiterHint : 0
; COMPUTE_PGM_RSRC2:SCRATCH_EN: 0
; COMPUTE_PGM_RSRC2:USER_SGPR: 2
; COMPUTE_PGM_RSRC2:TRAP_HANDLER: 0
; COMPUTE_PGM_RSRC2:TGID_X_EN: 1
; COMPUTE_PGM_RSRC2:TGID_Y_EN: 0
; COMPUTE_PGM_RSRC2:TGID_Z_EN: 0
; COMPUTE_PGM_RSRC2:TIDIG_COMP_CNT: 0
	.section	.text._ZN7rocprim17ROCPRIM_400000_NS6detail17trampoline_kernelINS0_14default_configENS1_21merge_config_selectorINS0_5tupleIJssEEENS0_10empty_typeEEEZNS1_10merge_implIS3_NS0_12zip_iteratorINS5_IJN6thrust23THRUST_200600_302600_NS6detail15normal_iteratorINSC_10device_ptrIKsEEEESI_EEEEESK_NSA_INS5_IJNSC_16discard_iteratorINSC_11use_defaultEEESN_EEEEEPS7_SQ_SQ_NSC_11hip_rocprim7__merge17predicate_wrapperIssNSC_4lessIsEEEEEE10hipError_tPvRmT0_T1_T2_T3_T4_T5_mmT6_P12ihipStream_tbEUlT_E_NS1_11comp_targetILNS1_3genE4ELNS1_11target_archE910ELNS1_3gpuE8ELNS1_3repE0EEENS1_30default_config_static_selectorELNS0_4arch9wavefront6targetE0EEEvS11_,"axG",@progbits,_ZN7rocprim17ROCPRIM_400000_NS6detail17trampoline_kernelINS0_14default_configENS1_21merge_config_selectorINS0_5tupleIJssEEENS0_10empty_typeEEEZNS1_10merge_implIS3_NS0_12zip_iteratorINS5_IJN6thrust23THRUST_200600_302600_NS6detail15normal_iteratorINSC_10device_ptrIKsEEEESI_EEEEESK_NSA_INS5_IJNSC_16discard_iteratorINSC_11use_defaultEEESN_EEEEEPS7_SQ_SQ_NSC_11hip_rocprim7__merge17predicate_wrapperIssNSC_4lessIsEEEEEE10hipError_tPvRmT0_T1_T2_T3_T4_T5_mmT6_P12ihipStream_tbEUlT_E_NS1_11comp_targetILNS1_3genE4ELNS1_11target_archE910ELNS1_3gpuE8ELNS1_3repE0EEENS1_30default_config_static_selectorELNS0_4arch9wavefront6targetE0EEEvS11_,comdat
	.protected	_ZN7rocprim17ROCPRIM_400000_NS6detail17trampoline_kernelINS0_14default_configENS1_21merge_config_selectorINS0_5tupleIJssEEENS0_10empty_typeEEEZNS1_10merge_implIS3_NS0_12zip_iteratorINS5_IJN6thrust23THRUST_200600_302600_NS6detail15normal_iteratorINSC_10device_ptrIKsEEEESI_EEEEESK_NSA_INS5_IJNSC_16discard_iteratorINSC_11use_defaultEEESN_EEEEEPS7_SQ_SQ_NSC_11hip_rocprim7__merge17predicate_wrapperIssNSC_4lessIsEEEEEE10hipError_tPvRmT0_T1_T2_T3_T4_T5_mmT6_P12ihipStream_tbEUlT_E_NS1_11comp_targetILNS1_3genE4ELNS1_11target_archE910ELNS1_3gpuE8ELNS1_3repE0EEENS1_30default_config_static_selectorELNS0_4arch9wavefront6targetE0EEEvS11_ ; -- Begin function _ZN7rocprim17ROCPRIM_400000_NS6detail17trampoline_kernelINS0_14default_configENS1_21merge_config_selectorINS0_5tupleIJssEEENS0_10empty_typeEEEZNS1_10merge_implIS3_NS0_12zip_iteratorINS5_IJN6thrust23THRUST_200600_302600_NS6detail15normal_iteratorINSC_10device_ptrIKsEEEESI_EEEEESK_NSA_INS5_IJNSC_16discard_iteratorINSC_11use_defaultEEESN_EEEEEPS7_SQ_SQ_NSC_11hip_rocprim7__merge17predicate_wrapperIssNSC_4lessIsEEEEEE10hipError_tPvRmT0_T1_T2_T3_T4_T5_mmT6_P12ihipStream_tbEUlT_E_NS1_11comp_targetILNS1_3genE4ELNS1_11target_archE910ELNS1_3gpuE8ELNS1_3repE0EEENS1_30default_config_static_selectorELNS0_4arch9wavefront6targetE0EEEvS11_
	.globl	_ZN7rocprim17ROCPRIM_400000_NS6detail17trampoline_kernelINS0_14default_configENS1_21merge_config_selectorINS0_5tupleIJssEEENS0_10empty_typeEEEZNS1_10merge_implIS3_NS0_12zip_iteratorINS5_IJN6thrust23THRUST_200600_302600_NS6detail15normal_iteratorINSC_10device_ptrIKsEEEESI_EEEEESK_NSA_INS5_IJNSC_16discard_iteratorINSC_11use_defaultEEESN_EEEEEPS7_SQ_SQ_NSC_11hip_rocprim7__merge17predicate_wrapperIssNSC_4lessIsEEEEEE10hipError_tPvRmT0_T1_T2_T3_T4_T5_mmT6_P12ihipStream_tbEUlT_E_NS1_11comp_targetILNS1_3genE4ELNS1_11target_archE910ELNS1_3gpuE8ELNS1_3repE0EEENS1_30default_config_static_selectorELNS0_4arch9wavefront6targetE0EEEvS11_
	.p2align	8
	.type	_ZN7rocprim17ROCPRIM_400000_NS6detail17trampoline_kernelINS0_14default_configENS1_21merge_config_selectorINS0_5tupleIJssEEENS0_10empty_typeEEEZNS1_10merge_implIS3_NS0_12zip_iteratorINS5_IJN6thrust23THRUST_200600_302600_NS6detail15normal_iteratorINSC_10device_ptrIKsEEEESI_EEEEESK_NSA_INS5_IJNSC_16discard_iteratorINSC_11use_defaultEEESN_EEEEEPS7_SQ_SQ_NSC_11hip_rocprim7__merge17predicate_wrapperIssNSC_4lessIsEEEEEE10hipError_tPvRmT0_T1_T2_T3_T4_T5_mmT6_P12ihipStream_tbEUlT_E_NS1_11comp_targetILNS1_3genE4ELNS1_11target_archE910ELNS1_3gpuE8ELNS1_3repE0EEENS1_30default_config_static_selectorELNS0_4arch9wavefront6targetE0EEEvS11_,@function
_ZN7rocprim17ROCPRIM_400000_NS6detail17trampoline_kernelINS0_14default_configENS1_21merge_config_selectorINS0_5tupleIJssEEENS0_10empty_typeEEEZNS1_10merge_implIS3_NS0_12zip_iteratorINS5_IJN6thrust23THRUST_200600_302600_NS6detail15normal_iteratorINSC_10device_ptrIKsEEEESI_EEEEESK_NSA_INS5_IJNSC_16discard_iteratorINSC_11use_defaultEEESN_EEEEEPS7_SQ_SQ_NSC_11hip_rocprim7__merge17predicate_wrapperIssNSC_4lessIsEEEEEE10hipError_tPvRmT0_T1_T2_T3_T4_T5_mmT6_P12ihipStream_tbEUlT_E_NS1_11comp_targetILNS1_3genE4ELNS1_11target_archE910ELNS1_3gpuE8ELNS1_3repE0EEENS1_30default_config_static_selectorELNS0_4arch9wavefront6targetE0EEEvS11_: ; @_ZN7rocprim17ROCPRIM_400000_NS6detail17trampoline_kernelINS0_14default_configENS1_21merge_config_selectorINS0_5tupleIJssEEENS0_10empty_typeEEEZNS1_10merge_implIS3_NS0_12zip_iteratorINS5_IJN6thrust23THRUST_200600_302600_NS6detail15normal_iteratorINSC_10device_ptrIKsEEEESI_EEEEESK_NSA_INS5_IJNSC_16discard_iteratorINSC_11use_defaultEEESN_EEEEEPS7_SQ_SQ_NSC_11hip_rocprim7__merge17predicate_wrapperIssNSC_4lessIsEEEEEE10hipError_tPvRmT0_T1_T2_T3_T4_T5_mmT6_P12ihipStream_tbEUlT_E_NS1_11comp_targetILNS1_3genE4ELNS1_11target_archE910ELNS1_3gpuE8ELNS1_3repE0EEENS1_30default_config_static_selectorELNS0_4arch9wavefront6targetE0EEEvS11_
; %bb.0:
	.section	.rodata,"a",@progbits
	.p2align	6, 0x0
	.amdhsa_kernel _ZN7rocprim17ROCPRIM_400000_NS6detail17trampoline_kernelINS0_14default_configENS1_21merge_config_selectorINS0_5tupleIJssEEENS0_10empty_typeEEEZNS1_10merge_implIS3_NS0_12zip_iteratorINS5_IJN6thrust23THRUST_200600_302600_NS6detail15normal_iteratorINSC_10device_ptrIKsEEEESI_EEEEESK_NSA_INS5_IJNSC_16discard_iteratorINSC_11use_defaultEEESN_EEEEEPS7_SQ_SQ_NSC_11hip_rocprim7__merge17predicate_wrapperIssNSC_4lessIsEEEEEE10hipError_tPvRmT0_T1_T2_T3_T4_T5_mmT6_P12ihipStream_tbEUlT_E_NS1_11comp_targetILNS1_3genE4ELNS1_11target_archE910ELNS1_3gpuE8ELNS1_3repE0EEENS1_30default_config_static_selectorELNS0_4arch9wavefront6targetE0EEEvS11_
		.amdhsa_group_segment_fixed_size 0
		.amdhsa_private_segment_fixed_size 0
		.amdhsa_kernarg_size 64
		.amdhsa_user_sgpr_count 2
		.amdhsa_user_sgpr_dispatch_ptr 0
		.amdhsa_user_sgpr_queue_ptr 0
		.amdhsa_user_sgpr_kernarg_segment_ptr 1
		.amdhsa_user_sgpr_dispatch_id 0
		.amdhsa_user_sgpr_kernarg_preload_length 0
		.amdhsa_user_sgpr_kernarg_preload_offset 0
		.amdhsa_user_sgpr_private_segment_size 0
		.amdhsa_wavefront_size32 1
		.amdhsa_uses_dynamic_stack 0
		.amdhsa_enable_private_segment 0
		.amdhsa_system_sgpr_workgroup_id_x 1
		.amdhsa_system_sgpr_workgroup_id_y 0
		.amdhsa_system_sgpr_workgroup_id_z 0
		.amdhsa_system_sgpr_workgroup_info 0
		.amdhsa_system_vgpr_workitem_id 0
		.amdhsa_next_free_vgpr 1
		.amdhsa_next_free_sgpr 1
		.amdhsa_named_barrier_count 0
		.amdhsa_reserve_vcc 0
		.amdhsa_float_round_mode_32 0
		.amdhsa_float_round_mode_16_64 0
		.amdhsa_float_denorm_mode_32 3
		.amdhsa_float_denorm_mode_16_64 3
		.amdhsa_fp16_overflow 0
		.amdhsa_memory_ordered 1
		.amdhsa_forward_progress 1
		.amdhsa_inst_pref_size 0
		.amdhsa_round_robin_scheduling 0
		.amdhsa_exception_fp_ieee_invalid_op 0
		.amdhsa_exception_fp_denorm_src 0
		.amdhsa_exception_fp_ieee_div_zero 0
		.amdhsa_exception_fp_ieee_overflow 0
		.amdhsa_exception_fp_ieee_underflow 0
		.amdhsa_exception_fp_ieee_inexact 0
		.amdhsa_exception_int_div_zero 0
	.end_amdhsa_kernel
	.section	.text._ZN7rocprim17ROCPRIM_400000_NS6detail17trampoline_kernelINS0_14default_configENS1_21merge_config_selectorINS0_5tupleIJssEEENS0_10empty_typeEEEZNS1_10merge_implIS3_NS0_12zip_iteratorINS5_IJN6thrust23THRUST_200600_302600_NS6detail15normal_iteratorINSC_10device_ptrIKsEEEESI_EEEEESK_NSA_INS5_IJNSC_16discard_iteratorINSC_11use_defaultEEESN_EEEEEPS7_SQ_SQ_NSC_11hip_rocprim7__merge17predicate_wrapperIssNSC_4lessIsEEEEEE10hipError_tPvRmT0_T1_T2_T3_T4_T5_mmT6_P12ihipStream_tbEUlT_E_NS1_11comp_targetILNS1_3genE4ELNS1_11target_archE910ELNS1_3gpuE8ELNS1_3repE0EEENS1_30default_config_static_selectorELNS0_4arch9wavefront6targetE0EEEvS11_,"axG",@progbits,_ZN7rocprim17ROCPRIM_400000_NS6detail17trampoline_kernelINS0_14default_configENS1_21merge_config_selectorINS0_5tupleIJssEEENS0_10empty_typeEEEZNS1_10merge_implIS3_NS0_12zip_iteratorINS5_IJN6thrust23THRUST_200600_302600_NS6detail15normal_iteratorINSC_10device_ptrIKsEEEESI_EEEEESK_NSA_INS5_IJNSC_16discard_iteratorINSC_11use_defaultEEESN_EEEEEPS7_SQ_SQ_NSC_11hip_rocprim7__merge17predicate_wrapperIssNSC_4lessIsEEEEEE10hipError_tPvRmT0_T1_T2_T3_T4_T5_mmT6_P12ihipStream_tbEUlT_E_NS1_11comp_targetILNS1_3genE4ELNS1_11target_archE910ELNS1_3gpuE8ELNS1_3repE0EEENS1_30default_config_static_selectorELNS0_4arch9wavefront6targetE0EEEvS11_,comdat
.Lfunc_end607:
	.size	_ZN7rocprim17ROCPRIM_400000_NS6detail17trampoline_kernelINS0_14default_configENS1_21merge_config_selectorINS0_5tupleIJssEEENS0_10empty_typeEEEZNS1_10merge_implIS3_NS0_12zip_iteratorINS5_IJN6thrust23THRUST_200600_302600_NS6detail15normal_iteratorINSC_10device_ptrIKsEEEESI_EEEEESK_NSA_INS5_IJNSC_16discard_iteratorINSC_11use_defaultEEESN_EEEEEPS7_SQ_SQ_NSC_11hip_rocprim7__merge17predicate_wrapperIssNSC_4lessIsEEEEEE10hipError_tPvRmT0_T1_T2_T3_T4_T5_mmT6_P12ihipStream_tbEUlT_E_NS1_11comp_targetILNS1_3genE4ELNS1_11target_archE910ELNS1_3gpuE8ELNS1_3repE0EEENS1_30default_config_static_selectorELNS0_4arch9wavefront6targetE0EEEvS11_, .Lfunc_end607-_ZN7rocprim17ROCPRIM_400000_NS6detail17trampoline_kernelINS0_14default_configENS1_21merge_config_selectorINS0_5tupleIJssEEENS0_10empty_typeEEEZNS1_10merge_implIS3_NS0_12zip_iteratorINS5_IJN6thrust23THRUST_200600_302600_NS6detail15normal_iteratorINSC_10device_ptrIKsEEEESI_EEEEESK_NSA_INS5_IJNSC_16discard_iteratorINSC_11use_defaultEEESN_EEEEEPS7_SQ_SQ_NSC_11hip_rocprim7__merge17predicate_wrapperIssNSC_4lessIsEEEEEE10hipError_tPvRmT0_T1_T2_T3_T4_T5_mmT6_P12ihipStream_tbEUlT_E_NS1_11comp_targetILNS1_3genE4ELNS1_11target_archE910ELNS1_3gpuE8ELNS1_3repE0EEENS1_30default_config_static_selectorELNS0_4arch9wavefront6targetE0EEEvS11_
                                        ; -- End function
	.set _ZN7rocprim17ROCPRIM_400000_NS6detail17trampoline_kernelINS0_14default_configENS1_21merge_config_selectorINS0_5tupleIJssEEENS0_10empty_typeEEEZNS1_10merge_implIS3_NS0_12zip_iteratorINS5_IJN6thrust23THRUST_200600_302600_NS6detail15normal_iteratorINSC_10device_ptrIKsEEEESI_EEEEESK_NSA_INS5_IJNSC_16discard_iteratorINSC_11use_defaultEEESN_EEEEEPS7_SQ_SQ_NSC_11hip_rocprim7__merge17predicate_wrapperIssNSC_4lessIsEEEEEE10hipError_tPvRmT0_T1_T2_T3_T4_T5_mmT6_P12ihipStream_tbEUlT_E_NS1_11comp_targetILNS1_3genE4ELNS1_11target_archE910ELNS1_3gpuE8ELNS1_3repE0EEENS1_30default_config_static_selectorELNS0_4arch9wavefront6targetE0EEEvS11_.num_vgpr, 0
	.set _ZN7rocprim17ROCPRIM_400000_NS6detail17trampoline_kernelINS0_14default_configENS1_21merge_config_selectorINS0_5tupleIJssEEENS0_10empty_typeEEEZNS1_10merge_implIS3_NS0_12zip_iteratorINS5_IJN6thrust23THRUST_200600_302600_NS6detail15normal_iteratorINSC_10device_ptrIKsEEEESI_EEEEESK_NSA_INS5_IJNSC_16discard_iteratorINSC_11use_defaultEEESN_EEEEEPS7_SQ_SQ_NSC_11hip_rocprim7__merge17predicate_wrapperIssNSC_4lessIsEEEEEE10hipError_tPvRmT0_T1_T2_T3_T4_T5_mmT6_P12ihipStream_tbEUlT_E_NS1_11comp_targetILNS1_3genE4ELNS1_11target_archE910ELNS1_3gpuE8ELNS1_3repE0EEENS1_30default_config_static_selectorELNS0_4arch9wavefront6targetE0EEEvS11_.num_agpr, 0
	.set _ZN7rocprim17ROCPRIM_400000_NS6detail17trampoline_kernelINS0_14default_configENS1_21merge_config_selectorINS0_5tupleIJssEEENS0_10empty_typeEEEZNS1_10merge_implIS3_NS0_12zip_iteratorINS5_IJN6thrust23THRUST_200600_302600_NS6detail15normal_iteratorINSC_10device_ptrIKsEEEESI_EEEEESK_NSA_INS5_IJNSC_16discard_iteratorINSC_11use_defaultEEESN_EEEEEPS7_SQ_SQ_NSC_11hip_rocprim7__merge17predicate_wrapperIssNSC_4lessIsEEEEEE10hipError_tPvRmT0_T1_T2_T3_T4_T5_mmT6_P12ihipStream_tbEUlT_E_NS1_11comp_targetILNS1_3genE4ELNS1_11target_archE910ELNS1_3gpuE8ELNS1_3repE0EEENS1_30default_config_static_selectorELNS0_4arch9wavefront6targetE0EEEvS11_.numbered_sgpr, 0
	.set _ZN7rocprim17ROCPRIM_400000_NS6detail17trampoline_kernelINS0_14default_configENS1_21merge_config_selectorINS0_5tupleIJssEEENS0_10empty_typeEEEZNS1_10merge_implIS3_NS0_12zip_iteratorINS5_IJN6thrust23THRUST_200600_302600_NS6detail15normal_iteratorINSC_10device_ptrIKsEEEESI_EEEEESK_NSA_INS5_IJNSC_16discard_iteratorINSC_11use_defaultEEESN_EEEEEPS7_SQ_SQ_NSC_11hip_rocprim7__merge17predicate_wrapperIssNSC_4lessIsEEEEEE10hipError_tPvRmT0_T1_T2_T3_T4_T5_mmT6_P12ihipStream_tbEUlT_E_NS1_11comp_targetILNS1_3genE4ELNS1_11target_archE910ELNS1_3gpuE8ELNS1_3repE0EEENS1_30default_config_static_selectorELNS0_4arch9wavefront6targetE0EEEvS11_.num_named_barrier, 0
	.set _ZN7rocprim17ROCPRIM_400000_NS6detail17trampoline_kernelINS0_14default_configENS1_21merge_config_selectorINS0_5tupleIJssEEENS0_10empty_typeEEEZNS1_10merge_implIS3_NS0_12zip_iteratorINS5_IJN6thrust23THRUST_200600_302600_NS6detail15normal_iteratorINSC_10device_ptrIKsEEEESI_EEEEESK_NSA_INS5_IJNSC_16discard_iteratorINSC_11use_defaultEEESN_EEEEEPS7_SQ_SQ_NSC_11hip_rocprim7__merge17predicate_wrapperIssNSC_4lessIsEEEEEE10hipError_tPvRmT0_T1_T2_T3_T4_T5_mmT6_P12ihipStream_tbEUlT_E_NS1_11comp_targetILNS1_3genE4ELNS1_11target_archE910ELNS1_3gpuE8ELNS1_3repE0EEENS1_30default_config_static_selectorELNS0_4arch9wavefront6targetE0EEEvS11_.private_seg_size, 0
	.set _ZN7rocprim17ROCPRIM_400000_NS6detail17trampoline_kernelINS0_14default_configENS1_21merge_config_selectorINS0_5tupleIJssEEENS0_10empty_typeEEEZNS1_10merge_implIS3_NS0_12zip_iteratorINS5_IJN6thrust23THRUST_200600_302600_NS6detail15normal_iteratorINSC_10device_ptrIKsEEEESI_EEEEESK_NSA_INS5_IJNSC_16discard_iteratorINSC_11use_defaultEEESN_EEEEEPS7_SQ_SQ_NSC_11hip_rocprim7__merge17predicate_wrapperIssNSC_4lessIsEEEEEE10hipError_tPvRmT0_T1_T2_T3_T4_T5_mmT6_P12ihipStream_tbEUlT_E_NS1_11comp_targetILNS1_3genE4ELNS1_11target_archE910ELNS1_3gpuE8ELNS1_3repE0EEENS1_30default_config_static_selectorELNS0_4arch9wavefront6targetE0EEEvS11_.uses_vcc, 0
	.set _ZN7rocprim17ROCPRIM_400000_NS6detail17trampoline_kernelINS0_14default_configENS1_21merge_config_selectorINS0_5tupleIJssEEENS0_10empty_typeEEEZNS1_10merge_implIS3_NS0_12zip_iteratorINS5_IJN6thrust23THRUST_200600_302600_NS6detail15normal_iteratorINSC_10device_ptrIKsEEEESI_EEEEESK_NSA_INS5_IJNSC_16discard_iteratorINSC_11use_defaultEEESN_EEEEEPS7_SQ_SQ_NSC_11hip_rocprim7__merge17predicate_wrapperIssNSC_4lessIsEEEEEE10hipError_tPvRmT0_T1_T2_T3_T4_T5_mmT6_P12ihipStream_tbEUlT_E_NS1_11comp_targetILNS1_3genE4ELNS1_11target_archE910ELNS1_3gpuE8ELNS1_3repE0EEENS1_30default_config_static_selectorELNS0_4arch9wavefront6targetE0EEEvS11_.uses_flat_scratch, 0
	.set _ZN7rocprim17ROCPRIM_400000_NS6detail17trampoline_kernelINS0_14default_configENS1_21merge_config_selectorINS0_5tupleIJssEEENS0_10empty_typeEEEZNS1_10merge_implIS3_NS0_12zip_iteratorINS5_IJN6thrust23THRUST_200600_302600_NS6detail15normal_iteratorINSC_10device_ptrIKsEEEESI_EEEEESK_NSA_INS5_IJNSC_16discard_iteratorINSC_11use_defaultEEESN_EEEEEPS7_SQ_SQ_NSC_11hip_rocprim7__merge17predicate_wrapperIssNSC_4lessIsEEEEEE10hipError_tPvRmT0_T1_T2_T3_T4_T5_mmT6_P12ihipStream_tbEUlT_E_NS1_11comp_targetILNS1_3genE4ELNS1_11target_archE910ELNS1_3gpuE8ELNS1_3repE0EEENS1_30default_config_static_selectorELNS0_4arch9wavefront6targetE0EEEvS11_.has_dyn_sized_stack, 0
	.set _ZN7rocprim17ROCPRIM_400000_NS6detail17trampoline_kernelINS0_14default_configENS1_21merge_config_selectorINS0_5tupleIJssEEENS0_10empty_typeEEEZNS1_10merge_implIS3_NS0_12zip_iteratorINS5_IJN6thrust23THRUST_200600_302600_NS6detail15normal_iteratorINSC_10device_ptrIKsEEEESI_EEEEESK_NSA_INS5_IJNSC_16discard_iteratorINSC_11use_defaultEEESN_EEEEEPS7_SQ_SQ_NSC_11hip_rocprim7__merge17predicate_wrapperIssNSC_4lessIsEEEEEE10hipError_tPvRmT0_T1_T2_T3_T4_T5_mmT6_P12ihipStream_tbEUlT_E_NS1_11comp_targetILNS1_3genE4ELNS1_11target_archE910ELNS1_3gpuE8ELNS1_3repE0EEENS1_30default_config_static_selectorELNS0_4arch9wavefront6targetE0EEEvS11_.has_recursion, 0
	.set _ZN7rocprim17ROCPRIM_400000_NS6detail17trampoline_kernelINS0_14default_configENS1_21merge_config_selectorINS0_5tupleIJssEEENS0_10empty_typeEEEZNS1_10merge_implIS3_NS0_12zip_iteratorINS5_IJN6thrust23THRUST_200600_302600_NS6detail15normal_iteratorINSC_10device_ptrIKsEEEESI_EEEEESK_NSA_INS5_IJNSC_16discard_iteratorINSC_11use_defaultEEESN_EEEEEPS7_SQ_SQ_NSC_11hip_rocprim7__merge17predicate_wrapperIssNSC_4lessIsEEEEEE10hipError_tPvRmT0_T1_T2_T3_T4_T5_mmT6_P12ihipStream_tbEUlT_E_NS1_11comp_targetILNS1_3genE4ELNS1_11target_archE910ELNS1_3gpuE8ELNS1_3repE0EEENS1_30default_config_static_selectorELNS0_4arch9wavefront6targetE0EEEvS11_.has_indirect_call, 0
	.section	.AMDGPU.csdata,"",@progbits
; Kernel info:
; codeLenInByte = 0
; TotalNumSgprs: 0
; NumVgprs: 0
; ScratchSize: 0
; MemoryBound: 0
; FloatMode: 240
; IeeeMode: 1
; LDSByteSize: 0 bytes/workgroup (compile time only)
; SGPRBlocks: 0
; VGPRBlocks: 0
; NumSGPRsForWavesPerEU: 1
; NumVGPRsForWavesPerEU: 1
; NamedBarCnt: 0
; Occupancy: 16
; WaveLimiterHint : 0
; COMPUTE_PGM_RSRC2:SCRATCH_EN: 0
; COMPUTE_PGM_RSRC2:USER_SGPR: 2
; COMPUTE_PGM_RSRC2:TRAP_HANDLER: 0
; COMPUTE_PGM_RSRC2:TGID_X_EN: 1
; COMPUTE_PGM_RSRC2:TGID_Y_EN: 0
; COMPUTE_PGM_RSRC2:TGID_Z_EN: 0
; COMPUTE_PGM_RSRC2:TIDIG_COMP_CNT: 0
	.section	.text._ZN7rocprim17ROCPRIM_400000_NS6detail17trampoline_kernelINS0_14default_configENS1_21merge_config_selectorINS0_5tupleIJssEEENS0_10empty_typeEEEZNS1_10merge_implIS3_NS0_12zip_iteratorINS5_IJN6thrust23THRUST_200600_302600_NS6detail15normal_iteratorINSC_10device_ptrIKsEEEESI_EEEEESK_NSA_INS5_IJNSC_16discard_iteratorINSC_11use_defaultEEESN_EEEEEPS7_SQ_SQ_NSC_11hip_rocprim7__merge17predicate_wrapperIssNSC_4lessIsEEEEEE10hipError_tPvRmT0_T1_T2_T3_T4_T5_mmT6_P12ihipStream_tbEUlT_E_NS1_11comp_targetILNS1_3genE3ELNS1_11target_archE908ELNS1_3gpuE7ELNS1_3repE0EEENS1_30default_config_static_selectorELNS0_4arch9wavefront6targetE0EEEvS11_,"axG",@progbits,_ZN7rocprim17ROCPRIM_400000_NS6detail17trampoline_kernelINS0_14default_configENS1_21merge_config_selectorINS0_5tupleIJssEEENS0_10empty_typeEEEZNS1_10merge_implIS3_NS0_12zip_iteratorINS5_IJN6thrust23THRUST_200600_302600_NS6detail15normal_iteratorINSC_10device_ptrIKsEEEESI_EEEEESK_NSA_INS5_IJNSC_16discard_iteratorINSC_11use_defaultEEESN_EEEEEPS7_SQ_SQ_NSC_11hip_rocprim7__merge17predicate_wrapperIssNSC_4lessIsEEEEEE10hipError_tPvRmT0_T1_T2_T3_T4_T5_mmT6_P12ihipStream_tbEUlT_E_NS1_11comp_targetILNS1_3genE3ELNS1_11target_archE908ELNS1_3gpuE7ELNS1_3repE0EEENS1_30default_config_static_selectorELNS0_4arch9wavefront6targetE0EEEvS11_,comdat
	.protected	_ZN7rocprim17ROCPRIM_400000_NS6detail17trampoline_kernelINS0_14default_configENS1_21merge_config_selectorINS0_5tupleIJssEEENS0_10empty_typeEEEZNS1_10merge_implIS3_NS0_12zip_iteratorINS5_IJN6thrust23THRUST_200600_302600_NS6detail15normal_iteratorINSC_10device_ptrIKsEEEESI_EEEEESK_NSA_INS5_IJNSC_16discard_iteratorINSC_11use_defaultEEESN_EEEEEPS7_SQ_SQ_NSC_11hip_rocprim7__merge17predicate_wrapperIssNSC_4lessIsEEEEEE10hipError_tPvRmT0_T1_T2_T3_T4_T5_mmT6_P12ihipStream_tbEUlT_E_NS1_11comp_targetILNS1_3genE3ELNS1_11target_archE908ELNS1_3gpuE7ELNS1_3repE0EEENS1_30default_config_static_selectorELNS0_4arch9wavefront6targetE0EEEvS11_ ; -- Begin function _ZN7rocprim17ROCPRIM_400000_NS6detail17trampoline_kernelINS0_14default_configENS1_21merge_config_selectorINS0_5tupleIJssEEENS0_10empty_typeEEEZNS1_10merge_implIS3_NS0_12zip_iteratorINS5_IJN6thrust23THRUST_200600_302600_NS6detail15normal_iteratorINSC_10device_ptrIKsEEEESI_EEEEESK_NSA_INS5_IJNSC_16discard_iteratorINSC_11use_defaultEEESN_EEEEEPS7_SQ_SQ_NSC_11hip_rocprim7__merge17predicate_wrapperIssNSC_4lessIsEEEEEE10hipError_tPvRmT0_T1_T2_T3_T4_T5_mmT6_P12ihipStream_tbEUlT_E_NS1_11comp_targetILNS1_3genE3ELNS1_11target_archE908ELNS1_3gpuE7ELNS1_3repE0EEENS1_30default_config_static_selectorELNS0_4arch9wavefront6targetE0EEEvS11_
	.globl	_ZN7rocprim17ROCPRIM_400000_NS6detail17trampoline_kernelINS0_14default_configENS1_21merge_config_selectorINS0_5tupleIJssEEENS0_10empty_typeEEEZNS1_10merge_implIS3_NS0_12zip_iteratorINS5_IJN6thrust23THRUST_200600_302600_NS6detail15normal_iteratorINSC_10device_ptrIKsEEEESI_EEEEESK_NSA_INS5_IJNSC_16discard_iteratorINSC_11use_defaultEEESN_EEEEEPS7_SQ_SQ_NSC_11hip_rocprim7__merge17predicate_wrapperIssNSC_4lessIsEEEEEE10hipError_tPvRmT0_T1_T2_T3_T4_T5_mmT6_P12ihipStream_tbEUlT_E_NS1_11comp_targetILNS1_3genE3ELNS1_11target_archE908ELNS1_3gpuE7ELNS1_3repE0EEENS1_30default_config_static_selectorELNS0_4arch9wavefront6targetE0EEEvS11_
	.p2align	8
	.type	_ZN7rocprim17ROCPRIM_400000_NS6detail17trampoline_kernelINS0_14default_configENS1_21merge_config_selectorINS0_5tupleIJssEEENS0_10empty_typeEEEZNS1_10merge_implIS3_NS0_12zip_iteratorINS5_IJN6thrust23THRUST_200600_302600_NS6detail15normal_iteratorINSC_10device_ptrIKsEEEESI_EEEEESK_NSA_INS5_IJNSC_16discard_iteratorINSC_11use_defaultEEESN_EEEEEPS7_SQ_SQ_NSC_11hip_rocprim7__merge17predicate_wrapperIssNSC_4lessIsEEEEEE10hipError_tPvRmT0_T1_T2_T3_T4_T5_mmT6_P12ihipStream_tbEUlT_E_NS1_11comp_targetILNS1_3genE3ELNS1_11target_archE908ELNS1_3gpuE7ELNS1_3repE0EEENS1_30default_config_static_selectorELNS0_4arch9wavefront6targetE0EEEvS11_,@function
_ZN7rocprim17ROCPRIM_400000_NS6detail17trampoline_kernelINS0_14default_configENS1_21merge_config_selectorINS0_5tupleIJssEEENS0_10empty_typeEEEZNS1_10merge_implIS3_NS0_12zip_iteratorINS5_IJN6thrust23THRUST_200600_302600_NS6detail15normal_iteratorINSC_10device_ptrIKsEEEESI_EEEEESK_NSA_INS5_IJNSC_16discard_iteratorINSC_11use_defaultEEESN_EEEEEPS7_SQ_SQ_NSC_11hip_rocprim7__merge17predicate_wrapperIssNSC_4lessIsEEEEEE10hipError_tPvRmT0_T1_T2_T3_T4_T5_mmT6_P12ihipStream_tbEUlT_E_NS1_11comp_targetILNS1_3genE3ELNS1_11target_archE908ELNS1_3gpuE7ELNS1_3repE0EEENS1_30default_config_static_selectorELNS0_4arch9wavefront6targetE0EEEvS11_: ; @_ZN7rocprim17ROCPRIM_400000_NS6detail17trampoline_kernelINS0_14default_configENS1_21merge_config_selectorINS0_5tupleIJssEEENS0_10empty_typeEEEZNS1_10merge_implIS3_NS0_12zip_iteratorINS5_IJN6thrust23THRUST_200600_302600_NS6detail15normal_iteratorINSC_10device_ptrIKsEEEESI_EEEEESK_NSA_INS5_IJNSC_16discard_iteratorINSC_11use_defaultEEESN_EEEEEPS7_SQ_SQ_NSC_11hip_rocprim7__merge17predicate_wrapperIssNSC_4lessIsEEEEEE10hipError_tPvRmT0_T1_T2_T3_T4_T5_mmT6_P12ihipStream_tbEUlT_E_NS1_11comp_targetILNS1_3genE3ELNS1_11target_archE908ELNS1_3gpuE7ELNS1_3repE0EEENS1_30default_config_static_selectorELNS0_4arch9wavefront6targetE0EEEvS11_
; %bb.0:
	.section	.rodata,"a",@progbits
	.p2align	6, 0x0
	.amdhsa_kernel _ZN7rocprim17ROCPRIM_400000_NS6detail17trampoline_kernelINS0_14default_configENS1_21merge_config_selectorINS0_5tupleIJssEEENS0_10empty_typeEEEZNS1_10merge_implIS3_NS0_12zip_iteratorINS5_IJN6thrust23THRUST_200600_302600_NS6detail15normal_iteratorINSC_10device_ptrIKsEEEESI_EEEEESK_NSA_INS5_IJNSC_16discard_iteratorINSC_11use_defaultEEESN_EEEEEPS7_SQ_SQ_NSC_11hip_rocprim7__merge17predicate_wrapperIssNSC_4lessIsEEEEEE10hipError_tPvRmT0_T1_T2_T3_T4_T5_mmT6_P12ihipStream_tbEUlT_E_NS1_11comp_targetILNS1_3genE3ELNS1_11target_archE908ELNS1_3gpuE7ELNS1_3repE0EEENS1_30default_config_static_selectorELNS0_4arch9wavefront6targetE0EEEvS11_
		.amdhsa_group_segment_fixed_size 0
		.amdhsa_private_segment_fixed_size 0
		.amdhsa_kernarg_size 64
		.amdhsa_user_sgpr_count 2
		.amdhsa_user_sgpr_dispatch_ptr 0
		.amdhsa_user_sgpr_queue_ptr 0
		.amdhsa_user_sgpr_kernarg_segment_ptr 1
		.amdhsa_user_sgpr_dispatch_id 0
		.amdhsa_user_sgpr_kernarg_preload_length 0
		.amdhsa_user_sgpr_kernarg_preload_offset 0
		.amdhsa_user_sgpr_private_segment_size 0
		.amdhsa_wavefront_size32 1
		.amdhsa_uses_dynamic_stack 0
		.amdhsa_enable_private_segment 0
		.amdhsa_system_sgpr_workgroup_id_x 1
		.amdhsa_system_sgpr_workgroup_id_y 0
		.amdhsa_system_sgpr_workgroup_id_z 0
		.amdhsa_system_sgpr_workgroup_info 0
		.amdhsa_system_vgpr_workitem_id 0
		.amdhsa_next_free_vgpr 1
		.amdhsa_next_free_sgpr 1
		.amdhsa_named_barrier_count 0
		.amdhsa_reserve_vcc 0
		.amdhsa_float_round_mode_32 0
		.amdhsa_float_round_mode_16_64 0
		.amdhsa_float_denorm_mode_32 3
		.amdhsa_float_denorm_mode_16_64 3
		.amdhsa_fp16_overflow 0
		.amdhsa_memory_ordered 1
		.amdhsa_forward_progress 1
		.amdhsa_inst_pref_size 0
		.amdhsa_round_robin_scheduling 0
		.amdhsa_exception_fp_ieee_invalid_op 0
		.amdhsa_exception_fp_denorm_src 0
		.amdhsa_exception_fp_ieee_div_zero 0
		.amdhsa_exception_fp_ieee_overflow 0
		.amdhsa_exception_fp_ieee_underflow 0
		.amdhsa_exception_fp_ieee_inexact 0
		.amdhsa_exception_int_div_zero 0
	.end_amdhsa_kernel
	.section	.text._ZN7rocprim17ROCPRIM_400000_NS6detail17trampoline_kernelINS0_14default_configENS1_21merge_config_selectorINS0_5tupleIJssEEENS0_10empty_typeEEEZNS1_10merge_implIS3_NS0_12zip_iteratorINS5_IJN6thrust23THRUST_200600_302600_NS6detail15normal_iteratorINSC_10device_ptrIKsEEEESI_EEEEESK_NSA_INS5_IJNSC_16discard_iteratorINSC_11use_defaultEEESN_EEEEEPS7_SQ_SQ_NSC_11hip_rocprim7__merge17predicate_wrapperIssNSC_4lessIsEEEEEE10hipError_tPvRmT0_T1_T2_T3_T4_T5_mmT6_P12ihipStream_tbEUlT_E_NS1_11comp_targetILNS1_3genE3ELNS1_11target_archE908ELNS1_3gpuE7ELNS1_3repE0EEENS1_30default_config_static_selectorELNS0_4arch9wavefront6targetE0EEEvS11_,"axG",@progbits,_ZN7rocprim17ROCPRIM_400000_NS6detail17trampoline_kernelINS0_14default_configENS1_21merge_config_selectorINS0_5tupleIJssEEENS0_10empty_typeEEEZNS1_10merge_implIS3_NS0_12zip_iteratorINS5_IJN6thrust23THRUST_200600_302600_NS6detail15normal_iteratorINSC_10device_ptrIKsEEEESI_EEEEESK_NSA_INS5_IJNSC_16discard_iteratorINSC_11use_defaultEEESN_EEEEEPS7_SQ_SQ_NSC_11hip_rocprim7__merge17predicate_wrapperIssNSC_4lessIsEEEEEE10hipError_tPvRmT0_T1_T2_T3_T4_T5_mmT6_P12ihipStream_tbEUlT_E_NS1_11comp_targetILNS1_3genE3ELNS1_11target_archE908ELNS1_3gpuE7ELNS1_3repE0EEENS1_30default_config_static_selectorELNS0_4arch9wavefront6targetE0EEEvS11_,comdat
.Lfunc_end608:
	.size	_ZN7rocprim17ROCPRIM_400000_NS6detail17trampoline_kernelINS0_14default_configENS1_21merge_config_selectorINS0_5tupleIJssEEENS0_10empty_typeEEEZNS1_10merge_implIS3_NS0_12zip_iteratorINS5_IJN6thrust23THRUST_200600_302600_NS6detail15normal_iteratorINSC_10device_ptrIKsEEEESI_EEEEESK_NSA_INS5_IJNSC_16discard_iteratorINSC_11use_defaultEEESN_EEEEEPS7_SQ_SQ_NSC_11hip_rocprim7__merge17predicate_wrapperIssNSC_4lessIsEEEEEE10hipError_tPvRmT0_T1_T2_T3_T4_T5_mmT6_P12ihipStream_tbEUlT_E_NS1_11comp_targetILNS1_3genE3ELNS1_11target_archE908ELNS1_3gpuE7ELNS1_3repE0EEENS1_30default_config_static_selectorELNS0_4arch9wavefront6targetE0EEEvS11_, .Lfunc_end608-_ZN7rocprim17ROCPRIM_400000_NS6detail17trampoline_kernelINS0_14default_configENS1_21merge_config_selectorINS0_5tupleIJssEEENS0_10empty_typeEEEZNS1_10merge_implIS3_NS0_12zip_iteratorINS5_IJN6thrust23THRUST_200600_302600_NS6detail15normal_iteratorINSC_10device_ptrIKsEEEESI_EEEEESK_NSA_INS5_IJNSC_16discard_iteratorINSC_11use_defaultEEESN_EEEEEPS7_SQ_SQ_NSC_11hip_rocprim7__merge17predicate_wrapperIssNSC_4lessIsEEEEEE10hipError_tPvRmT0_T1_T2_T3_T4_T5_mmT6_P12ihipStream_tbEUlT_E_NS1_11comp_targetILNS1_3genE3ELNS1_11target_archE908ELNS1_3gpuE7ELNS1_3repE0EEENS1_30default_config_static_selectorELNS0_4arch9wavefront6targetE0EEEvS11_
                                        ; -- End function
	.set _ZN7rocprim17ROCPRIM_400000_NS6detail17trampoline_kernelINS0_14default_configENS1_21merge_config_selectorINS0_5tupleIJssEEENS0_10empty_typeEEEZNS1_10merge_implIS3_NS0_12zip_iteratorINS5_IJN6thrust23THRUST_200600_302600_NS6detail15normal_iteratorINSC_10device_ptrIKsEEEESI_EEEEESK_NSA_INS5_IJNSC_16discard_iteratorINSC_11use_defaultEEESN_EEEEEPS7_SQ_SQ_NSC_11hip_rocprim7__merge17predicate_wrapperIssNSC_4lessIsEEEEEE10hipError_tPvRmT0_T1_T2_T3_T4_T5_mmT6_P12ihipStream_tbEUlT_E_NS1_11comp_targetILNS1_3genE3ELNS1_11target_archE908ELNS1_3gpuE7ELNS1_3repE0EEENS1_30default_config_static_selectorELNS0_4arch9wavefront6targetE0EEEvS11_.num_vgpr, 0
	.set _ZN7rocprim17ROCPRIM_400000_NS6detail17trampoline_kernelINS0_14default_configENS1_21merge_config_selectorINS0_5tupleIJssEEENS0_10empty_typeEEEZNS1_10merge_implIS3_NS0_12zip_iteratorINS5_IJN6thrust23THRUST_200600_302600_NS6detail15normal_iteratorINSC_10device_ptrIKsEEEESI_EEEEESK_NSA_INS5_IJNSC_16discard_iteratorINSC_11use_defaultEEESN_EEEEEPS7_SQ_SQ_NSC_11hip_rocprim7__merge17predicate_wrapperIssNSC_4lessIsEEEEEE10hipError_tPvRmT0_T1_T2_T3_T4_T5_mmT6_P12ihipStream_tbEUlT_E_NS1_11comp_targetILNS1_3genE3ELNS1_11target_archE908ELNS1_3gpuE7ELNS1_3repE0EEENS1_30default_config_static_selectorELNS0_4arch9wavefront6targetE0EEEvS11_.num_agpr, 0
	.set _ZN7rocprim17ROCPRIM_400000_NS6detail17trampoline_kernelINS0_14default_configENS1_21merge_config_selectorINS0_5tupleIJssEEENS0_10empty_typeEEEZNS1_10merge_implIS3_NS0_12zip_iteratorINS5_IJN6thrust23THRUST_200600_302600_NS6detail15normal_iteratorINSC_10device_ptrIKsEEEESI_EEEEESK_NSA_INS5_IJNSC_16discard_iteratorINSC_11use_defaultEEESN_EEEEEPS7_SQ_SQ_NSC_11hip_rocprim7__merge17predicate_wrapperIssNSC_4lessIsEEEEEE10hipError_tPvRmT0_T1_T2_T3_T4_T5_mmT6_P12ihipStream_tbEUlT_E_NS1_11comp_targetILNS1_3genE3ELNS1_11target_archE908ELNS1_3gpuE7ELNS1_3repE0EEENS1_30default_config_static_selectorELNS0_4arch9wavefront6targetE0EEEvS11_.numbered_sgpr, 0
	.set _ZN7rocprim17ROCPRIM_400000_NS6detail17trampoline_kernelINS0_14default_configENS1_21merge_config_selectorINS0_5tupleIJssEEENS0_10empty_typeEEEZNS1_10merge_implIS3_NS0_12zip_iteratorINS5_IJN6thrust23THRUST_200600_302600_NS6detail15normal_iteratorINSC_10device_ptrIKsEEEESI_EEEEESK_NSA_INS5_IJNSC_16discard_iteratorINSC_11use_defaultEEESN_EEEEEPS7_SQ_SQ_NSC_11hip_rocprim7__merge17predicate_wrapperIssNSC_4lessIsEEEEEE10hipError_tPvRmT0_T1_T2_T3_T4_T5_mmT6_P12ihipStream_tbEUlT_E_NS1_11comp_targetILNS1_3genE3ELNS1_11target_archE908ELNS1_3gpuE7ELNS1_3repE0EEENS1_30default_config_static_selectorELNS0_4arch9wavefront6targetE0EEEvS11_.num_named_barrier, 0
	.set _ZN7rocprim17ROCPRIM_400000_NS6detail17trampoline_kernelINS0_14default_configENS1_21merge_config_selectorINS0_5tupleIJssEEENS0_10empty_typeEEEZNS1_10merge_implIS3_NS0_12zip_iteratorINS5_IJN6thrust23THRUST_200600_302600_NS6detail15normal_iteratorINSC_10device_ptrIKsEEEESI_EEEEESK_NSA_INS5_IJNSC_16discard_iteratorINSC_11use_defaultEEESN_EEEEEPS7_SQ_SQ_NSC_11hip_rocprim7__merge17predicate_wrapperIssNSC_4lessIsEEEEEE10hipError_tPvRmT0_T1_T2_T3_T4_T5_mmT6_P12ihipStream_tbEUlT_E_NS1_11comp_targetILNS1_3genE3ELNS1_11target_archE908ELNS1_3gpuE7ELNS1_3repE0EEENS1_30default_config_static_selectorELNS0_4arch9wavefront6targetE0EEEvS11_.private_seg_size, 0
	.set _ZN7rocprim17ROCPRIM_400000_NS6detail17trampoline_kernelINS0_14default_configENS1_21merge_config_selectorINS0_5tupleIJssEEENS0_10empty_typeEEEZNS1_10merge_implIS3_NS0_12zip_iteratorINS5_IJN6thrust23THRUST_200600_302600_NS6detail15normal_iteratorINSC_10device_ptrIKsEEEESI_EEEEESK_NSA_INS5_IJNSC_16discard_iteratorINSC_11use_defaultEEESN_EEEEEPS7_SQ_SQ_NSC_11hip_rocprim7__merge17predicate_wrapperIssNSC_4lessIsEEEEEE10hipError_tPvRmT0_T1_T2_T3_T4_T5_mmT6_P12ihipStream_tbEUlT_E_NS1_11comp_targetILNS1_3genE3ELNS1_11target_archE908ELNS1_3gpuE7ELNS1_3repE0EEENS1_30default_config_static_selectorELNS0_4arch9wavefront6targetE0EEEvS11_.uses_vcc, 0
	.set _ZN7rocprim17ROCPRIM_400000_NS6detail17trampoline_kernelINS0_14default_configENS1_21merge_config_selectorINS0_5tupleIJssEEENS0_10empty_typeEEEZNS1_10merge_implIS3_NS0_12zip_iteratorINS5_IJN6thrust23THRUST_200600_302600_NS6detail15normal_iteratorINSC_10device_ptrIKsEEEESI_EEEEESK_NSA_INS5_IJNSC_16discard_iteratorINSC_11use_defaultEEESN_EEEEEPS7_SQ_SQ_NSC_11hip_rocprim7__merge17predicate_wrapperIssNSC_4lessIsEEEEEE10hipError_tPvRmT0_T1_T2_T3_T4_T5_mmT6_P12ihipStream_tbEUlT_E_NS1_11comp_targetILNS1_3genE3ELNS1_11target_archE908ELNS1_3gpuE7ELNS1_3repE0EEENS1_30default_config_static_selectorELNS0_4arch9wavefront6targetE0EEEvS11_.uses_flat_scratch, 0
	.set _ZN7rocprim17ROCPRIM_400000_NS6detail17trampoline_kernelINS0_14default_configENS1_21merge_config_selectorINS0_5tupleIJssEEENS0_10empty_typeEEEZNS1_10merge_implIS3_NS0_12zip_iteratorINS5_IJN6thrust23THRUST_200600_302600_NS6detail15normal_iteratorINSC_10device_ptrIKsEEEESI_EEEEESK_NSA_INS5_IJNSC_16discard_iteratorINSC_11use_defaultEEESN_EEEEEPS7_SQ_SQ_NSC_11hip_rocprim7__merge17predicate_wrapperIssNSC_4lessIsEEEEEE10hipError_tPvRmT0_T1_T2_T3_T4_T5_mmT6_P12ihipStream_tbEUlT_E_NS1_11comp_targetILNS1_3genE3ELNS1_11target_archE908ELNS1_3gpuE7ELNS1_3repE0EEENS1_30default_config_static_selectorELNS0_4arch9wavefront6targetE0EEEvS11_.has_dyn_sized_stack, 0
	.set _ZN7rocprim17ROCPRIM_400000_NS6detail17trampoline_kernelINS0_14default_configENS1_21merge_config_selectorINS0_5tupleIJssEEENS0_10empty_typeEEEZNS1_10merge_implIS3_NS0_12zip_iteratorINS5_IJN6thrust23THRUST_200600_302600_NS6detail15normal_iteratorINSC_10device_ptrIKsEEEESI_EEEEESK_NSA_INS5_IJNSC_16discard_iteratorINSC_11use_defaultEEESN_EEEEEPS7_SQ_SQ_NSC_11hip_rocprim7__merge17predicate_wrapperIssNSC_4lessIsEEEEEE10hipError_tPvRmT0_T1_T2_T3_T4_T5_mmT6_P12ihipStream_tbEUlT_E_NS1_11comp_targetILNS1_3genE3ELNS1_11target_archE908ELNS1_3gpuE7ELNS1_3repE0EEENS1_30default_config_static_selectorELNS0_4arch9wavefront6targetE0EEEvS11_.has_recursion, 0
	.set _ZN7rocprim17ROCPRIM_400000_NS6detail17trampoline_kernelINS0_14default_configENS1_21merge_config_selectorINS0_5tupleIJssEEENS0_10empty_typeEEEZNS1_10merge_implIS3_NS0_12zip_iteratorINS5_IJN6thrust23THRUST_200600_302600_NS6detail15normal_iteratorINSC_10device_ptrIKsEEEESI_EEEEESK_NSA_INS5_IJNSC_16discard_iteratorINSC_11use_defaultEEESN_EEEEEPS7_SQ_SQ_NSC_11hip_rocprim7__merge17predicate_wrapperIssNSC_4lessIsEEEEEE10hipError_tPvRmT0_T1_T2_T3_T4_T5_mmT6_P12ihipStream_tbEUlT_E_NS1_11comp_targetILNS1_3genE3ELNS1_11target_archE908ELNS1_3gpuE7ELNS1_3repE0EEENS1_30default_config_static_selectorELNS0_4arch9wavefront6targetE0EEEvS11_.has_indirect_call, 0
	.section	.AMDGPU.csdata,"",@progbits
; Kernel info:
; codeLenInByte = 0
; TotalNumSgprs: 0
; NumVgprs: 0
; ScratchSize: 0
; MemoryBound: 0
; FloatMode: 240
; IeeeMode: 1
; LDSByteSize: 0 bytes/workgroup (compile time only)
; SGPRBlocks: 0
; VGPRBlocks: 0
; NumSGPRsForWavesPerEU: 1
; NumVGPRsForWavesPerEU: 1
; NamedBarCnt: 0
; Occupancy: 16
; WaveLimiterHint : 0
; COMPUTE_PGM_RSRC2:SCRATCH_EN: 0
; COMPUTE_PGM_RSRC2:USER_SGPR: 2
; COMPUTE_PGM_RSRC2:TRAP_HANDLER: 0
; COMPUTE_PGM_RSRC2:TGID_X_EN: 1
; COMPUTE_PGM_RSRC2:TGID_Y_EN: 0
; COMPUTE_PGM_RSRC2:TGID_Z_EN: 0
; COMPUTE_PGM_RSRC2:TIDIG_COMP_CNT: 0
	.section	.text._ZN7rocprim17ROCPRIM_400000_NS6detail17trampoline_kernelINS0_14default_configENS1_21merge_config_selectorINS0_5tupleIJssEEENS0_10empty_typeEEEZNS1_10merge_implIS3_NS0_12zip_iteratorINS5_IJN6thrust23THRUST_200600_302600_NS6detail15normal_iteratorINSC_10device_ptrIKsEEEESI_EEEEESK_NSA_INS5_IJNSC_16discard_iteratorINSC_11use_defaultEEESN_EEEEEPS7_SQ_SQ_NSC_11hip_rocprim7__merge17predicate_wrapperIssNSC_4lessIsEEEEEE10hipError_tPvRmT0_T1_T2_T3_T4_T5_mmT6_P12ihipStream_tbEUlT_E_NS1_11comp_targetILNS1_3genE2ELNS1_11target_archE906ELNS1_3gpuE6ELNS1_3repE0EEENS1_30default_config_static_selectorELNS0_4arch9wavefront6targetE0EEEvS11_,"axG",@progbits,_ZN7rocprim17ROCPRIM_400000_NS6detail17trampoline_kernelINS0_14default_configENS1_21merge_config_selectorINS0_5tupleIJssEEENS0_10empty_typeEEEZNS1_10merge_implIS3_NS0_12zip_iteratorINS5_IJN6thrust23THRUST_200600_302600_NS6detail15normal_iteratorINSC_10device_ptrIKsEEEESI_EEEEESK_NSA_INS5_IJNSC_16discard_iteratorINSC_11use_defaultEEESN_EEEEEPS7_SQ_SQ_NSC_11hip_rocprim7__merge17predicate_wrapperIssNSC_4lessIsEEEEEE10hipError_tPvRmT0_T1_T2_T3_T4_T5_mmT6_P12ihipStream_tbEUlT_E_NS1_11comp_targetILNS1_3genE2ELNS1_11target_archE906ELNS1_3gpuE6ELNS1_3repE0EEENS1_30default_config_static_selectorELNS0_4arch9wavefront6targetE0EEEvS11_,comdat
	.protected	_ZN7rocprim17ROCPRIM_400000_NS6detail17trampoline_kernelINS0_14default_configENS1_21merge_config_selectorINS0_5tupleIJssEEENS0_10empty_typeEEEZNS1_10merge_implIS3_NS0_12zip_iteratorINS5_IJN6thrust23THRUST_200600_302600_NS6detail15normal_iteratorINSC_10device_ptrIKsEEEESI_EEEEESK_NSA_INS5_IJNSC_16discard_iteratorINSC_11use_defaultEEESN_EEEEEPS7_SQ_SQ_NSC_11hip_rocprim7__merge17predicate_wrapperIssNSC_4lessIsEEEEEE10hipError_tPvRmT0_T1_T2_T3_T4_T5_mmT6_P12ihipStream_tbEUlT_E_NS1_11comp_targetILNS1_3genE2ELNS1_11target_archE906ELNS1_3gpuE6ELNS1_3repE0EEENS1_30default_config_static_selectorELNS0_4arch9wavefront6targetE0EEEvS11_ ; -- Begin function _ZN7rocprim17ROCPRIM_400000_NS6detail17trampoline_kernelINS0_14default_configENS1_21merge_config_selectorINS0_5tupleIJssEEENS0_10empty_typeEEEZNS1_10merge_implIS3_NS0_12zip_iteratorINS5_IJN6thrust23THRUST_200600_302600_NS6detail15normal_iteratorINSC_10device_ptrIKsEEEESI_EEEEESK_NSA_INS5_IJNSC_16discard_iteratorINSC_11use_defaultEEESN_EEEEEPS7_SQ_SQ_NSC_11hip_rocprim7__merge17predicate_wrapperIssNSC_4lessIsEEEEEE10hipError_tPvRmT0_T1_T2_T3_T4_T5_mmT6_P12ihipStream_tbEUlT_E_NS1_11comp_targetILNS1_3genE2ELNS1_11target_archE906ELNS1_3gpuE6ELNS1_3repE0EEENS1_30default_config_static_selectorELNS0_4arch9wavefront6targetE0EEEvS11_
	.globl	_ZN7rocprim17ROCPRIM_400000_NS6detail17trampoline_kernelINS0_14default_configENS1_21merge_config_selectorINS0_5tupleIJssEEENS0_10empty_typeEEEZNS1_10merge_implIS3_NS0_12zip_iteratorINS5_IJN6thrust23THRUST_200600_302600_NS6detail15normal_iteratorINSC_10device_ptrIKsEEEESI_EEEEESK_NSA_INS5_IJNSC_16discard_iteratorINSC_11use_defaultEEESN_EEEEEPS7_SQ_SQ_NSC_11hip_rocprim7__merge17predicate_wrapperIssNSC_4lessIsEEEEEE10hipError_tPvRmT0_T1_T2_T3_T4_T5_mmT6_P12ihipStream_tbEUlT_E_NS1_11comp_targetILNS1_3genE2ELNS1_11target_archE906ELNS1_3gpuE6ELNS1_3repE0EEENS1_30default_config_static_selectorELNS0_4arch9wavefront6targetE0EEEvS11_
	.p2align	8
	.type	_ZN7rocprim17ROCPRIM_400000_NS6detail17trampoline_kernelINS0_14default_configENS1_21merge_config_selectorINS0_5tupleIJssEEENS0_10empty_typeEEEZNS1_10merge_implIS3_NS0_12zip_iteratorINS5_IJN6thrust23THRUST_200600_302600_NS6detail15normal_iteratorINSC_10device_ptrIKsEEEESI_EEEEESK_NSA_INS5_IJNSC_16discard_iteratorINSC_11use_defaultEEESN_EEEEEPS7_SQ_SQ_NSC_11hip_rocprim7__merge17predicate_wrapperIssNSC_4lessIsEEEEEE10hipError_tPvRmT0_T1_T2_T3_T4_T5_mmT6_P12ihipStream_tbEUlT_E_NS1_11comp_targetILNS1_3genE2ELNS1_11target_archE906ELNS1_3gpuE6ELNS1_3repE0EEENS1_30default_config_static_selectorELNS0_4arch9wavefront6targetE0EEEvS11_,@function
_ZN7rocprim17ROCPRIM_400000_NS6detail17trampoline_kernelINS0_14default_configENS1_21merge_config_selectorINS0_5tupleIJssEEENS0_10empty_typeEEEZNS1_10merge_implIS3_NS0_12zip_iteratorINS5_IJN6thrust23THRUST_200600_302600_NS6detail15normal_iteratorINSC_10device_ptrIKsEEEESI_EEEEESK_NSA_INS5_IJNSC_16discard_iteratorINSC_11use_defaultEEESN_EEEEEPS7_SQ_SQ_NSC_11hip_rocprim7__merge17predicate_wrapperIssNSC_4lessIsEEEEEE10hipError_tPvRmT0_T1_T2_T3_T4_T5_mmT6_P12ihipStream_tbEUlT_E_NS1_11comp_targetILNS1_3genE2ELNS1_11target_archE906ELNS1_3gpuE6ELNS1_3repE0EEENS1_30default_config_static_selectorELNS0_4arch9wavefront6targetE0EEEvS11_: ; @_ZN7rocprim17ROCPRIM_400000_NS6detail17trampoline_kernelINS0_14default_configENS1_21merge_config_selectorINS0_5tupleIJssEEENS0_10empty_typeEEEZNS1_10merge_implIS3_NS0_12zip_iteratorINS5_IJN6thrust23THRUST_200600_302600_NS6detail15normal_iteratorINSC_10device_ptrIKsEEEESI_EEEEESK_NSA_INS5_IJNSC_16discard_iteratorINSC_11use_defaultEEESN_EEEEEPS7_SQ_SQ_NSC_11hip_rocprim7__merge17predicate_wrapperIssNSC_4lessIsEEEEEE10hipError_tPvRmT0_T1_T2_T3_T4_T5_mmT6_P12ihipStream_tbEUlT_E_NS1_11comp_targetILNS1_3genE2ELNS1_11target_archE906ELNS1_3gpuE6ELNS1_3repE0EEENS1_30default_config_static_selectorELNS0_4arch9wavefront6targetE0EEEvS11_
; %bb.0:
	.section	.rodata,"a",@progbits
	.p2align	6, 0x0
	.amdhsa_kernel _ZN7rocprim17ROCPRIM_400000_NS6detail17trampoline_kernelINS0_14default_configENS1_21merge_config_selectorINS0_5tupleIJssEEENS0_10empty_typeEEEZNS1_10merge_implIS3_NS0_12zip_iteratorINS5_IJN6thrust23THRUST_200600_302600_NS6detail15normal_iteratorINSC_10device_ptrIKsEEEESI_EEEEESK_NSA_INS5_IJNSC_16discard_iteratorINSC_11use_defaultEEESN_EEEEEPS7_SQ_SQ_NSC_11hip_rocprim7__merge17predicate_wrapperIssNSC_4lessIsEEEEEE10hipError_tPvRmT0_T1_T2_T3_T4_T5_mmT6_P12ihipStream_tbEUlT_E_NS1_11comp_targetILNS1_3genE2ELNS1_11target_archE906ELNS1_3gpuE6ELNS1_3repE0EEENS1_30default_config_static_selectorELNS0_4arch9wavefront6targetE0EEEvS11_
		.amdhsa_group_segment_fixed_size 0
		.amdhsa_private_segment_fixed_size 0
		.amdhsa_kernarg_size 64
		.amdhsa_user_sgpr_count 2
		.amdhsa_user_sgpr_dispatch_ptr 0
		.amdhsa_user_sgpr_queue_ptr 0
		.amdhsa_user_sgpr_kernarg_segment_ptr 1
		.amdhsa_user_sgpr_dispatch_id 0
		.amdhsa_user_sgpr_kernarg_preload_length 0
		.amdhsa_user_sgpr_kernarg_preload_offset 0
		.amdhsa_user_sgpr_private_segment_size 0
		.amdhsa_wavefront_size32 1
		.amdhsa_uses_dynamic_stack 0
		.amdhsa_enable_private_segment 0
		.amdhsa_system_sgpr_workgroup_id_x 1
		.amdhsa_system_sgpr_workgroup_id_y 0
		.amdhsa_system_sgpr_workgroup_id_z 0
		.amdhsa_system_sgpr_workgroup_info 0
		.amdhsa_system_vgpr_workitem_id 0
		.amdhsa_next_free_vgpr 1
		.amdhsa_next_free_sgpr 1
		.amdhsa_named_barrier_count 0
		.amdhsa_reserve_vcc 0
		.amdhsa_float_round_mode_32 0
		.amdhsa_float_round_mode_16_64 0
		.amdhsa_float_denorm_mode_32 3
		.amdhsa_float_denorm_mode_16_64 3
		.amdhsa_fp16_overflow 0
		.amdhsa_memory_ordered 1
		.amdhsa_forward_progress 1
		.amdhsa_inst_pref_size 0
		.amdhsa_round_robin_scheduling 0
		.amdhsa_exception_fp_ieee_invalid_op 0
		.amdhsa_exception_fp_denorm_src 0
		.amdhsa_exception_fp_ieee_div_zero 0
		.amdhsa_exception_fp_ieee_overflow 0
		.amdhsa_exception_fp_ieee_underflow 0
		.amdhsa_exception_fp_ieee_inexact 0
		.amdhsa_exception_int_div_zero 0
	.end_amdhsa_kernel
	.section	.text._ZN7rocprim17ROCPRIM_400000_NS6detail17trampoline_kernelINS0_14default_configENS1_21merge_config_selectorINS0_5tupleIJssEEENS0_10empty_typeEEEZNS1_10merge_implIS3_NS0_12zip_iteratorINS5_IJN6thrust23THRUST_200600_302600_NS6detail15normal_iteratorINSC_10device_ptrIKsEEEESI_EEEEESK_NSA_INS5_IJNSC_16discard_iteratorINSC_11use_defaultEEESN_EEEEEPS7_SQ_SQ_NSC_11hip_rocprim7__merge17predicate_wrapperIssNSC_4lessIsEEEEEE10hipError_tPvRmT0_T1_T2_T3_T4_T5_mmT6_P12ihipStream_tbEUlT_E_NS1_11comp_targetILNS1_3genE2ELNS1_11target_archE906ELNS1_3gpuE6ELNS1_3repE0EEENS1_30default_config_static_selectorELNS0_4arch9wavefront6targetE0EEEvS11_,"axG",@progbits,_ZN7rocprim17ROCPRIM_400000_NS6detail17trampoline_kernelINS0_14default_configENS1_21merge_config_selectorINS0_5tupleIJssEEENS0_10empty_typeEEEZNS1_10merge_implIS3_NS0_12zip_iteratorINS5_IJN6thrust23THRUST_200600_302600_NS6detail15normal_iteratorINSC_10device_ptrIKsEEEESI_EEEEESK_NSA_INS5_IJNSC_16discard_iteratorINSC_11use_defaultEEESN_EEEEEPS7_SQ_SQ_NSC_11hip_rocprim7__merge17predicate_wrapperIssNSC_4lessIsEEEEEE10hipError_tPvRmT0_T1_T2_T3_T4_T5_mmT6_P12ihipStream_tbEUlT_E_NS1_11comp_targetILNS1_3genE2ELNS1_11target_archE906ELNS1_3gpuE6ELNS1_3repE0EEENS1_30default_config_static_selectorELNS0_4arch9wavefront6targetE0EEEvS11_,comdat
.Lfunc_end609:
	.size	_ZN7rocprim17ROCPRIM_400000_NS6detail17trampoline_kernelINS0_14default_configENS1_21merge_config_selectorINS0_5tupleIJssEEENS0_10empty_typeEEEZNS1_10merge_implIS3_NS0_12zip_iteratorINS5_IJN6thrust23THRUST_200600_302600_NS6detail15normal_iteratorINSC_10device_ptrIKsEEEESI_EEEEESK_NSA_INS5_IJNSC_16discard_iteratorINSC_11use_defaultEEESN_EEEEEPS7_SQ_SQ_NSC_11hip_rocprim7__merge17predicate_wrapperIssNSC_4lessIsEEEEEE10hipError_tPvRmT0_T1_T2_T3_T4_T5_mmT6_P12ihipStream_tbEUlT_E_NS1_11comp_targetILNS1_3genE2ELNS1_11target_archE906ELNS1_3gpuE6ELNS1_3repE0EEENS1_30default_config_static_selectorELNS0_4arch9wavefront6targetE0EEEvS11_, .Lfunc_end609-_ZN7rocprim17ROCPRIM_400000_NS6detail17trampoline_kernelINS0_14default_configENS1_21merge_config_selectorINS0_5tupleIJssEEENS0_10empty_typeEEEZNS1_10merge_implIS3_NS0_12zip_iteratorINS5_IJN6thrust23THRUST_200600_302600_NS6detail15normal_iteratorINSC_10device_ptrIKsEEEESI_EEEEESK_NSA_INS5_IJNSC_16discard_iteratorINSC_11use_defaultEEESN_EEEEEPS7_SQ_SQ_NSC_11hip_rocprim7__merge17predicate_wrapperIssNSC_4lessIsEEEEEE10hipError_tPvRmT0_T1_T2_T3_T4_T5_mmT6_P12ihipStream_tbEUlT_E_NS1_11comp_targetILNS1_3genE2ELNS1_11target_archE906ELNS1_3gpuE6ELNS1_3repE0EEENS1_30default_config_static_selectorELNS0_4arch9wavefront6targetE0EEEvS11_
                                        ; -- End function
	.set _ZN7rocprim17ROCPRIM_400000_NS6detail17trampoline_kernelINS0_14default_configENS1_21merge_config_selectorINS0_5tupleIJssEEENS0_10empty_typeEEEZNS1_10merge_implIS3_NS0_12zip_iteratorINS5_IJN6thrust23THRUST_200600_302600_NS6detail15normal_iteratorINSC_10device_ptrIKsEEEESI_EEEEESK_NSA_INS5_IJNSC_16discard_iteratorINSC_11use_defaultEEESN_EEEEEPS7_SQ_SQ_NSC_11hip_rocprim7__merge17predicate_wrapperIssNSC_4lessIsEEEEEE10hipError_tPvRmT0_T1_T2_T3_T4_T5_mmT6_P12ihipStream_tbEUlT_E_NS1_11comp_targetILNS1_3genE2ELNS1_11target_archE906ELNS1_3gpuE6ELNS1_3repE0EEENS1_30default_config_static_selectorELNS0_4arch9wavefront6targetE0EEEvS11_.num_vgpr, 0
	.set _ZN7rocprim17ROCPRIM_400000_NS6detail17trampoline_kernelINS0_14default_configENS1_21merge_config_selectorINS0_5tupleIJssEEENS0_10empty_typeEEEZNS1_10merge_implIS3_NS0_12zip_iteratorINS5_IJN6thrust23THRUST_200600_302600_NS6detail15normal_iteratorINSC_10device_ptrIKsEEEESI_EEEEESK_NSA_INS5_IJNSC_16discard_iteratorINSC_11use_defaultEEESN_EEEEEPS7_SQ_SQ_NSC_11hip_rocprim7__merge17predicate_wrapperIssNSC_4lessIsEEEEEE10hipError_tPvRmT0_T1_T2_T3_T4_T5_mmT6_P12ihipStream_tbEUlT_E_NS1_11comp_targetILNS1_3genE2ELNS1_11target_archE906ELNS1_3gpuE6ELNS1_3repE0EEENS1_30default_config_static_selectorELNS0_4arch9wavefront6targetE0EEEvS11_.num_agpr, 0
	.set _ZN7rocprim17ROCPRIM_400000_NS6detail17trampoline_kernelINS0_14default_configENS1_21merge_config_selectorINS0_5tupleIJssEEENS0_10empty_typeEEEZNS1_10merge_implIS3_NS0_12zip_iteratorINS5_IJN6thrust23THRUST_200600_302600_NS6detail15normal_iteratorINSC_10device_ptrIKsEEEESI_EEEEESK_NSA_INS5_IJNSC_16discard_iteratorINSC_11use_defaultEEESN_EEEEEPS7_SQ_SQ_NSC_11hip_rocprim7__merge17predicate_wrapperIssNSC_4lessIsEEEEEE10hipError_tPvRmT0_T1_T2_T3_T4_T5_mmT6_P12ihipStream_tbEUlT_E_NS1_11comp_targetILNS1_3genE2ELNS1_11target_archE906ELNS1_3gpuE6ELNS1_3repE0EEENS1_30default_config_static_selectorELNS0_4arch9wavefront6targetE0EEEvS11_.numbered_sgpr, 0
	.set _ZN7rocprim17ROCPRIM_400000_NS6detail17trampoline_kernelINS0_14default_configENS1_21merge_config_selectorINS0_5tupleIJssEEENS0_10empty_typeEEEZNS1_10merge_implIS3_NS0_12zip_iteratorINS5_IJN6thrust23THRUST_200600_302600_NS6detail15normal_iteratorINSC_10device_ptrIKsEEEESI_EEEEESK_NSA_INS5_IJNSC_16discard_iteratorINSC_11use_defaultEEESN_EEEEEPS7_SQ_SQ_NSC_11hip_rocprim7__merge17predicate_wrapperIssNSC_4lessIsEEEEEE10hipError_tPvRmT0_T1_T2_T3_T4_T5_mmT6_P12ihipStream_tbEUlT_E_NS1_11comp_targetILNS1_3genE2ELNS1_11target_archE906ELNS1_3gpuE6ELNS1_3repE0EEENS1_30default_config_static_selectorELNS0_4arch9wavefront6targetE0EEEvS11_.num_named_barrier, 0
	.set _ZN7rocprim17ROCPRIM_400000_NS6detail17trampoline_kernelINS0_14default_configENS1_21merge_config_selectorINS0_5tupleIJssEEENS0_10empty_typeEEEZNS1_10merge_implIS3_NS0_12zip_iteratorINS5_IJN6thrust23THRUST_200600_302600_NS6detail15normal_iteratorINSC_10device_ptrIKsEEEESI_EEEEESK_NSA_INS5_IJNSC_16discard_iteratorINSC_11use_defaultEEESN_EEEEEPS7_SQ_SQ_NSC_11hip_rocprim7__merge17predicate_wrapperIssNSC_4lessIsEEEEEE10hipError_tPvRmT0_T1_T2_T3_T4_T5_mmT6_P12ihipStream_tbEUlT_E_NS1_11comp_targetILNS1_3genE2ELNS1_11target_archE906ELNS1_3gpuE6ELNS1_3repE0EEENS1_30default_config_static_selectorELNS0_4arch9wavefront6targetE0EEEvS11_.private_seg_size, 0
	.set _ZN7rocprim17ROCPRIM_400000_NS6detail17trampoline_kernelINS0_14default_configENS1_21merge_config_selectorINS0_5tupleIJssEEENS0_10empty_typeEEEZNS1_10merge_implIS3_NS0_12zip_iteratorINS5_IJN6thrust23THRUST_200600_302600_NS6detail15normal_iteratorINSC_10device_ptrIKsEEEESI_EEEEESK_NSA_INS5_IJNSC_16discard_iteratorINSC_11use_defaultEEESN_EEEEEPS7_SQ_SQ_NSC_11hip_rocprim7__merge17predicate_wrapperIssNSC_4lessIsEEEEEE10hipError_tPvRmT0_T1_T2_T3_T4_T5_mmT6_P12ihipStream_tbEUlT_E_NS1_11comp_targetILNS1_3genE2ELNS1_11target_archE906ELNS1_3gpuE6ELNS1_3repE0EEENS1_30default_config_static_selectorELNS0_4arch9wavefront6targetE0EEEvS11_.uses_vcc, 0
	.set _ZN7rocprim17ROCPRIM_400000_NS6detail17trampoline_kernelINS0_14default_configENS1_21merge_config_selectorINS0_5tupleIJssEEENS0_10empty_typeEEEZNS1_10merge_implIS3_NS0_12zip_iteratorINS5_IJN6thrust23THRUST_200600_302600_NS6detail15normal_iteratorINSC_10device_ptrIKsEEEESI_EEEEESK_NSA_INS5_IJNSC_16discard_iteratorINSC_11use_defaultEEESN_EEEEEPS7_SQ_SQ_NSC_11hip_rocprim7__merge17predicate_wrapperIssNSC_4lessIsEEEEEE10hipError_tPvRmT0_T1_T2_T3_T4_T5_mmT6_P12ihipStream_tbEUlT_E_NS1_11comp_targetILNS1_3genE2ELNS1_11target_archE906ELNS1_3gpuE6ELNS1_3repE0EEENS1_30default_config_static_selectorELNS0_4arch9wavefront6targetE0EEEvS11_.uses_flat_scratch, 0
	.set _ZN7rocprim17ROCPRIM_400000_NS6detail17trampoline_kernelINS0_14default_configENS1_21merge_config_selectorINS0_5tupleIJssEEENS0_10empty_typeEEEZNS1_10merge_implIS3_NS0_12zip_iteratorINS5_IJN6thrust23THRUST_200600_302600_NS6detail15normal_iteratorINSC_10device_ptrIKsEEEESI_EEEEESK_NSA_INS5_IJNSC_16discard_iteratorINSC_11use_defaultEEESN_EEEEEPS7_SQ_SQ_NSC_11hip_rocprim7__merge17predicate_wrapperIssNSC_4lessIsEEEEEE10hipError_tPvRmT0_T1_T2_T3_T4_T5_mmT6_P12ihipStream_tbEUlT_E_NS1_11comp_targetILNS1_3genE2ELNS1_11target_archE906ELNS1_3gpuE6ELNS1_3repE0EEENS1_30default_config_static_selectorELNS0_4arch9wavefront6targetE0EEEvS11_.has_dyn_sized_stack, 0
	.set _ZN7rocprim17ROCPRIM_400000_NS6detail17trampoline_kernelINS0_14default_configENS1_21merge_config_selectorINS0_5tupleIJssEEENS0_10empty_typeEEEZNS1_10merge_implIS3_NS0_12zip_iteratorINS5_IJN6thrust23THRUST_200600_302600_NS6detail15normal_iteratorINSC_10device_ptrIKsEEEESI_EEEEESK_NSA_INS5_IJNSC_16discard_iteratorINSC_11use_defaultEEESN_EEEEEPS7_SQ_SQ_NSC_11hip_rocprim7__merge17predicate_wrapperIssNSC_4lessIsEEEEEE10hipError_tPvRmT0_T1_T2_T3_T4_T5_mmT6_P12ihipStream_tbEUlT_E_NS1_11comp_targetILNS1_3genE2ELNS1_11target_archE906ELNS1_3gpuE6ELNS1_3repE0EEENS1_30default_config_static_selectorELNS0_4arch9wavefront6targetE0EEEvS11_.has_recursion, 0
	.set _ZN7rocprim17ROCPRIM_400000_NS6detail17trampoline_kernelINS0_14default_configENS1_21merge_config_selectorINS0_5tupleIJssEEENS0_10empty_typeEEEZNS1_10merge_implIS3_NS0_12zip_iteratorINS5_IJN6thrust23THRUST_200600_302600_NS6detail15normal_iteratorINSC_10device_ptrIKsEEEESI_EEEEESK_NSA_INS5_IJNSC_16discard_iteratorINSC_11use_defaultEEESN_EEEEEPS7_SQ_SQ_NSC_11hip_rocprim7__merge17predicate_wrapperIssNSC_4lessIsEEEEEE10hipError_tPvRmT0_T1_T2_T3_T4_T5_mmT6_P12ihipStream_tbEUlT_E_NS1_11comp_targetILNS1_3genE2ELNS1_11target_archE906ELNS1_3gpuE6ELNS1_3repE0EEENS1_30default_config_static_selectorELNS0_4arch9wavefront6targetE0EEEvS11_.has_indirect_call, 0
	.section	.AMDGPU.csdata,"",@progbits
; Kernel info:
; codeLenInByte = 0
; TotalNumSgprs: 0
; NumVgprs: 0
; ScratchSize: 0
; MemoryBound: 0
; FloatMode: 240
; IeeeMode: 1
; LDSByteSize: 0 bytes/workgroup (compile time only)
; SGPRBlocks: 0
; VGPRBlocks: 0
; NumSGPRsForWavesPerEU: 1
; NumVGPRsForWavesPerEU: 1
; NamedBarCnt: 0
; Occupancy: 16
; WaveLimiterHint : 0
; COMPUTE_PGM_RSRC2:SCRATCH_EN: 0
; COMPUTE_PGM_RSRC2:USER_SGPR: 2
; COMPUTE_PGM_RSRC2:TRAP_HANDLER: 0
; COMPUTE_PGM_RSRC2:TGID_X_EN: 1
; COMPUTE_PGM_RSRC2:TGID_Y_EN: 0
; COMPUTE_PGM_RSRC2:TGID_Z_EN: 0
; COMPUTE_PGM_RSRC2:TIDIG_COMP_CNT: 0
	.section	.text._ZN7rocprim17ROCPRIM_400000_NS6detail17trampoline_kernelINS0_14default_configENS1_21merge_config_selectorINS0_5tupleIJssEEENS0_10empty_typeEEEZNS1_10merge_implIS3_NS0_12zip_iteratorINS5_IJN6thrust23THRUST_200600_302600_NS6detail15normal_iteratorINSC_10device_ptrIKsEEEESI_EEEEESK_NSA_INS5_IJNSC_16discard_iteratorINSC_11use_defaultEEESN_EEEEEPS7_SQ_SQ_NSC_11hip_rocprim7__merge17predicate_wrapperIssNSC_4lessIsEEEEEE10hipError_tPvRmT0_T1_T2_T3_T4_T5_mmT6_P12ihipStream_tbEUlT_E_NS1_11comp_targetILNS1_3genE10ELNS1_11target_archE1201ELNS1_3gpuE5ELNS1_3repE0EEENS1_30default_config_static_selectorELNS0_4arch9wavefront6targetE0EEEvS11_,"axG",@progbits,_ZN7rocprim17ROCPRIM_400000_NS6detail17trampoline_kernelINS0_14default_configENS1_21merge_config_selectorINS0_5tupleIJssEEENS0_10empty_typeEEEZNS1_10merge_implIS3_NS0_12zip_iteratorINS5_IJN6thrust23THRUST_200600_302600_NS6detail15normal_iteratorINSC_10device_ptrIKsEEEESI_EEEEESK_NSA_INS5_IJNSC_16discard_iteratorINSC_11use_defaultEEESN_EEEEEPS7_SQ_SQ_NSC_11hip_rocprim7__merge17predicate_wrapperIssNSC_4lessIsEEEEEE10hipError_tPvRmT0_T1_T2_T3_T4_T5_mmT6_P12ihipStream_tbEUlT_E_NS1_11comp_targetILNS1_3genE10ELNS1_11target_archE1201ELNS1_3gpuE5ELNS1_3repE0EEENS1_30default_config_static_selectorELNS0_4arch9wavefront6targetE0EEEvS11_,comdat
	.protected	_ZN7rocprim17ROCPRIM_400000_NS6detail17trampoline_kernelINS0_14default_configENS1_21merge_config_selectorINS0_5tupleIJssEEENS0_10empty_typeEEEZNS1_10merge_implIS3_NS0_12zip_iteratorINS5_IJN6thrust23THRUST_200600_302600_NS6detail15normal_iteratorINSC_10device_ptrIKsEEEESI_EEEEESK_NSA_INS5_IJNSC_16discard_iteratorINSC_11use_defaultEEESN_EEEEEPS7_SQ_SQ_NSC_11hip_rocprim7__merge17predicate_wrapperIssNSC_4lessIsEEEEEE10hipError_tPvRmT0_T1_T2_T3_T4_T5_mmT6_P12ihipStream_tbEUlT_E_NS1_11comp_targetILNS1_3genE10ELNS1_11target_archE1201ELNS1_3gpuE5ELNS1_3repE0EEENS1_30default_config_static_selectorELNS0_4arch9wavefront6targetE0EEEvS11_ ; -- Begin function _ZN7rocprim17ROCPRIM_400000_NS6detail17trampoline_kernelINS0_14default_configENS1_21merge_config_selectorINS0_5tupleIJssEEENS0_10empty_typeEEEZNS1_10merge_implIS3_NS0_12zip_iteratorINS5_IJN6thrust23THRUST_200600_302600_NS6detail15normal_iteratorINSC_10device_ptrIKsEEEESI_EEEEESK_NSA_INS5_IJNSC_16discard_iteratorINSC_11use_defaultEEESN_EEEEEPS7_SQ_SQ_NSC_11hip_rocprim7__merge17predicate_wrapperIssNSC_4lessIsEEEEEE10hipError_tPvRmT0_T1_T2_T3_T4_T5_mmT6_P12ihipStream_tbEUlT_E_NS1_11comp_targetILNS1_3genE10ELNS1_11target_archE1201ELNS1_3gpuE5ELNS1_3repE0EEENS1_30default_config_static_selectorELNS0_4arch9wavefront6targetE0EEEvS11_
	.globl	_ZN7rocprim17ROCPRIM_400000_NS6detail17trampoline_kernelINS0_14default_configENS1_21merge_config_selectorINS0_5tupleIJssEEENS0_10empty_typeEEEZNS1_10merge_implIS3_NS0_12zip_iteratorINS5_IJN6thrust23THRUST_200600_302600_NS6detail15normal_iteratorINSC_10device_ptrIKsEEEESI_EEEEESK_NSA_INS5_IJNSC_16discard_iteratorINSC_11use_defaultEEESN_EEEEEPS7_SQ_SQ_NSC_11hip_rocprim7__merge17predicate_wrapperIssNSC_4lessIsEEEEEE10hipError_tPvRmT0_T1_T2_T3_T4_T5_mmT6_P12ihipStream_tbEUlT_E_NS1_11comp_targetILNS1_3genE10ELNS1_11target_archE1201ELNS1_3gpuE5ELNS1_3repE0EEENS1_30default_config_static_selectorELNS0_4arch9wavefront6targetE0EEEvS11_
	.p2align	8
	.type	_ZN7rocprim17ROCPRIM_400000_NS6detail17trampoline_kernelINS0_14default_configENS1_21merge_config_selectorINS0_5tupleIJssEEENS0_10empty_typeEEEZNS1_10merge_implIS3_NS0_12zip_iteratorINS5_IJN6thrust23THRUST_200600_302600_NS6detail15normal_iteratorINSC_10device_ptrIKsEEEESI_EEEEESK_NSA_INS5_IJNSC_16discard_iteratorINSC_11use_defaultEEESN_EEEEEPS7_SQ_SQ_NSC_11hip_rocprim7__merge17predicate_wrapperIssNSC_4lessIsEEEEEE10hipError_tPvRmT0_T1_T2_T3_T4_T5_mmT6_P12ihipStream_tbEUlT_E_NS1_11comp_targetILNS1_3genE10ELNS1_11target_archE1201ELNS1_3gpuE5ELNS1_3repE0EEENS1_30default_config_static_selectorELNS0_4arch9wavefront6targetE0EEEvS11_,@function
_ZN7rocprim17ROCPRIM_400000_NS6detail17trampoline_kernelINS0_14default_configENS1_21merge_config_selectorINS0_5tupleIJssEEENS0_10empty_typeEEEZNS1_10merge_implIS3_NS0_12zip_iteratorINS5_IJN6thrust23THRUST_200600_302600_NS6detail15normal_iteratorINSC_10device_ptrIKsEEEESI_EEEEESK_NSA_INS5_IJNSC_16discard_iteratorINSC_11use_defaultEEESN_EEEEEPS7_SQ_SQ_NSC_11hip_rocprim7__merge17predicate_wrapperIssNSC_4lessIsEEEEEE10hipError_tPvRmT0_T1_T2_T3_T4_T5_mmT6_P12ihipStream_tbEUlT_E_NS1_11comp_targetILNS1_3genE10ELNS1_11target_archE1201ELNS1_3gpuE5ELNS1_3repE0EEENS1_30default_config_static_selectorELNS0_4arch9wavefront6targetE0EEEvS11_: ; @_ZN7rocprim17ROCPRIM_400000_NS6detail17trampoline_kernelINS0_14default_configENS1_21merge_config_selectorINS0_5tupleIJssEEENS0_10empty_typeEEEZNS1_10merge_implIS3_NS0_12zip_iteratorINS5_IJN6thrust23THRUST_200600_302600_NS6detail15normal_iteratorINSC_10device_ptrIKsEEEESI_EEEEESK_NSA_INS5_IJNSC_16discard_iteratorINSC_11use_defaultEEESN_EEEEEPS7_SQ_SQ_NSC_11hip_rocprim7__merge17predicate_wrapperIssNSC_4lessIsEEEEEE10hipError_tPvRmT0_T1_T2_T3_T4_T5_mmT6_P12ihipStream_tbEUlT_E_NS1_11comp_targetILNS1_3genE10ELNS1_11target_archE1201ELNS1_3gpuE5ELNS1_3repE0EEENS1_30default_config_static_selectorELNS0_4arch9wavefront6targetE0EEEvS11_
; %bb.0:
	.section	.rodata,"a",@progbits
	.p2align	6, 0x0
	.amdhsa_kernel _ZN7rocprim17ROCPRIM_400000_NS6detail17trampoline_kernelINS0_14default_configENS1_21merge_config_selectorINS0_5tupleIJssEEENS0_10empty_typeEEEZNS1_10merge_implIS3_NS0_12zip_iteratorINS5_IJN6thrust23THRUST_200600_302600_NS6detail15normal_iteratorINSC_10device_ptrIKsEEEESI_EEEEESK_NSA_INS5_IJNSC_16discard_iteratorINSC_11use_defaultEEESN_EEEEEPS7_SQ_SQ_NSC_11hip_rocprim7__merge17predicate_wrapperIssNSC_4lessIsEEEEEE10hipError_tPvRmT0_T1_T2_T3_T4_T5_mmT6_P12ihipStream_tbEUlT_E_NS1_11comp_targetILNS1_3genE10ELNS1_11target_archE1201ELNS1_3gpuE5ELNS1_3repE0EEENS1_30default_config_static_selectorELNS0_4arch9wavefront6targetE0EEEvS11_
		.amdhsa_group_segment_fixed_size 0
		.amdhsa_private_segment_fixed_size 0
		.amdhsa_kernarg_size 64
		.amdhsa_user_sgpr_count 2
		.amdhsa_user_sgpr_dispatch_ptr 0
		.amdhsa_user_sgpr_queue_ptr 0
		.amdhsa_user_sgpr_kernarg_segment_ptr 1
		.amdhsa_user_sgpr_dispatch_id 0
		.amdhsa_user_sgpr_kernarg_preload_length 0
		.amdhsa_user_sgpr_kernarg_preload_offset 0
		.amdhsa_user_sgpr_private_segment_size 0
		.amdhsa_wavefront_size32 1
		.amdhsa_uses_dynamic_stack 0
		.amdhsa_enable_private_segment 0
		.amdhsa_system_sgpr_workgroup_id_x 1
		.amdhsa_system_sgpr_workgroup_id_y 0
		.amdhsa_system_sgpr_workgroup_id_z 0
		.amdhsa_system_sgpr_workgroup_info 0
		.amdhsa_system_vgpr_workitem_id 0
		.amdhsa_next_free_vgpr 1
		.amdhsa_next_free_sgpr 1
		.amdhsa_named_barrier_count 0
		.amdhsa_reserve_vcc 0
		.amdhsa_float_round_mode_32 0
		.amdhsa_float_round_mode_16_64 0
		.amdhsa_float_denorm_mode_32 3
		.amdhsa_float_denorm_mode_16_64 3
		.amdhsa_fp16_overflow 0
		.amdhsa_memory_ordered 1
		.amdhsa_forward_progress 1
		.amdhsa_inst_pref_size 0
		.amdhsa_round_robin_scheduling 0
		.amdhsa_exception_fp_ieee_invalid_op 0
		.amdhsa_exception_fp_denorm_src 0
		.amdhsa_exception_fp_ieee_div_zero 0
		.amdhsa_exception_fp_ieee_overflow 0
		.amdhsa_exception_fp_ieee_underflow 0
		.amdhsa_exception_fp_ieee_inexact 0
		.amdhsa_exception_int_div_zero 0
	.end_amdhsa_kernel
	.section	.text._ZN7rocprim17ROCPRIM_400000_NS6detail17trampoline_kernelINS0_14default_configENS1_21merge_config_selectorINS0_5tupleIJssEEENS0_10empty_typeEEEZNS1_10merge_implIS3_NS0_12zip_iteratorINS5_IJN6thrust23THRUST_200600_302600_NS6detail15normal_iteratorINSC_10device_ptrIKsEEEESI_EEEEESK_NSA_INS5_IJNSC_16discard_iteratorINSC_11use_defaultEEESN_EEEEEPS7_SQ_SQ_NSC_11hip_rocprim7__merge17predicate_wrapperIssNSC_4lessIsEEEEEE10hipError_tPvRmT0_T1_T2_T3_T4_T5_mmT6_P12ihipStream_tbEUlT_E_NS1_11comp_targetILNS1_3genE10ELNS1_11target_archE1201ELNS1_3gpuE5ELNS1_3repE0EEENS1_30default_config_static_selectorELNS0_4arch9wavefront6targetE0EEEvS11_,"axG",@progbits,_ZN7rocprim17ROCPRIM_400000_NS6detail17trampoline_kernelINS0_14default_configENS1_21merge_config_selectorINS0_5tupleIJssEEENS0_10empty_typeEEEZNS1_10merge_implIS3_NS0_12zip_iteratorINS5_IJN6thrust23THRUST_200600_302600_NS6detail15normal_iteratorINSC_10device_ptrIKsEEEESI_EEEEESK_NSA_INS5_IJNSC_16discard_iteratorINSC_11use_defaultEEESN_EEEEEPS7_SQ_SQ_NSC_11hip_rocprim7__merge17predicate_wrapperIssNSC_4lessIsEEEEEE10hipError_tPvRmT0_T1_T2_T3_T4_T5_mmT6_P12ihipStream_tbEUlT_E_NS1_11comp_targetILNS1_3genE10ELNS1_11target_archE1201ELNS1_3gpuE5ELNS1_3repE0EEENS1_30default_config_static_selectorELNS0_4arch9wavefront6targetE0EEEvS11_,comdat
.Lfunc_end610:
	.size	_ZN7rocprim17ROCPRIM_400000_NS6detail17trampoline_kernelINS0_14default_configENS1_21merge_config_selectorINS0_5tupleIJssEEENS0_10empty_typeEEEZNS1_10merge_implIS3_NS0_12zip_iteratorINS5_IJN6thrust23THRUST_200600_302600_NS6detail15normal_iteratorINSC_10device_ptrIKsEEEESI_EEEEESK_NSA_INS5_IJNSC_16discard_iteratorINSC_11use_defaultEEESN_EEEEEPS7_SQ_SQ_NSC_11hip_rocprim7__merge17predicate_wrapperIssNSC_4lessIsEEEEEE10hipError_tPvRmT0_T1_T2_T3_T4_T5_mmT6_P12ihipStream_tbEUlT_E_NS1_11comp_targetILNS1_3genE10ELNS1_11target_archE1201ELNS1_3gpuE5ELNS1_3repE0EEENS1_30default_config_static_selectorELNS0_4arch9wavefront6targetE0EEEvS11_, .Lfunc_end610-_ZN7rocprim17ROCPRIM_400000_NS6detail17trampoline_kernelINS0_14default_configENS1_21merge_config_selectorINS0_5tupleIJssEEENS0_10empty_typeEEEZNS1_10merge_implIS3_NS0_12zip_iteratorINS5_IJN6thrust23THRUST_200600_302600_NS6detail15normal_iteratorINSC_10device_ptrIKsEEEESI_EEEEESK_NSA_INS5_IJNSC_16discard_iteratorINSC_11use_defaultEEESN_EEEEEPS7_SQ_SQ_NSC_11hip_rocprim7__merge17predicate_wrapperIssNSC_4lessIsEEEEEE10hipError_tPvRmT0_T1_T2_T3_T4_T5_mmT6_P12ihipStream_tbEUlT_E_NS1_11comp_targetILNS1_3genE10ELNS1_11target_archE1201ELNS1_3gpuE5ELNS1_3repE0EEENS1_30default_config_static_selectorELNS0_4arch9wavefront6targetE0EEEvS11_
                                        ; -- End function
	.set _ZN7rocprim17ROCPRIM_400000_NS6detail17trampoline_kernelINS0_14default_configENS1_21merge_config_selectorINS0_5tupleIJssEEENS0_10empty_typeEEEZNS1_10merge_implIS3_NS0_12zip_iteratorINS5_IJN6thrust23THRUST_200600_302600_NS6detail15normal_iteratorINSC_10device_ptrIKsEEEESI_EEEEESK_NSA_INS5_IJNSC_16discard_iteratorINSC_11use_defaultEEESN_EEEEEPS7_SQ_SQ_NSC_11hip_rocprim7__merge17predicate_wrapperIssNSC_4lessIsEEEEEE10hipError_tPvRmT0_T1_T2_T3_T4_T5_mmT6_P12ihipStream_tbEUlT_E_NS1_11comp_targetILNS1_3genE10ELNS1_11target_archE1201ELNS1_3gpuE5ELNS1_3repE0EEENS1_30default_config_static_selectorELNS0_4arch9wavefront6targetE0EEEvS11_.num_vgpr, 0
	.set _ZN7rocprim17ROCPRIM_400000_NS6detail17trampoline_kernelINS0_14default_configENS1_21merge_config_selectorINS0_5tupleIJssEEENS0_10empty_typeEEEZNS1_10merge_implIS3_NS0_12zip_iteratorINS5_IJN6thrust23THRUST_200600_302600_NS6detail15normal_iteratorINSC_10device_ptrIKsEEEESI_EEEEESK_NSA_INS5_IJNSC_16discard_iteratorINSC_11use_defaultEEESN_EEEEEPS7_SQ_SQ_NSC_11hip_rocprim7__merge17predicate_wrapperIssNSC_4lessIsEEEEEE10hipError_tPvRmT0_T1_T2_T3_T4_T5_mmT6_P12ihipStream_tbEUlT_E_NS1_11comp_targetILNS1_3genE10ELNS1_11target_archE1201ELNS1_3gpuE5ELNS1_3repE0EEENS1_30default_config_static_selectorELNS0_4arch9wavefront6targetE0EEEvS11_.num_agpr, 0
	.set _ZN7rocprim17ROCPRIM_400000_NS6detail17trampoline_kernelINS0_14default_configENS1_21merge_config_selectorINS0_5tupleIJssEEENS0_10empty_typeEEEZNS1_10merge_implIS3_NS0_12zip_iteratorINS5_IJN6thrust23THRUST_200600_302600_NS6detail15normal_iteratorINSC_10device_ptrIKsEEEESI_EEEEESK_NSA_INS5_IJNSC_16discard_iteratorINSC_11use_defaultEEESN_EEEEEPS7_SQ_SQ_NSC_11hip_rocprim7__merge17predicate_wrapperIssNSC_4lessIsEEEEEE10hipError_tPvRmT0_T1_T2_T3_T4_T5_mmT6_P12ihipStream_tbEUlT_E_NS1_11comp_targetILNS1_3genE10ELNS1_11target_archE1201ELNS1_3gpuE5ELNS1_3repE0EEENS1_30default_config_static_selectorELNS0_4arch9wavefront6targetE0EEEvS11_.numbered_sgpr, 0
	.set _ZN7rocprim17ROCPRIM_400000_NS6detail17trampoline_kernelINS0_14default_configENS1_21merge_config_selectorINS0_5tupleIJssEEENS0_10empty_typeEEEZNS1_10merge_implIS3_NS0_12zip_iteratorINS5_IJN6thrust23THRUST_200600_302600_NS6detail15normal_iteratorINSC_10device_ptrIKsEEEESI_EEEEESK_NSA_INS5_IJNSC_16discard_iteratorINSC_11use_defaultEEESN_EEEEEPS7_SQ_SQ_NSC_11hip_rocprim7__merge17predicate_wrapperIssNSC_4lessIsEEEEEE10hipError_tPvRmT0_T1_T2_T3_T4_T5_mmT6_P12ihipStream_tbEUlT_E_NS1_11comp_targetILNS1_3genE10ELNS1_11target_archE1201ELNS1_3gpuE5ELNS1_3repE0EEENS1_30default_config_static_selectorELNS0_4arch9wavefront6targetE0EEEvS11_.num_named_barrier, 0
	.set _ZN7rocprim17ROCPRIM_400000_NS6detail17trampoline_kernelINS0_14default_configENS1_21merge_config_selectorINS0_5tupleIJssEEENS0_10empty_typeEEEZNS1_10merge_implIS3_NS0_12zip_iteratorINS5_IJN6thrust23THRUST_200600_302600_NS6detail15normal_iteratorINSC_10device_ptrIKsEEEESI_EEEEESK_NSA_INS5_IJNSC_16discard_iteratorINSC_11use_defaultEEESN_EEEEEPS7_SQ_SQ_NSC_11hip_rocprim7__merge17predicate_wrapperIssNSC_4lessIsEEEEEE10hipError_tPvRmT0_T1_T2_T3_T4_T5_mmT6_P12ihipStream_tbEUlT_E_NS1_11comp_targetILNS1_3genE10ELNS1_11target_archE1201ELNS1_3gpuE5ELNS1_3repE0EEENS1_30default_config_static_selectorELNS0_4arch9wavefront6targetE0EEEvS11_.private_seg_size, 0
	.set _ZN7rocprim17ROCPRIM_400000_NS6detail17trampoline_kernelINS0_14default_configENS1_21merge_config_selectorINS0_5tupleIJssEEENS0_10empty_typeEEEZNS1_10merge_implIS3_NS0_12zip_iteratorINS5_IJN6thrust23THRUST_200600_302600_NS6detail15normal_iteratorINSC_10device_ptrIKsEEEESI_EEEEESK_NSA_INS5_IJNSC_16discard_iteratorINSC_11use_defaultEEESN_EEEEEPS7_SQ_SQ_NSC_11hip_rocprim7__merge17predicate_wrapperIssNSC_4lessIsEEEEEE10hipError_tPvRmT0_T1_T2_T3_T4_T5_mmT6_P12ihipStream_tbEUlT_E_NS1_11comp_targetILNS1_3genE10ELNS1_11target_archE1201ELNS1_3gpuE5ELNS1_3repE0EEENS1_30default_config_static_selectorELNS0_4arch9wavefront6targetE0EEEvS11_.uses_vcc, 0
	.set _ZN7rocprim17ROCPRIM_400000_NS6detail17trampoline_kernelINS0_14default_configENS1_21merge_config_selectorINS0_5tupleIJssEEENS0_10empty_typeEEEZNS1_10merge_implIS3_NS0_12zip_iteratorINS5_IJN6thrust23THRUST_200600_302600_NS6detail15normal_iteratorINSC_10device_ptrIKsEEEESI_EEEEESK_NSA_INS5_IJNSC_16discard_iteratorINSC_11use_defaultEEESN_EEEEEPS7_SQ_SQ_NSC_11hip_rocprim7__merge17predicate_wrapperIssNSC_4lessIsEEEEEE10hipError_tPvRmT0_T1_T2_T3_T4_T5_mmT6_P12ihipStream_tbEUlT_E_NS1_11comp_targetILNS1_3genE10ELNS1_11target_archE1201ELNS1_3gpuE5ELNS1_3repE0EEENS1_30default_config_static_selectorELNS0_4arch9wavefront6targetE0EEEvS11_.uses_flat_scratch, 0
	.set _ZN7rocprim17ROCPRIM_400000_NS6detail17trampoline_kernelINS0_14default_configENS1_21merge_config_selectorINS0_5tupleIJssEEENS0_10empty_typeEEEZNS1_10merge_implIS3_NS0_12zip_iteratorINS5_IJN6thrust23THRUST_200600_302600_NS6detail15normal_iteratorINSC_10device_ptrIKsEEEESI_EEEEESK_NSA_INS5_IJNSC_16discard_iteratorINSC_11use_defaultEEESN_EEEEEPS7_SQ_SQ_NSC_11hip_rocprim7__merge17predicate_wrapperIssNSC_4lessIsEEEEEE10hipError_tPvRmT0_T1_T2_T3_T4_T5_mmT6_P12ihipStream_tbEUlT_E_NS1_11comp_targetILNS1_3genE10ELNS1_11target_archE1201ELNS1_3gpuE5ELNS1_3repE0EEENS1_30default_config_static_selectorELNS0_4arch9wavefront6targetE0EEEvS11_.has_dyn_sized_stack, 0
	.set _ZN7rocprim17ROCPRIM_400000_NS6detail17trampoline_kernelINS0_14default_configENS1_21merge_config_selectorINS0_5tupleIJssEEENS0_10empty_typeEEEZNS1_10merge_implIS3_NS0_12zip_iteratorINS5_IJN6thrust23THRUST_200600_302600_NS6detail15normal_iteratorINSC_10device_ptrIKsEEEESI_EEEEESK_NSA_INS5_IJNSC_16discard_iteratorINSC_11use_defaultEEESN_EEEEEPS7_SQ_SQ_NSC_11hip_rocprim7__merge17predicate_wrapperIssNSC_4lessIsEEEEEE10hipError_tPvRmT0_T1_T2_T3_T4_T5_mmT6_P12ihipStream_tbEUlT_E_NS1_11comp_targetILNS1_3genE10ELNS1_11target_archE1201ELNS1_3gpuE5ELNS1_3repE0EEENS1_30default_config_static_selectorELNS0_4arch9wavefront6targetE0EEEvS11_.has_recursion, 0
	.set _ZN7rocprim17ROCPRIM_400000_NS6detail17trampoline_kernelINS0_14default_configENS1_21merge_config_selectorINS0_5tupleIJssEEENS0_10empty_typeEEEZNS1_10merge_implIS3_NS0_12zip_iteratorINS5_IJN6thrust23THRUST_200600_302600_NS6detail15normal_iteratorINSC_10device_ptrIKsEEEESI_EEEEESK_NSA_INS5_IJNSC_16discard_iteratorINSC_11use_defaultEEESN_EEEEEPS7_SQ_SQ_NSC_11hip_rocprim7__merge17predicate_wrapperIssNSC_4lessIsEEEEEE10hipError_tPvRmT0_T1_T2_T3_T4_T5_mmT6_P12ihipStream_tbEUlT_E_NS1_11comp_targetILNS1_3genE10ELNS1_11target_archE1201ELNS1_3gpuE5ELNS1_3repE0EEENS1_30default_config_static_selectorELNS0_4arch9wavefront6targetE0EEEvS11_.has_indirect_call, 0
	.section	.AMDGPU.csdata,"",@progbits
; Kernel info:
; codeLenInByte = 0
; TotalNumSgprs: 0
; NumVgprs: 0
; ScratchSize: 0
; MemoryBound: 0
; FloatMode: 240
; IeeeMode: 1
; LDSByteSize: 0 bytes/workgroup (compile time only)
; SGPRBlocks: 0
; VGPRBlocks: 0
; NumSGPRsForWavesPerEU: 1
; NumVGPRsForWavesPerEU: 1
; NamedBarCnt: 0
; Occupancy: 16
; WaveLimiterHint : 0
; COMPUTE_PGM_RSRC2:SCRATCH_EN: 0
; COMPUTE_PGM_RSRC2:USER_SGPR: 2
; COMPUTE_PGM_RSRC2:TRAP_HANDLER: 0
; COMPUTE_PGM_RSRC2:TGID_X_EN: 1
; COMPUTE_PGM_RSRC2:TGID_Y_EN: 0
; COMPUTE_PGM_RSRC2:TGID_Z_EN: 0
; COMPUTE_PGM_RSRC2:TIDIG_COMP_CNT: 0
	.section	.text._ZN7rocprim17ROCPRIM_400000_NS6detail17trampoline_kernelINS0_14default_configENS1_21merge_config_selectorINS0_5tupleIJssEEENS0_10empty_typeEEEZNS1_10merge_implIS3_NS0_12zip_iteratorINS5_IJN6thrust23THRUST_200600_302600_NS6detail15normal_iteratorINSC_10device_ptrIKsEEEESI_EEEEESK_NSA_INS5_IJNSC_16discard_iteratorINSC_11use_defaultEEESN_EEEEEPS7_SQ_SQ_NSC_11hip_rocprim7__merge17predicate_wrapperIssNSC_4lessIsEEEEEE10hipError_tPvRmT0_T1_T2_T3_T4_T5_mmT6_P12ihipStream_tbEUlT_E_NS1_11comp_targetILNS1_3genE10ELNS1_11target_archE1200ELNS1_3gpuE4ELNS1_3repE0EEENS1_30default_config_static_selectorELNS0_4arch9wavefront6targetE0EEEvS11_,"axG",@progbits,_ZN7rocprim17ROCPRIM_400000_NS6detail17trampoline_kernelINS0_14default_configENS1_21merge_config_selectorINS0_5tupleIJssEEENS0_10empty_typeEEEZNS1_10merge_implIS3_NS0_12zip_iteratorINS5_IJN6thrust23THRUST_200600_302600_NS6detail15normal_iteratorINSC_10device_ptrIKsEEEESI_EEEEESK_NSA_INS5_IJNSC_16discard_iteratorINSC_11use_defaultEEESN_EEEEEPS7_SQ_SQ_NSC_11hip_rocprim7__merge17predicate_wrapperIssNSC_4lessIsEEEEEE10hipError_tPvRmT0_T1_T2_T3_T4_T5_mmT6_P12ihipStream_tbEUlT_E_NS1_11comp_targetILNS1_3genE10ELNS1_11target_archE1200ELNS1_3gpuE4ELNS1_3repE0EEENS1_30default_config_static_selectorELNS0_4arch9wavefront6targetE0EEEvS11_,comdat
	.protected	_ZN7rocprim17ROCPRIM_400000_NS6detail17trampoline_kernelINS0_14default_configENS1_21merge_config_selectorINS0_5tupleIJssEEENS0_10empty_typeEEEZNS1_10merge_implIS3_NS0_12zip_iteratorINS5_IJN6thrust23THRUST_200600_302600_NS6detail15normal_iteratorINSC_10device_ptrIKsEEEESI_EEEEESK_NSA_INS5_IJNSC_16discard_iteratorINSC_11use_defaultEEESN_EEEEEPS7_SQ_SQ_NSC_11hip_rocprim7__merge17predicate_wrapperIssNSC_4lessIsEEEEEE10hipError_tPvRmT0_T1_T2_T3_T4_T5_mmT6_P12ihipStream_tbEUlT_E_NS1_11comp_targetILNS1_3genE10ELNS1_11target_archE1200ELNS1_3gpuE4ELNS1_3repE0EEENS1_30default_config_static_selectorELNS0_4arch9wavefront6targetE0EEEvS11_ ; -- Begin function _ZN7rocprim17ROCPRIM_400000_NS6detail17trampoline_kernelINS0_14default_configENS1_21merge_config_selectorINS0_5tupleIJssEEENS0_10empty_typeEEEZNS1_10merge_implIS3_NS0_12zip_iteratorINS5_IJN6thrust23THRUST_200600_302600_NS6detail15normal_iteratorINSC_10device_ptrIKsEEEESI_EEEEESK_NSA_INS5_IJNSC_16discard_iteratorINSC_11use_defaultEEESN_EEEEEPS7_SQ_SQ_NSC_11hip_rocprim7__merge17predicate_wrapperIssNSC_4lessIsEEEEEE10hipError_tPvRmT0_T1_T2_T3_T4_T5_mmT6_P12ihipStream_tbEUlT_E_NS1_11comp_targetILNS1_3genE10ELNS1_11target_archE1200ELNS1_3gpuE4ELNS1_3repE0EEENS1_30default_config_static_selectorELNS0_4arch9wavefront6targetE0EEEvS11_
	.globl	_ZN7rocprim17ROCPRIM_400000_NS6detail17trampoline_kernelINS0_14default_configENS1_21merge_config_selectorINS0_5tupleIJssEEENS0_10empty_typeEEEZNS1_10merge_implIS3_NS0_12zip_iteratorINS5_IJN6thrust23THRUST_200600_302600_NS6detail15normal_iteratorINSC_10device_ptrIKsEEEESI_EEEEESK_NSA_INS5_IJNSC_16discard_iteratorINSC_11use_defaultEEESN_EEEEEPS7_SQ_SQ_NSC_11hip_rocprim7__merge17predicate_wrapperIssNSC_4lessIsEEEEEE10hipError_tPvRmT0_T1_T2_T3_T4_T5_mmT6_P12ihipStream_tbEUlT_E_NS1_11comp_targetILNS1_3genE10ELNS1_11target_archE1200ELNS1_3gpuE4ELNS1_3repE0EEENS1_30default_config_static_selectorELNS0_4arch9wavefront6targetE0EEEvS11_
	.p2align	8
	.type	_ZN7rocprim17ROCPRIM_400000_NS6detail17trampoline_kernelINS0_14default_configENS1_21merge_config_selectorINS0_5tupleIJssEEENS0_10empty_typeEEEZNS1_10merge_implIS3_NS0_12zip_iteratorINS5_IJN6thrust23THRUST_200600_302600_NS6detail15normal_iteratorINSC_10device_ptrIKsEEEESI_EEEEESK_NSA_INS5_IJNSC_16discard_iteratorINSC_11use_defaultEEESN_EEEEEPS7_SQ_SQ_NSC_11hip_rocprim7__merge17predicate_wrapperIssNSC_4lessIsEEEEEE10hipError_tPvRmT0_T1_T2_T3_T4_T5_mmT6_P12ihipStream_tbEUlT_E_NS1_11comp_targetILNS1_3genE10ELNS1_11target_archE1200ELNS1_3gpuE4ELNS1_3repE0EEENS1_30default_config_static_selectorELNS0_4arch9wavefront6targetE0EEEvS11_,@function
_ZN7rocprim17ROCPRIM_400000_NS6detail17trampoline_kernelINS0_14default_configENS1_21merge_config_selectorINS0_5tupleIJssEEENS0_10empty_typeEEEZNS1_10merge_implIS3_NS0_12zip_iteratorINS5_IJN6thrust23THRUST_200600_302600_NS6detail15normal_iteratorINSC_10device_ptrIKsEEEESI_EEEEESK_NSA_INS5_IJNSC_16discard_iteratorINSC_11use_defaultEEESN_EEEEEPS7_SQ_SQ_NSC_11hip_rocprim7__merge17predicate_wrapperIssNSC_4lessIsEEEEEE10hipError_tPvRmT0_T1_T2_T3_T4_T5_mmT6_P12ihipStream_tbEUlT_E_NS1_11comp_targetILNS1_3genE10ELNS1_11target_archE1200ELNS1_3gpuE4ELNS1_3repE0EEENS1_30default_config_static_selectorELNS0_4arch9wavefront6targetE0EEEvS11_: ; @_ZN7rocprim17ROCPRIM_400000_NS6detail17trampoline_kernelINS0_14default_configENS1_21merge_config_selectorINS0_5tupleIJssEEENS0_10empty_typeEEEZNS1_10merge_implIS3_NS0_12zip_iteratorINS5_IJN6thrust23THRUST_200600_302600_NS6detail15normal_iteratorINSC_10device_ptrIKsEEEESI_EEEEESK_NSA_INS5_IJNSC_16discard_iteratorINSC_11use_defaultEEESN_EEEEEPS7_SQ_SQ_NSC_11hip_rocprim7__merge17predicate_wrapperIssNSC_4lessIsEEEEEE10hipError_tPvRmT0_T1_T2_T3_T4_T5_mmT6_P12ihipStream_tbEUlT_E_NS1_11comp_targetILNS1_3genE10ELNS1_11target_archE1200ELNS1_3gpuE4ELNS1_3repE0EEENS1_30default_config_static_selectorELNS0_4arch9wavefront6targetE0EEEvS11_
; %bb.0:
	.section	.rodata,"a",@progbits
	.p2align	6, 0x0
	.amdhsa_kernel _ZN7rocprim17ROCPRIM_400000_NS6detail17trampoline_kernelINS0_14default_configENS1_21merge_config_selectorINS0_5tupleIJssEEENS0_10empty_typeEEEZNS1_10merge_implIS3_NS0_12zip_iteratorINS5_IJN6thrust23THRUST_200600_302600_NS6detail15normal_iteratorINSC_10device_ptrIKsEEEESI_EEEEESK_NSA_INS5_IJNSC_16discard_iteratorINSC_11use_defaultEEESN_EEEEEPS7_SQ_SQ_NSC_11hip_rocprim7__merge17predicate_wrapperIssNSC_4lessIsEEEEEE10hipError_tPvRmT0_T1_T2_T3_T4_T5_mmT6_P12ihipStream_tbEUlT_E_NS1_11comp_targetILNS1_3genE10ELNS1_11target_archE1200ELNS1_3gpuE4ELNS1_3repE0EEENS1_30default_config_static_selectorELNS0_4arch9wavefront6targetE0EEEvS11_
		.amdhsa_group_segment_fixed_size 0
		.amdhsa_private_segment_fixed_size 0
		.amdhsa_kernarg_size 64
		.amdhsa_user_sgpr_count 2
		.amdhsa_user_sgpr_dispatch_ptr 0
		.amdhsa_user_sgpr_queue_ptr 0
		.amdhsa_user_sgpr_kernarg_segment_ptr 1
		.amdhsa_user_sgpr_dispatch_id 0
		.amdhsa_user_sgpr_kernarg_preload_length 0
		.amdhsa_user_sgpr_kernarg_preload_offset 0
		.amdhsa_user_sgpr_private_segment_size 0
		.amdhsa_wavefront_size32 1
		.amdhsa_uses_dynamic_stack 0
		.amdhsa_enable_private_segment 0
		.amdhsa_system_sgpr_workgroup_id_x 1
		.amdhsa_system_sgpr_workgroup_id_y 0
		.amdhsa_system_sgpr_workgroup_id_z 0
		.amdhsa_system_sgpr_workgroup_info 0
		.amdhsa_system_vgpr_workitem_id 0
		.amdhsa_next_free_vgpr 1
		.amdhsa_next_free_sgpr 1
		.amdhsa_named_barrier_count 0
		.amdhsa_reserve_vcc 0
		.amdhsa_float_round_mode_32 0
		.amdhsa_float_round_mode_16_64 0
		.amdhsa_float_denorm_mode_32 3
		.amdhsa_float_denorm_mode_16_64 3
		.amdhsa_fp16_overflow 0
		.amdhsa_memory_ordered 1
		.amdhsa_forward_progress 1
		.amdhsa_inst_pref_size 0
		.amdhsa_round_robin_scheduling 0
		.amdhsa_exception_fp_ieee_invalid_op 0
		.amdhsa_exception_fp_denorm_src 0
		.amdhsa_exception_fp_ieee_div_zero 0
		.amdhsa_exception_fp_ieee_overflow 0
		.amdhsa_exception_fp_ieee_underflow 0
		.amdhsa_exception_fp_ieee_inexact 0
		.amdhsa_exception_int_div_zero 0
	.end_amdhsa_kernel
	.section	.text._ZN7rocprim17ROCPRIM_400000_NS6detail17trampoline_kernelINS0_14default_configENS1_21merge_config_selectorINS0_5tupleIJssEEENS0_10empty_typeEEEZNS1_10merge_implIS3_NS0_12zip_iteratorINS5_IJN6thrust23THRUST_200600_302600_NS6detail15normal_iteratorINSC_10device_ptrIKsEEEESI_EEEEESK_NSA_INS5_IJNSC_16discard_iteratorINSC_11use_defaultEEESN_EEEEEPS7_SQ_SQ_NSC_11hip_rocprim7__merge17predicate_wrapperIssNSC_4lessIsEEEEEE10hipError_tPvRmT0_T1_T2_T3_T4_T5_mmT6_P12ihipStream_tbEUlT_E_NS1_11comp_targetILNS1_3genE10ELNS1_11target_archE1200ELNS1_3gpuE4ELNS1_3repE0EEENS1_30default_config_static_selectorELNS0_4arch9wavefront6targetE0EEEvS11_,"axG",@progbits,_ZN7rocprim17ROCPRIM_400000_NS6detail17trampoline_kernelINS0_14default_configENS1_21merge_config_selectorINS0_5tupleIJssEEENS0_10empty_typeEEEZNS1_10merge_implIS3_NS0_12zip_iteratorINS5_IJN6thrust23THRUST_200600_302600_NS6detail15normal_iteratorINSC_10device_ptrIKsEEEESI_EEEEESK_NSA_INS5_IJNSC_16discard_iteratorINSC_11use_defaultEEESN_EEEEEPS7_SQ_SQ_NSC_11hip_rocprim7__merge17predicate_wrapperIssNSC_4lessIsEEEEEE10hipError_tPvRmT0_T1_T2_T3_T4_T5_mmT6_P12ihipStream_tbEUlT_E_NS1_11comp_targetILNS1_3genE10ELNS1_11target_archE1200ELNS1_3gpuE4ELNS1_3repE0EEENS1_30default_config_static_selectorELNS0_4arch9wavefront6targetE0EEEvS11_,comdat
.Lfunc_end611:
	.size	_ZN7rocprim17ROCPRIM_400000_NS6detail17trampoline_kernelINS0_14default_configENS1_21merge_config_selectorINS0_5tupleIJssEEENS0_10empty_typeEEEZNS1_10merge_implIS3_NS0_12zip_iteratorINS5_IJN6thrust23THRUST_200600_302600_NS6detail15normal_iteratorINSC_10device_ptrIKsEEEESI_EEEEESK_NSA_INS5_IJNSC_16discard_iteratorINSC_11use_defaultEEESN_EEEEEPS7_SQ_SQ_NSC_11hip_rocprim7__merge17predicate_wrapperIssNSC_4lessIsEEEEEE10hipError_tPvRmT0_T1_T2_T3_T4_T5_mmT6_P12ihipStream_tbEUlT_E_NS1_11comp_targetILNS1_3genE10ELNS1_11target_archE1200ELNS1_3gpuE4ELNS1_3repE0EEENS1_30default_config_static_selectorELNS0_4arch9wavefront6targetE0EEEvS11_, .Lfunc_end611-_ZN7rocprim17ROCPRIM_400000_NS6detail17trampoline_kernelINS0_14default_configENS1_21merge_config_selectorINS0_5tupleIJssEEENS0_10empty_typeEEEZNS1_10merge_implIS3_NS0_12zip_iteratorINS5_IJN6thrust23THRUST_200600_302600_NS6detail15normal_iteratorINSC_10device_ptrIKsEEEESI_EEEEESK_NSA_INS5_IJNSC_16discard_iteratorINSC_11use_defaultEEESN_EEEEEPS7_SQ_SQ_NSC_11hip_rocprim7__merge17predicate_wrapperIssNSC_4lessIsEEEEEE10hipError_tPvRmT0_T1_T2_T3_T4_T5_mmT6_P12ihipStream_tbEUlT_E_NS1_11comp_targetILNS1_3genE10ELNS1_11target_archE1200ELNS1_3gpuE4ELNS1_3repE0EEENS1_30default_config_static_selectorELNS0_4arch9wavefront6targetE0EEEvS11_
                                        ; -- End function
	.set _ZN7rocprim17ROCPRIM_400000_NS6detail17trampoline_kernelINS0_14default_configENS1_21merge_config_selectorINS0_5tupleIJssEEENS0_10empty_typeEEEZNS1_10merge_implIS3_NS0_12zip_iteratorINS5_IJN6thrust23THRUST_200600_302600_NS6detail15normal_iteratorINSC_10device_ptrIKsEEEESI_EEEEESK_NSA_INS5_IJNSC_16discard_iteratorINSC_11use_defaultEEESN_EEEEEPS7_SQ_SQ_NSC_11hip_rocprim7__merge17predicate_wrapperIssNSC_4lessIsEEEEEE10hipError_tPvRmT0_T1_T2_T3_T4_T5_mmT6_P12ihipStream_tbEUlT_E_NS1_11comp_targetILNS1_3genE10ELNS1_11target_archE1200ELNS1_3gpuE4ELNS1_3repE0EEENS1_30default_config_static_selectorELNS0_4arch9wavefront6targetE0EEEvS11_.num_vgpr, 0
	.set _ZN7rocprim17ROCPRIM_400000_NS6detail17trampoline_kernelINS0_14default_configENS1_21merge_config_selectorINS0_5tupleIJssEEENS0_10empty_typeEEEZNS1_10merge_implIS3_NS0_12zip_iteratorINS5_IJN6thrust23THRUST_200600_302600_NS6detail15normal_iteratorINSC_10device_ptrIKsEEEESI_EEEEESK_NSA_INS5_IJNSC_16discard_iteratorINSC_11use_defaultEEESN_EEEEEPS7_SQ_SQ_NSC_11hip_rocprim7__merge17predicate_wrapperIssNSC_4lessIsEEEEEE10hipError_tPvRmT0_T1_T2_T3_T4_T5_mmT6_P12ihipStream_tbEUlT_E_NS1_11comp_targetILNS1_3genE10ELNS1_11target_archE1200ELNS1_3gpuE4ELNS1_3repE0EEENS1_30default_config_static_selectorELNS0_4arch9wavefront6targetE0EEEvS11_.num_agpr, 0
	.set _ZN7rocprim17ROCPRIM_400000_NS6detail17trampoline_kernelINS0_14default_configENS1_21merge_config_selectorINS0_5tupleIJssEEENS0_10empty_typeEEEZNS1_10merge_implIS3_NS0_12zip_iteratorINS5_IJN6thrust23THRUST_200600_302600_NS6detail15normal_iteratorINSC_10device_ptrIKsEEEESI_EEEEESK_NSA_INS5_IJNSC_16discard_iteratorINSC_11use_defaultEEESN_EEEEEPS7_SQ_SQ_NSC_11hip_rocprim7__merge17predicate_wrapperIssNSC_4lessIsEEEEEE10hipError_tPvRmT0_T1_T2_T3_T4_T5_mmT6_P12ihipStream_tbEUlT_E_NS1_11comp_targetILNS1_3genE10ELNS1_11target_archE1200ELNS1_3gpuE4ELNS1_3repE0EEENS1_30default_config_static_selectorELNS0_4arch9wavefront6targetE0EEEvS11_.numbered_sgpr, 0
	.set _ZN7rocprim17ROCPRIM_400000_NS6detail17trampoline_kernelINS0_14default_configENS1_21merge_config_selectorINS0_5tupleIJssEEENS0_10empty_typeEEEZNS1_10merge_implIS3_NS0_12zip_iteratorINS5_IJN6thrust23THRUST_200600_302600_NS6detail15normal_iteratorINSC_10device_ptrIKsEEEESI_EEEEESK_NSA_INS5_IJNSC_16discard_iteratorINSC_11use_defaultEEESN_EEEEEPS7_SQ_SQ_NSC_11hip_rocprim7__merge17predicate_wrapperIssNSC_4lessIsEEEEEE10hipError_tPvRmT0_T1_T2_T3_T4_T5_mmT6_P12ihipStream_tbEUlT_E_NS1_11comp_targetILNS1_3genE10ELNS1_11target_archE1200ELNS1_3gpuE4ELNS1_3repE0EEENS1_30default_config_static_selectorELNS0_4arch9wavefront6targetE0EEEvS11_.num_named_barrier, 0
	.set _ZN7rocprim17ROCPRIM_400000_NS6detail17trampoline_kernelINS0_14default_configENS1_21merge_config_selectorINS0_5tupleIJssEEENS0_10empty_typeEEEZNS1_10merge_implIS3_NS0_12zip_iteratorINS5_IJN6thrust23THRUST_200600_302600_NS6detail15normal_iteratorINSC_10device_ptrIKsEEEESI_EEEEESK_NSA_INS5_IJNSC_16discard_iteratorINSC_11use_defaultEEESN_EEEEEPS7_SQ_SQ_NSC_11hip_rocprim7__merge17predicate_wrapperIssNSC_4lessIsEEEEEE10hipError_tPvRmT0_T1_T2_T3_T4_T5_mmT6_P12ihipStream_tbEUlT_E_NS1_11comp_targetILNS1_3genE10ELNS1_11target_archE1200ELNS1_3gpuE4ELNS1_3repE0EEENS1_30default_config_static_selectorELNS0_4arch9wavefront6targetE0EEEvS11_.private_seg_size, 0
	.set _ZN7rocprim17ROCPRIM_400000_NS6detail17trampoline_kernelINS0_14default_configENS1_21merge_config_selectorINS0_5tupleIJssEEENS0_10empty_typeEEEZNS1_10merge_implIS3_NS0_12zip_iteratorINS5_IJN6thrust23THRUST_200600_302600_NS6detail15normal_iteratorINSC_10device_ptrIKsEEEESI_EEEEESK_NSA_INS5_IJNSC_16discard_iteratorINSC_11use_defaultEEESN_EEEEEPS7_SQ_SQ_NSC_11hip_rocprim7__merge17predicate_wrapperIssNSC_4lessIsEEEEEE10hipError_tPvRmT0_T1_T2_T3_T4_T5_mmT6_P12ihipStream_tbEUlT_E_NS1_11comp_targetILNS1_3genE10ELNS1_11target_archE1200ELNS1_3gpuE4ELNS1_3repE0EEENS1_30default_config_static_selectorELNS0_4arch9wavefront6targetE0EEEvS11_.uses_vcc, 0
	.set _ZN7rocprim17ROCPRIM_400000_NS6detail17trampoline_kernelINS0_14default_configENS1_21merge_config_selectorINS0_5tupleIJssEEENS0_10empty_typeEEEZNS1_10merge_implIS3_NS0_12zip_iteratorINS5_IJN6thrust23THRUST_200600_302600_NS6detail15normal_iteratorINSC_10device_ptrIKsEEEESI_EEEEESK_NSA_INS5_IJNSC_16discard_iteratorINSC_11use_defaultEEESN_EEEEEPS7_SQ_SQ_NSC_11hip_rocprim7__merge17predicate_wrapperIssNSC_4lessIsEEEEEE10hipError_tPvRmT0_T1_T2_T3_T4_T5_mmT6_P12ihipStream_tbEUlT_E_NS1_11comp_targetILNS1_3genE10ELNS1_11target_archE1200ELNS1_3gpuE4ELNS1_3repE0EEENS1_30default_config_static_selectorELNS0_4arch9wavefront6targetE0EEEvS11_.uses_flat_scratch, 0
	.set _ZN7rocprim17ROCPRIM_400000_NS6detail17trampoline_kernelINS0_14default_configENS1_21merge_config_selectorINS0_5tupleIJssEEENS0_10empty_typeEEEZNS1_10merge_implIS3_NS0_12zip_iteratorINS5_IJN6thrust23THRUST_200600_302600_NS6detail15normal_iteratorINSC_10device_ptrIKsEEEESI_EEEEESK_NSA_INS5_IJNSC_16discard_iteratorINSC_11use_defaultEEESN_EEEEEPS7_SQ_SQ_NSC_11hip_rocprim7__merge17predicate_wrapperIssNSC_4lessIsEEEEEE10hipError_tPvRmT0_T1_T2_T3_T4_T5_mmT6_P12ihipStream_tbEUlT_E_NS1_11comp_targetILNS1_3genE10ELNS1_11target_archE1200ELNS1_3gpuE4ELNS1_3repE0EEENS1_30default_config_static_selectorELNS0_4arch9wavefront6targetE0EEEvS11_.has_dyn_sized_stack, 0
	.set _ZN7rocprim17ROCPRIM_400000_NS6detail17trampoline_kernelINS0_14default_configENS1_21merge_config_selectorINS0_5tupleIJssEEENS0_10empty_typeEEEZNS1_10merge_implIS3_NS0_12zip_iteratorINS5_IJN6thrust23THRUST_200600_302600_NS6detail15normal_iteratorINSC_10device_ptrIKsEEEESI_EEEEESK_NSA_INS5_IJNSC_16discard_iteratorINSC_11use_defaultEEESN_EEEEEPS7_SQ_SQ_NSC_11hip_rocprim7__merge17predicate_wrapperIssNSC_4lessIsEEEEEE10hipError_tPvRmT0_T1_T2_T3_T4_T5_mmT6_P12ihipStream_tbEUlT_E_NS1_11comp_targetILNS1_3genE10ELNS1_11target_archE1200ELNS1_3gpuE4ELNS1_3repE0EEENS1_30default_config_static_selectorELNS0_4arch9wavefront6targetE0EEEvS11_.has_recursion, 0
	.set _ZN7rocprim17ROCPRIM_400000_NS6detail17trampoline_kernelINS0_14default_configENS1_21merge_config_selectorINS0_5tupleIJssEEENS0_10empty_typeEEEZNS1_10merge_implIS3_NS0_12zip_iteratorINS5_IJN6thrust23THRUST_200600_302600_NS6detail15normal_iteratorINSC_10device_ptrIKsEEEESI_EEEEESK_NSA_INS5_IJNSC_16discard_iteratorINSC_11use_defaultEEESN_EEEEEPS7_SQ_SQ_NSC_11hip_rocprim7__merge17predicate_wrapperIssNSC_4lessIsEEEEEE10hipError_tPvRmT0_T1_T2_T3_T4_T5_mmT6_P12ihipStream_tbEUlT_E_NS1_11comp_targetILNS1_3genE10ELNS1_11target_archE1200ELNS1_3gpuE4ELNS1_3repE0EEENS1_30default_config_static_selectorELNS0_4arch9wavefront6targetE0EEEvS11_.has_indirect_call, 0
	.section	.AMDGPU.csdata,"",@progbits
; Kernel info:
; codeLenInByte = 0
; TotalNumSgprs: 0
; NumVgprs: 0
; ScratchSize: 0
; MemoryBound: 0
; FloatMode: 240
; IeeeMode: 1
; LDSByteSize: 0 bytes/workgroup (compile time only)
; SGPRBlocks: 0
; VGPRBlocks: 0
; NumSGPRsForWavesPerEU: 1
; NumVGPRsForWavesPerEU: 1
; NamedBarCnt: 0
; Occupancy: 16
; WaveLimiterHint : 0
; COMPUTE_PGM_RSRC2:SCRATCH_EN: 0
; COMPUTE_PGM_RSRC2:USER_SGPR: 2
; COMPUTE_PGM_RSRC2:TRAP_HANDLER: 0
; COMPUTE_PGM_RSRC2:TGID_X_EN: 1
; COMPUTE_PGM_RSRC2:TGID_Y_EN: 0
; COMPUTE_PGM_RSRC2:TGID_Z_EN: 0
; COMPUTE_PGM_RSRC2:TIDIG_COMP_CNT: 0
	.section	.text._ZN7rocprim17ROCPRIM_400000_NS6detail17trampoline_kernelINS0_14default_configENS1_21merge_config_selectorINS0_5tupleIJssEEENS0_10empty_typeEEEZNS1_10merge_implIS3_NS0_12zip_iteratorINS5_IJN6thrust23THRUST_200600_302600_NS6detail15normal_iteratorINSC_10device_ptrIKsEEEESI_EEEEESK_NSA_INS5_IJNSC_16discard_iteratorINSC_11use_defaultEEESN_EEEEEPS7_SQ_SQ_NSC_11hip_rocprim7__merge17predicate_wrapperIssNSC_4lessIsEEEEEE10hipError_tPvRmT0_T1_T2_T3_T4_T5_mmT6_P12ihipStream_tbEUlT_E_NS1_11comp_targetILNS1_3genE9ELNS1_11target_archE1100ELNS1_3gpuE3ELNS1_3repE0EEENS1_30default_config_static_selectorELNS0_4arch9wavefront6targetE0EEEvS11_,"axG",@progbits,_ZN7rocprim17ROCPRIM_400000_NS6detail17trampoline_kernelINS0_14default_configENS1_21merge_config_selectorINS0_5tupleIJssEEENS0_10empty_typeEEEZNS1_10merge_implIS3_NS0_12zip_iteratorINS5_IJN6thrust23THRUST_200600_302600_NS6detail15normal_iteratorINSC_10device_ptrIKsEEEESI_EEEEESK_NSA_INS5_IJNSC_16discard_iteratorINSC_11use_defaultEEESN_EEEEEPS7_SQ_SQ_NSC_11hip_rocprim7__merge17predicate_wrapperIssNSC_4lessIsEEEEEE10hipError_tPvRmT0_T1_T2_T3_T4_T5_mmT6_P12ihipStream_tbEUlT_E_NS1_11comp_targetILNS1_3genE9ELNS1_11target_archE1100ELNS1_3gpuE3ELNS1_3repE0EEENS1_30default_config_static_selectorELNS0_4arch9wavefront6targetE0EEEvS11_,comdat
	.protected	_ZN7rocprim17ROCPRIM_400000_NS6detail17trampoline_kernelINS0_14default_configENS1_21merge_config_selectorINS0_5tupleIJssEEENS0_10empty_typeEEEZNS1_10merge_implIS3_NS0_12zip_iteratorINS5_IJN6thrust23THRUST_200600_302600_NS6detail15normal_iteratorINSC_10device_ptrIKsEEEESI_EEEEESK_NSA_INS5_IJNSC_16discard_iteratorINSC_11use_defaultEEESN_EEEEEPS7_SQ_SQ_NSC_11hip_rocprim7__merge17predicate_wrapperIssNSC_4lessIsEEEEEE10hipError_tPvRmT0_T1_T2_T3_T4_T5_mmT6_P12ihipStream_tbEUlT_E_NS1_11comp_targetILNS1_3genE9ELNS1_11target_archE1100ELNS1_3gpuE3ELNS1_3repE0EEENS1_30default_config_static_selectorELNS0_4arch9wavefront6targetE0EEEvS11_ ; -- Begin function _ZN7rocprim17ROCPRIM_400000_NS6detail17trampoline_kernelINS0_14default_configENS1_21merge_config_selectorINS0_5tupleIJssEEENS0_10empty_typeEEEZNS1_10merge_implIS3_NS0_12zip_iteratorINS5_IJN6thrust23THRUST_200600_302600_NS6detail15normal_iteratorINSC_10device_ptrIKsEEEESI_EEEEESK_NSA_INS5_IJNSC_16discard_iteratorINSC_11use_defaultEEESN_EEEEEPS7_SQ_SQ_NSC_11hip_rocprim7__merge17predicate_wrapperIssNSC_4lessIsEEEEEE10hipError_tPvRmT0_T1_T2_T3_T4_T5_mmT6_P12ihipStream_tbEUlT_E_NS1_11comp_targetILNS1_3genE9ELNS1_11target_archE1100ELNS1_3gpuE3ELNS1_3repE0EEENS1_30default_config_static_selectorELNS0_4arch9wavefront6targetE0EEEvS11_
	.globl	_ZN7rocprim17ROCPRIM_400000_NS6detail17trampoline_kernelINS0_14default_configENS1_21merge_config_selectorINS0_5tupleIJssEEENS0_10empty_typeEEEZNS1_10merge_implIS3_NS0_12zip_iteratorINS5_IJN6thrust23THRUST_200600_302600_NS6detail15normal_iteratorINSC_10device_ptrIKsEEEESI_EEEEESK_NSA_INS5_IJNSC_16discard_iteratorINSC_11use_defaultEEESN_EEEEEPS7_SQ_SQ_NSC_11hip_rocprim7__merge17predicate_wrapperIssNSC_4lessIsEEEEEE10hipError_tPvRmT0_T1_T2_T3_T4_T5_mmT6_P12ihipStream_tbEUlT_E_NS1_11comp_targetILNS1_3genE9ELNS1_11target_archE1100ELNS1_3gpuE3ELNS1_3repE0EEENS1_30default_config_static_selectorELNS0_4arch9wavefront6targetE0EEEvS11_
	.p2align	8
	.type	_ZN7rocprim17ROCPRIM_400000_NS6detail17trampoline_kernelINS0_14default_configENS1_21merge_config_selectorINS0_5tupleIJssEEENS0_10empty_typeEEEZNS1_10merge_implIS3_NS0_12zip_iteratorINS5_IJN6thrust23THRUST_200600_302600_NS6detail15normal_iteratorINSC_10device_ptrIKsEEEESI_EEEEESK_NSA_INS5_IJNSC_16discard_iteratorINSC_11use_defaultEEESN_EEEEEPS7_SQ_SQ_NSC_11hip_rocprim7__merge17predicate_wrapperIssNSC_4lessIsEEEEEE10hipError_tPvRmT0_T1_T2_T3_T4_T5_mmT6_P12ihipStream_tbEUlT_E_NS1_11comp_targetILNS1_3genE9ELNS1_11target_archE1100ELNS1_3gpuE3ELNS1_3repE0EEENS1_30default_config_static_selectorELNS0_4arch9wavefront6targetE0EEEvS11_,@function
_ZN7rocprim17ROCPRIM_400000_NS6detail17trampoline_kernelINS0_14default_configENS1_21merge_config_selectorINS0_5tupleIJssEEENS0_10empty_typeEEEZNS1_10merge_implIS3_NS0_12zip_iteratorINS5_IJN6thrust23THRUST_200600_302600_NS6detail15normal_iteratorINSC_10device_ptrIKsEEEESI_EEEEESK_NSA_INS5_IJNSC_16discard_iteratorINSC_11use_defaultEEESN_EEEEEPS7_SQ_SQ_NSC_11hip_rocprim7__merge17predicate_wrapperIssNSC_4lessIsEEEEEE10hipError_tPvRmT0_T1_T2_T3_T4_T5_mmT6_P12ihipStream_tbEUlT_E_NS1_11comp_targetILNS1_3genE9ELNS1_11target_archE1100ELNS1_3gpuE3ELNS1_3repE0EEENS1_30default_config_static_selectorELNS0_4arch9wavefront6targetE0EEEvS11_: ; @_ZN7rocprim17ROCPRIM_400000_NS6detail17trampoline_kernelINS0_14default_configENS1_21merge_config_selectorINS0_5tupleIJssEEENS0_10empty_typeEEEZNS1_10merge_implIS3_NS0_12zip_iteratorINS5_IJN6thrust23THRUST_200600_302600_NS6detail15normal_iteratorINSC_10device_ptrIKsEEEESI_EEEEESK_NSA_INS5_IJNSC_16discard_iteratorINSC_11use_defaultEEESN_EEEEEPS7_SQ_SQ_NSC_11hip_rocprim7__merge17predicate_wrapperIssNSC_4lessIsEEEEEE10hipError_tPvRmT0_T1_T2_T3_T4_T5_mmT6_P12ihipStream_tbEUlT_E_NS1_11comp_targetILNS1_3genE9ELNS1_11target_archE1100ELNS1_3gpuE3ELNS1_3repE0EEENS1_30default_config_static_selectorELNS0_4arch9wavefront6targetE0EEEvS11_
; %bb.0:
	.section	.rodata,"a",@progbits
	.p2align	6, 0x0
	.amdhsa_kernel _ZN7rocprim17ROCPRIM_400000_NS6detail17trampoline_kernelINS0_14default_configENS1_21merge_config_selectorINS0_5tupleIJssEEENS0_10empty_typeEEEZNS1_10merge_implIS3_NS0_12zip_iteratorINS5_IJN6thrust23THRUST_200600_302600_NS6detail15normal_iteratorINSC_10device_ptrIKsEEEESI_EEEEESK_NSA_INS5_IJNSC_16discard_iteratorINSC_11use_defaultEEESN_EEEEEPS7_SQ_SQ_NSC_11hip_rocprim7__merge17predicate_wrapperIssNSC_4lessIsEEEEEE10hipError_tPvRmT0_T1_T2_T3_T4_T5_mmT6_P12ihipStream_tbEUlT_E_NS1_11comp_targetILNS1_3genE9ELNS1_11target_archE1100ELNS1_3gpuE3ELNS1_3repE0EEENS1_30default_config_static_selectorELNS0_4arch9wavefront6targetE0EEEvS11_
		.amdhsa_group_segment_fixed_size 0
		.amdhsa_private_segment_fixed_size 0
		.amdhsa_kernarg_size 64
		.amdhsa_user_sgpr_count 2
		.amdhsa_user_sgpr_dispatch_ptr 0
		.amdhsa_user_sgpr_queue_ptr 0
		.amdhsa_user_sgpr_kernarg_segment_ptr 1
		.amdhsa_user_sgpr_dispatch_id 0
		.amdhsa_user_sgpr_kernarg_preload_length 0
		.amdhsa_user_sgpr_kernarg_preload_offset 0
		.amdhsa_user_sgpr_private_segment_size 0
		.amdhsa_wavefront_size32 1
		.amdhsa_uses_dynamic_stack 0
		.amdhsa_enable_private_segment 0
		.amdhsa_system_sgpr_workgroup_id_x 1
		.amdhsa_system_sgpr_workgroup_id_y 0
		.amdhsa_system_sgpr_workgroup_id_z 0
		.amdhsa_system_sgpr_workgroup_info 0
		.amdhsa_system_vgpr_workitem_id 0
		.amdhsa_next_free_vgpr 1
		.amdhsa_next_free_sgpr 1
		.amdhsa_named_barrier_count 0
		.amdhsa_reserve_vcc 0
		.amdhsa_float_round_mode_32 0
		.amdhsa_float_round_mode_16_64 0
		.amdhsa_float_denorm_mode_32 3
		.amdhsa_float_denorm_mode_16_64 3
		.amdhsa_fp16_overflow 0
		.amdhsa_memory_ordered 1
		.amdhsa_forward_progress 1
		.amdhsa_inst_pref_size 0
		.amdhsa_round_robin_scheduling 0
		.amdhsa_exception_fp_ieee_invalid_op 0
		.amdhsa_exception_fp_denorm_src 0
		.amdhsa_exception_fp_ieee_div_zero 0
		.amdhsa_exception_fp_ieee_overflow 0
		.amdhsa_exception_fp_ieee_underflow 0
		.amdhsa_exception_fp_ieee_inexact 0
		.amdhsa_exception_int_div_zero 0
	.end_amdhsa_kernel
	.section	.text._ZN7rocprim17ROCPRIM_400000_NS6detail17trampoline_kernelINS0_14default_configENS1_21merge_config_selectorINS0_5tupleIJssEEENS0_10empty_typeEEEZNS1_10merge_implIS3_NS0_12zip_iteratorINS5_IJN6thrust23THRUST_200600_302600_NS6detail15normal_iteratorINSC_10device_ptrIKsEEEESI_EEEEESK_NSA_INS5_IJNSC_16discard_iteratorINSC_11use_defaultEEESN_EEEEEPS7_SQ_SQ_NSC_11hip_rocprim7__merge17predicate_wrapperIssNSC_4lessIsEEEEEE10hipError_tPvRmT0_T1_T2_T3_T4_T5_mmT6_P12ihipStream_tbEUlT_E_NS1_11comp_targetILNS1_3genE9ELNS1_11target_archE1100ELNS1_3gpuE3ELNS1_3repE0EEENS1_30default_config_static_selectorELNS0_4arch9wavefront6targetE0EEEvS11_,"axG",@progbits,_ZN7rocprim17ROCPRIM_400000_NS6detail17trampoline_kernelINS0_14default_configENS1_21merge_config_selectorINS0_5tupleIJssEEENS0_10empty_typeEEEZNS1_10merge_implIS3_NS0_12zip_iteratorINS5_IJN6thrust23THRUST_200600_302600_NS6detail15normal_iteratorINSC_10device_ptrIKsEEEESI_EEEEESK_NSA_INS5_IJNSC_16discard_iteratorINSC_11use_defaultEEESN_EEEEEPS7_SQ_SQ_NSC_11hip_rocprim7__merge17predicate_wrapperIssNSC_4lessIsEEEEEE10hipError_tPvRmT0_T1_T2_T3_T4_T5_mmT6_P12ihipStream_tbEUlT_E_NS1_11comp_targetILNS1_3genE9ELNS1_11target_archE1100ELNS1_3gpuE3ELNS1_3repE0EEENS1_30default_config_static_selectorELNS0_4arch9wavefront6targetE0EEEvS11_,comdat
.Lfunc_end612:
	.size	_ZN7rocprim17ROCPRIM_400000_NS6detail17trampoline_kernelINS0_14default_configENS1_21merge_config_selectorINS0_5tupleIJssEEENS0_10empty_typeEEEZNS1_10merge_implIS3_NS0_12zip_iteratorINS5_IJN6thrust23THRUST_200600_302600_NS6detail15normal_iteratorINSC_10device_ptrIKsEEEESI_EEEEESK_NSA_INS5_IJNSC_16discard_iteratorINSC_11use_defaultEEESN_EEEEEPS7_SQ_SQ_NSC_11hip_rocprim7__merge17predicate_wrapperIssNSC_4lessIsEEEEEE10hipError_tPvRmT0_T1_T2_T3_T4_T5_mmT6_P12ihipStream_tbEUlT_E_NS1_11comp_targetILNS1_3genE9ELNS1_11target_archE1100ELNS1_3gpuE3ELNS1_3repE0EEENS1_30default_config_static_selectorELNS0_4arch9wavefront6targetE0EEEvS11_, .Lfunc_end612-_ZN7rocprim17ROCPRIM_400000_NS6detail17trampoline_kernelINS0_14default_configENS1_21merge_config_selectorINS0_5tupleIJssEEENS0_10empty_typeEEEZNS1_10merge_implIS3_NS0_12zip_iteratorINS5_IJN6thrust23THRUST_200600_302600_NS6detail15normal_iteratorINSC_10device_ptrIKsEEEESI_EEEEESK_NSA_INS5_IJNSC_16discard_iteratorINSC_11use_defaultEEESN_EEEEEPS7_SQ_SQ_NSC_11hip_rocprim7__merge17predicate_wrapperIssNSC_4lessIsEEEEEE10hipError_tPvRmT0_T1_T2_T3_T4_T5_mmT6_P12ihipStream_tbEUlT_E_NS1_11comp_targetILNS1_3genE9ELNS1_11target_archE1100ELNS1_3gpuE3ELNS1_3repE0EEENS1_30default_config_static_selectorELNS0_4arch9wavefront6targetE0EEEvS11_
                                        ; -- End function
	.set _ZN7rocprim17ROCPRIM_400000_NS6detail17trampoline_kernelINS0_14default_configENS1_21merge_config_selectorINS0_5tupleIJssEEENS0_10empty_typeEEEZNS1_10merge_implIS3_NS0_12zip_iteratorINS5_IJN6thrust23THRUST_200600_302600_NS6detail15normal_iteratorINSC_10device_ptrIKsEEEESI_EEEEESK_NSA_INS5_IJNSC_16discard_iteratorINSC_11use_defaultEEESN_EEEEEPS7_SQ_SQ_NSC_11hip_rocprim7__merge17predicate_wrapperIssNSC_4lessIsEEEEEE10hipError_tPvRmT0_T1_T2_T3_T4_T5_mmT6_P12ihipStream_tbEUlT_E_NS1_11comp_targetILNS1_3genE9ELNS1_11target_archE1100ELNS1_3gpuE3ELNS1_3repE0EEENS1_30default_config_static_selectorELNS0_4arch9wavefront6targetE0EEEvS11_.num_vgpr, 0
	.set _ZN7rocprim17ROCPRIM_400000_NS6detail17trampoline_kernelINS0_14default_configENS1_21merge_config_selectorINS0_5tupleIJssEEENS0_10empty_typeEEEZNS1_10merge_implIS3_NS0_12zip_iteratorINS5_IJN6thrust23THRUST_200600_302600_NS6detail15normal_iteratorINSC_10device_ptrIKsEEEESI_EEEEESK_NSA_INS5_IJNSC_16discard_iteratorINSC_11use_defaultEEESN_EEEEEPS7_SQ_SQ_NSC_11hip_rocprim7__merge17predicate_wrapperIssNSC_4lessIsEEEEEE10hipError_tPvRmT0_T1_T2_T3_T4_T5_mmT6_P12ihipStream_tbEUlT_E_NS1_11comp_targetILNS1_3genE9ELNS1_11target_archE1100ELNS1_3gpuE3ELNS1_3repE0EEENS1_30default_config_static_selectorELNS0_4arch9wavefront6targetE0EEEvS11_.num_agpr, 0
	.set _ZN7rocprim17ROCPRIM_400000_NS6detail17trampoline_kernelINS0_14default_configENS1_21merge_config_selectorINS0_5tupleIJssEEENS0_10empty_typeEEEZNS1_10merge_implIS3_NS0_12zip_iteratorINS5_IJN6thrust23THRUST_200600_302600_NS6detail15normal_iteratorINSC_10device_ptrIKsEEEESI_EEEEESK_NSA_INS5_IJNSC_16discard_iteratorINSC_11use_defaultEEESN_EEEEEPS7_SQ_SQ_NSC_11hip_rocprim7__merge17predicate_wrapperIssNSC_4lessIsEEEEEE10hipError_tPvRmT0_T1_T2_T3_T4_T5_mmT6_P12ihipStream_tbEUlT_E_NS1_11comp_targetILNS1_3genE9ELNS1_11target_archE1100ELNS1_3gpuE3ELNS1_3repE0EEENS1_30default_config_static_selectorELNS0_4arch9wavefront6targetE0EEEvS11_.numbered_sgpr, 0
	.set _ZN7rocprim17ROCPRIM_400000_NS6detail17trampoline_kernelINS0_14default_configENS1_21merge_config_selectorINS0_5tupleIJssEEENS0_10empty_typeEEEZNS1_10merge_implIS3_NS0_12zip_iteratorINS5_IJN6thrust23THRUST_200600_302600_NS6detail15normal_iteratorINSC_10device_ptrIKsEEEESI_EEEEESK_NSA_INS5_IJNSC_16discard_iteratorINSC_11use_defaultEEESN_EEEEEPS7_SQ_SQ_NSC_11hip_rocprim7__merge17predicate_wrapperIssNSC_4lessIsEEEEEE10hipError_tPvRmT0_T1_T2_T3_T4_T5_mmT6_P12ihipStream_tbEUlT_E_NS1_11comp_targetILNS1_3genE9ELNS1_11target_archE1100ELNS1_3gpuE3ELNS1_3repE0EEENS1_30default_config_static_selectorELNS0_4arch9wavefront6targetE0EEEvS11_.num_named_barrier, 0
	.set _ZN7rocprim17ROCPRIM_400000_NS6detail17trampoline_kernelINS0_14default_configENS1_21merge_config_selectorINS0_5tupleIJssEEENS0_10empty_typeEEEZNS1_10merge_implIS3_NS0_12zip_iteratorINS5_IJN6thrust23THRUST_200600_302600_NS6detail15normal_iteratorINSC_10device_ptrIKsEEEESI_EEEEESK_NSA_INS5_IJNSC_16discard_iteratorINSC_11use_defaultEEESN_EEEEEPS7_SQ_SQ_NSC_11hip_rocprim7__merge17predicate_wrapperIssNSC_4lessIsEEEEEE10hipError_tPvRmT0_T1_T2_T3_T4_T5_mmT6_P12ihipStream_tbEUlT_E_NS1_11comp_targetILNS1_3genE9ELNS1_11target_archE1100ELNS1_3gpuE3ELNS1_3repE0EEENS1_30default_config_static_selectorELNS0_4arch9wavefront6targetE0EEEvS11_.private_seg_size, 0
	.set _ZN7rocprim17ROCPRIM_400000_NS6detail17trampoline_kernelINS0_14default_configENS1_21merge_config_selectorINS0_5tupleIJssEEENS0_10empty_typeEEEZNS1_10merge_implIS3_NS0_12zip_iteratorINS5_IJN6thrust23THRUST_200600_302600_NS6detail15normal_iteratorINSC_10device_ptrIKsEEEESI_EEEEESK_NSA_INS5_IJNSC_16discard_iteratorINSC_11use_defaultEEESN_EEEEEPS7_SQ_SQ_NSC_11hip_rocprim7__merge17predicate_wrapperIssNSC_4lessIsEEEEEE10hipError_tPvRmT0_T1_T2_T3_T4_T5_mmT6_P12ihipStream_tbEUlT_E_NS1_11comp_targetILNS1_3genE9ELNS1_11target_archE1100ELNS1_3gpuE3ELNS1_3repE0EEENS1_30default_config_static_selectorELNS0_4arch9wavefront6targetE0EEEvS11_.uses_vcc, 0
	.set _ZN7rocprim17ROCPRIM_400000_NS6detail17trampoline_kernelINS0_14default_configENS1_21merge_config_selectorINS0_5tupleIJssEEENS0_10empty_typeEEEZNS1_10merge_implIS3_NS0_12zip_iteratorINS5_IJN6thrust23THRUST_200600_302600_NS6detail15normal_iteratorINSC_10device_ptrIKsEEEESI_EEEEESK_NSA_INS5_IJNSC_16discard_iteratorINSC_11use_defaultEEESN_EEEEEPS7_SQ_SQ_NSC_11hip_rocprim7__merge17predicate_wrapperIssNSC_4lessIsEEEEEE10hipError_tPvRmT0_T1_T2_T3_T4_T5_mmT6_P12ihipStream_tbEUlT_E_NS1_11comp_targetILNS1_3genE9ELNS1_11target_archE1100ELNS1_3gpuE3ELNS1_3repE0EEENS1_30default_config_static_selectorELNS0_4arch9wavefront6targetE0EEEvS11_.uses_flat_scratch, 0
	.set _ZN7rocprim17ROCPRIM_400000_NS6detail17trampoline_kernelINS0_14default_configENS1_21merge_config_selectorINS0_5tupleIJssEEENS0_10empty_typeEEEZNS1_10merge_implIS3_NS0_12zip_iteratorINS5_IJN6thrust23THRUST_200600_302600_NS6detail15normal_iteratorINSC_10device_ptrIKsEEEESI_EEEEESK_NSA_INS5_IJNSC_16discard_iteratorINSC_11use_defaultEEESN_EEEEEPS7_SQ_SQ_NSC_11hip_rocprim7__merge17predicate_wrapperIssNSC_4lessIsEEEEEE10hipError_tPvRmT0_T1_T2_T3_T4_T5_mmT6_P12ihipStream_tbEUlT_E_NS1_11comp_targetILNS1_3genE9ELNS1_11target_archE1100ELNS1_3gpuE3ELNS1_3repE0EEENS1_30default_config_static_selectorELNS0_4arch9wavefront6targetE0EEEvS11_.has_dyn_sized_stack, 0
	.set _ZN7rocprim17ROCPRIM_400000_NS6detail17trampoline_kernelINS0_14default_configENS1_21merge_config_selectorINS0_5tupleIJssEEENS0_10empty_typeEEEZNS1_10merge_implIS3_NS0_12zip_iteratorINS5_IJN6thrust23THRUST_200600_302600_NS6detail15normal_iteratorINSC_10device_ptrIKsEEEESI_EEEEESK_NSA_INS5_IJNSC_16discard_iteratorINSC_11use_defaultEEESN_EEEEEPS7_SQ_SQ_NSC_11hip_rocprim7__merge17predicate_wrapperIssNSC_4lessIsEEEEEE10hipError_tPvRmT0_T1_T2_T3_T4_T5_mmT6_P12ihipStream_tbEUlT_E_NS1_11comp_targetILNS1_3genE9ELNS1_11target_archE1100ELNS1_3gpuE3ELNS1_3repE0EEENS1_30default_config_static_selectorELNS0_4arch9wavefront6targetE0EEEvS11_.has_recursion, 0
	.set _ZN7rocprim17ROCPRIM_400000_NS6detail17trampoline_kernelINS0_14default_configENS1_21merge_config_selectorINS0_5tupleIJssEEENS0_10empty_typeEEEZNS1_10merge_implIS3_NS0_12zip_iteratorINS5_IJN6thrust23THRUST_200600_302600_NS6detail15normal_iteratorINSC_10device_ptrIKsEEEESI_EEEEESK_NSA_INS5_IJNSC_16discard_iteratorINSC_11use_defaultEEESN_EEEEEPS7_SQ_SQ_NSC_11hip_rocprim7__merge17predicate_wrapperIssNSC_4lessIsEEEEEE10hipError_tPvRmT0_T1_T2_T3_T4_T5_mmT6_P12ihipStream_tbEUlT_E_NS1_11comp_targetILNS1_3genE9ELNS1_11target_archE1100ELNS1_3gpuE3ELNS1_3repE0EEENS1_30default_config_static_selectorELNS0_4arch9wavefront6targetE0EEEvS11_.has_indirect_call, 0
	.section	.AMDGPU.csdata,"",@progbits
; Kernel info:
; codeLenInByte = 0
; TotalNumSgprs: 0
; NumVgprs: 0
; ScratchSize: 0
; MemoryBound: 0
; FloatMode: 240
; IeeeMode: 1
; LDSByteSize: 0 bytes/workgroup (compile time only)
; SGPRBlocks: 0
; VGPRBlocks: 0
; NumSGPRsForWavesPerEU: 1
; NumVGPRsForWavesPerEU: 1
; NamedBarCnt: 0
; Occupancy: 16
; WaveLimiterHint : 0
; COMPUTE_PGM_RSRC2:SCRATCH_EN: 0
; COMPUTE_PGM_RSRC2:USER_SGPR: 2
; COMPUTE_PGM_RSRC2:TRAP_HANDLER: 0
; COMPUTE_PGM_RSRC2:TGID_X_EN: 1
; COMPUTE_PGM_RSRC2:TGID_Y_EN: 0
; COMPUTE_PGM_RSRC2:TGID_Z_EN: 0
; COMPUTE_PGM_RSRC2:TIDIG_COMP_CNT: 0
	.section	.text._ZN7rocprim17ROCPRIM_400000_NS6detail17trampoline_kernelINS0_14default_configENS1_21merge_config_selectorINS0_5tupleIJssEEENS0_10empty_typeEEEZNS1_10merge_implIS3_NS0_12zip_iteratorINS5_IJN6thrust23THRUST_200600_302600_NS6detail15normal_iteratorINSC_10device_ptrIKsEEEESI_EEEEESK_NSA_INS5_IJNSC_16discard_iteratorINSC_11use_defaultEEESN_EEEEEPS7_SQ_SQ_NSC_11hip_rocprim7__merge17predicate_wrapperIssNSC_4lessIsEEEEEE10hipError_tPvRmT0_T1_T2_T3_T4_T5_mmT6_P12ihipStream_tbEUlT_E_NS1_11comp_targetILNS1_3genE8ELNS1_11target_archE1030ELNS1_3gpuE2ELNS1_3repE0EEENS1_30default_config_static_selectorELNS0_4arch9wavefront6targetE0EEEvS11_,"axG",@progbits,_ZN7rocprim17ROCPRIM_400000_NS6detail17trampoline_kernelINS0_14default_configENS1_21merge_config_selectorINS0_5tupleIJssEEENS0_10empty_typeEEEZNS1_10merge_implIS3_NS0_12zip_iteratorINS5_IJN6thrust23THRUST_200600_302600_NS6detail15normal_iteratorINSC_10device_ptrIKsEEEESI_EEEEESK_NSA_INS5_IJNSC_16discard_iteratorINSC_11use_defaultEEESN_EEEEEPS7_SQ_SQ_NSC_11hip_rocprim7__merge17predicate_wrapperIssNSC_4lessIsEEEEEE10hipError_tPvRmT0_T1_T2_T3_T4_T5_mmT6_P12ihipStream_tbEUlT_E_NS1_11comp_targetILNS1_3genE8ELNS1_11target_archE1030ELNS1_3gpuE2ELNS1_3repE0EEENS1_30default_config_static_selectorELNS0_4arch9wavefront6targetE0EEEvS11_,comdat
	.protected	_ZN7rocprim17ROCPRIM_400000_NS6detail17trampoline_kernelINS0_14default_configENS1_21merge_config_selectorINS0_5tupleIJssEEENS0_10empty_typeEEEZNS1_10merge_implIS3_NS0_12zip_iteratorINS5_IJN6thrust23THRUST_200600_302600_NS6detail15normal_iteratorINSC_10device_ptrIKsEEEESI_EEEEESK_NSA_INS5_IJNSC_16discard_iteratorINSC_11use_defaultEEESN_EEEEEPS7_SQ_SQ_NSC_11hip_rocprim7__merge17predicate_wrapperIssNSC_4lessIsEEEEEE10hipError_tPvRmT0_T1_T2_T3_T4_T5_mmT6_P12ihipStream_tbEUlT_E_NS1_11comp_targetILNS1_3genE8ELNS1_11target_archE1030ELNS1_3gpuE2ELNS1_3repE0EEENS1_30default_config_static_selectorELNS0_4arch9wavefront6targetE0EEEvS11_ ; -- Begin function _ZN7rocprim17ROCPRIM_400000_NS6detail17trampoline_kernelINS0_14default_configENS1_21merge_config_selectorINS0_5tupleIJssEEENS0_10empty_typeEEEZNS1_10merge_implIS3_NS0_12zip_iteratorINS5_IJN6thrust23THRUST_200600_302600_NS6detail15normal_iteratorINSC_10device_ptrIKsEEEESI_EEEEESK_NSA_INS5_IJNSC_16discard_iteratorINSC_11use_defaultEEESN_EEEEEPS7_SQ_SQ_NSC_11hip_rocprim7__merge17predicate_wrapperIssNSC_4lessIsEEEEEE10hipError_tPvRmT0_T1_T2_T3_T4_T5_mmT6_P12ihipStream_tbEUlT_E_NS1_11comp_targetILNS1_3genE8ELNS1_11target_archE1030ELNS1_3gpuE2ELNS1_3repE0EEENS1_30default_config_static_selectorELNS0_4arch9wavefront6targetE0EEEvS11_
	.globl	_ZN7rocprim17ROCPRIM_400000_NS6detail17trampoline_kernelINS0_14default_configENS1_21merge_config_selectorINS0_5tupleIJssEEENS0_10empty_typeEEEZNS1_10merge_implIS3_NS0_12zip_iteratorINS5_IJN6thrust23THRUST_200600_302600_NS6detail15normal_iteratorINSC_10device_ptrIKsEEEESI_EEEEESK_NSA_INS5_IJNSC_16discard_iteratorINSC_11use_defaultEEESN_EEEEEPS7_SQ_SQ_NSC_11hip_rocprim7__merge17predicate_wrapperIssNSC_4lessIsEEEEEE10hipError_tPvRmT0_T1_T2_T3_T4_T5_mmT6_P12ihipStream_tbEUlT_E_NS1_11comp_targetILNS1_3genE8ELNS1_11target_archE1030ELNS1_3gpuE2ELNS1_3repE0EEENS1_30default_config_static_selectorELNS0_4arch9wavefront6targetE0EEEvS11_
	.p2align	8
	.type	_ZN7rocprim17ROCPRIM_400000_NS6detail17trampoline_kernelINS0_14default_configENS1_21merge_config_selectorINS0_5tupleIJssEEENS0_10empty_typeEEEZNS1_10merge_implIS3_NS0_12zip_iteratorINS5_IJN6thrust23THRUST_200600_302600_NS6detail15normal_iteratorINSC_10device_ptrIKsEEEESI_EEEEESK_NSA_INS5_IJNSC_16discard_iteratorINSC_11use_defaultEEESN_EEEEEPS7_SQ_SQ_NSC_11hip_rocprim7__merge17predicate_wrapperIssNSC_4lessIsEEEEEE10hipError_tPvRmT0_T1_T2_T3_T4_T5_mmT6_P12ihipStream_tbEUlT_E_NS1_11comp_targetILNS1_3genE8ELNS1_11target_archE1030ELNS1_3gpuE2ELNS1_3repE0EEENS1_30default_config_static_selectorELNS0_4arch9wavefront6targetE0EEEvS11_,@function
_ZN7rocprim17ROCPRIM_400000_NS6detail17trampoline_kernelINS0_14default_configENS1_21merge_config_selectorINS0_5tupleIJssEEENS0_10empty_typeEEEZNS1_10merge_implIS3_NS0_12zip_iteratorINS5_IJN6thrust23THRUST_200600_302600_NS6detail15normal_iteratorINSC_10device_ptrIKsEEEESI_EEEEESK_NSA_INS5_IJNSC_16discard_iteratorINSC_11use_defaultEEESN_EEEEEPS7_SQ_SQ_NSC_11hip_rocprim7__merge17predicate_wrapperIssNSC_4lessIsEEEEEE10hipError_tPvRmT0_T1_T2_T3_T4_T5_mmT6_P12ihipStream_tbEUlT_E_NS1_11comp_targetILNS1_3genE8ELNS1_11target_archE1030ELNS1_3gpuE2ELNS1_3repE0EEENS1_30default_config_static_selectorELNS0_4arch9wavefront6targetE0EEEvS11_: ; @_ZN7rocprim17ROCPRIM_400000_NS6detail17trampoline_kernelINS0_14default_configENS1_21merge_config_selectorINS0_5tupleIJssEEENS0_10empty_typeEEEZNS1_10merge_implIS3_NS0_12zip_iteratorINS5_IJN6thrust23THRUST_200600_302600_NS6detail15normal_iteratorINSC_10device_ptrIKsEEEESI_EEEEESK_NSA_INS5_IJNSC_16discard_iteratorINSC_11use_defaultEEESN_EEEEEPS7_SQ_SQ_NSC_11hip_rocprim7__merge17predicate_wrapperIssNSC_4lessIsEEEEEE10hipError_tPvRmT0_T1_T2_T3_T4_T5_mmT6_P12ihipStream_tbEUlT_E_NS1_11comp_targetILNS1_3genE8ELNS1_11target_archE1030ELNS1_3gpuE2ELNS1_3repE0EEENS1_30default_config_static_selectorELNS0_4arch9wavefront6targetE0EEEvS11_
; %bb.0:
	.section	.rodata,"a",@progbits
	.p2align	6, 0x0
	.amdhsa_kernel _ZN7rocprim17ROCPRIM_400000_NS6detail17trampoline_kernelINS0_14default_configENS1_21merge_config_selectorINS0_5tupleIJssEEENS0_10empty_typeEEEZNS1_10merge_implIS3_NS0_12zip_iteratorINS5_IJN6thrust23THRUST_200600_302600_NS6detail15normal_iteratorINSC_10device_ptrIKsEEEESI_EEEEESK_NSA_INS5_IJNSC_16discard_iteratorINSC_11use_defaultEEESN_EEEEEPS7_SQ_SQ_NSC_11hip_rocprim7__merge17predicate_wrapperIssNSC_4lessIsEEEEEE10hipError_tPvRmT0_T1_T2_T3_T4_T5_mmT6_P12ihipStream_tbEUlT_E_NS1_11comp_targetILNS1_3genE8ELNS1_11target_archE1030ELNS1_3gpuE2ELNS1_3repE0EEENS1_30default_config_static_selectorELNS0_4arch9wavefront6targetE0EEEvS11_
		.amdhsa_group_segment_fixed_size 0
		.amdhsa_private_segment_fixed_size 0
		.amdhsa_kernarg_size 64
		.amdhsa_user_sgpr_count 2
		.amdhsa_user_sgpr_dispatch_ptr 0
		.amdhsa_user_sgpr_queue_ptr 0
		.amdhsa_user_sgpr_kernarg_segment_ptr 1
		.amdhsa_user_sgpr_dispatch_id 0
		.amdhsa_user_sgpr_kernarg_preload_length 0
		.amdhsa_user_sgpr_kernarg_preload_offset 0
		.amdhsa_user_sgpr_private_segment_size 0
		.amdhsa_wavefront_size32 1
		.amdhsa_uses_dynamic_stack 0
		.amdhsa_enable_private_segment 0
		.amdhsa_system_sgpr_workgroup_id_x 1
		.amdhsa_system_sgpr_workgroup_id_y 0
		.amdhsa_system_sgpr_workgroup_id_z 0
		.amdhsa_system_sgpr_workgroup_info 0
		.amdhsa_system_vgpr_workitem_id 0
		.amdhsa_next_free_vgpr 1
		.amdhsa_next_free_sgpr 1
		.amdhsa_named_barrier_count 0
		.amdhsa_reserve_vcc 0
		.amdhsa_float_round_mode_32 0
		.amdhsa_float_round_mode_16_64 0
		.amdhsa_float_denorm_mode_32 3
		.amdhsa_float_denorm_mode_16_64 3
		.amdhsa_fp16_overflow 0
		.amdhsa_memory_ordered 1
		.amdhsa_forward_progress 1
		.amdhsa_inst_pref_size 0
		.amdhsa_round_robin_scheduling 0
		.amdhsa_exception_fp_ieee_invalid_op 0
		.amdhsa_exception_fp_denorm_src 0
		.amdhsa_exception_fp_ieee_div_zero 0
		.amdhsa_exception_fp_ieee_overflow 0
		.amdhsa_exception_fp_ieee_underflow 0
		.amdhsa_exception_fp_ieee_inexact 0
		.amdhsa_exception_int_div_zero 0
	.end_amdhsa_kernel
	.section	.text._ZN7rocprim17ROCPRIM_400000_NS6detail17trampoline_kernelINS0_14default_configENS1_21merge_config_selectorINS0_5tupleIJssEEENS0_10empty_typeEEEZNS1_10merge_implIS3_NS0_12zip_iteratorINS5_IJN6thrust23THRUST_200600_302600_NS6detail15normal_iteratorINSC_10device_ptrIKsEEEESI_EEEEESK_NSA_INS5_IJNSC_16discard_iteratorINSC_11use_defaultEEESN_EEEEEPS7_SQ_SQ_NSC_11hip_rocprim7__merge17predicate_wrapperIssNSC_4lessIsEEEEEE10hipError_tPvRmT0_T1_T2_T3_T4_T5_mmT6_P12ihipStream_tbEUlT_E_NS1_11comp_targetILNS1_3genE8ELNS1_11target_archE1030ELNS1_3gpuE2ELNS1_3repE0EEENS1_30default_config_static_selectorELNS0_4arch9wavefront6targetE0EEEvS11_,"axG",@progbits,_ZN7rocprim17ROCPRIM_400000_NS6detail17trampoline_kernelINS0_14default_configENS1_21merge_config_selectorINS0_5tupleIJssEEENS0_10empty_typeEEEZNS1_10merge_implIS3_NS0_12zip_iteratorINS5_IJN6thrust23THRUST_200600_302600_NS6detail15normal_iteratorINSC_10device_ptrIKsEEEESI_EEEEESK_NSA_INS5_IJNSC_16discard_iteratorINSC_11use_defaultEEESN_EEEEEPS7_SQ_SQ_NSC_11hip_rocprim7__merge17predicate_wrapperIssNSC_4lessIsEEEEEE10hipError_tPvRmT0_T1_T2_T3_T4_T5_mmT6_P12ihipStream_tbEUlT_E_NS1_11comp_targetILNS1_3genE8ELNS1_11target_archE1030ELNS1_3gpuE2ELNS1_3repE0EEENS1_30default_config_static_selectorELNS0_4arch9wavefront6targetE0EEEvS11_,comdat
.Lfunc_end613:
	.size	_ZN7rocprim17ROCPRIM_400000_NS6detail17trampoline_kernelINS0_14default_configENS1_21merge_config_selectorINS0_5tupleIJssEEENS0_10empty_typeEEEZNS1_10merge_implIS3_NS0_12zip_iteratorINS5_IJN6thrust23THRUST_200600_302600_NS6detail15normal_iteratorINSC_10device_ptrIKsEEEESI_EEEEESK_NSA_INS5_IJNSC_16discard_iteratorINSC_11use_defaultEEESN_EEEEEPS7_SQ_SQ_NSC_11hip_rocprim7__merge17predicate_wrapperIssNSC_4lessIsEEEEEE10hipError_tPvRmT0_T1_T2_T3_T4_T5_mmT6_P12ihipStream_tbEUlT_E_NS1_11comp_targetILNS1_3genE8ELNS1_11target_archE1030ELNS1_3gpuE2ELNS1_3repE0EEENS1_30default_config_static_selectorELNS0_4arch9wavefront6targetE0EEEvS11_, .Lfunc_end613-_ZN7rocprim17ROCPRIM_400000_NS6detail17trampoline_kernelINS0_14default_configENS1_21merge_config_selectorINS0_5tupleIJssEEENS0_10empty_typeEEEZNS1_10merge_implIS3_NS0_12zip_iteratorINS5_IJN6thrust23THRUST_200600_302600_NS6detail15normal_iteratorINSC_10device_ptrIKsEEEESI_EEEEESK_NSA_INS5_IJNSC_16discard_iteratorINSC_11use_defaultEEESN_EEEEEPS7_SQ_SQ_NSC_11hip_rocprim7__merge17predicate_wrapperIssNSC_4lessIsEEEEEE10hipError_tPvRmT0_T1_T2_T3_T4_T5_mmT6_P12ihipStream_tbEUlT_E_NS1_11comp_targetILNS1_3genE8ELNS1_11target_archE1030ELNS1_3gpuE2ELNS1_3repE0EEENS1_30default_config_static_selectorELNS0_4arch9wavefront6targetE0EEEvS11_
                                        ; -- End function
	.set _ZN7rocprim17ROCPRIM_400000_NS6detail17trampoline_kernelINS0_14default_configENS1_21merge_config_selectorINS0_5tupleIJssEEENS0_10empty_typeEEEZNS1_10merge_implIS3_NS0_12zip_iteratorINS5_IJN6thrust23THRUST_200600_302600_NS6detail15normal_iteratorINSC_10device_ptrIKsEEEESI_EEEEESK_NSA_INS5_IJNSC_16discard_iteratorINSC_11use_defaultEEESN_EEEEEPS7_SQ_SQ_NSC_11hip_rocprim7__merge17predicate_wrapperIssNSC_4lessIsEEEEEE10hipError_tPvRmT0_T1_T2_T3_T4_T5_mmT6_P12ihipStream_tbEUlT_E_NS1_11comp_targetILNS1_3genE8ELNS1_11target_archE1030ELNS1_3gpuE2ELNS1_3repE0EEENS1_30default_config_static_selectorELNS0_4arch9wavefront6targetE0EEEvS11_.num_vgpr, 0
	.set _ZN7rocprim17ROCPRIM_400000_NS6detail17trampoline_kernelINS0_14default_configENS1_21merge_config_selectorINS0_5tupleIJssEEENS0_10empty_typeEEEZNS1_10merge_implIS3_NS0_12zip_iteratorINS5_IJN6thrust23THRUST_200600_302600_NS6detail15normal_iteratorINSC_10device_ptrIKsEEEESI_EEEEESK_NSA_INS5_IJNSC_16discard_iteratorINSC_11use_defaultEEESN_EEEEEPS7_SQ_SQ_NSC_11hip_rocprim7__merge17predicate_wrapperIssNSC_4lessIsEEEEEE10hipError_tPvRmT0_T1_T2_T3_T4_T5_mmT6_P12ihipStream_tbEUlT_E_NS1_11comp_targetILNS1_3genE8ELNS1_11target_archE1030ELNS1_3gpuE2ELNS1_3repE0EEENS1_30default_config_static_selectorELNS0_4arch9wavefront6targetE0EEEvS11_.num_agpr, 0
	.set _ZN7rocprim17ROCPRIM_400000_NS6detail17trampoline_kernelINS0_14default_configENS1_21merge_config_selectorINS0_5tupleIJssEEENS0_10empty_typeEEEZNS1_10merge_implIS3_NS0_12zip_iteratorINS5_IJN6thrust23THRUST_200600_302600_NS6detail15normal_iteratorINSC_10device_ptrIKsEEEESI_EEEEESK_NSA_INS5_IJNSC_16discard_iteratorINSC_11use_defaultEEESN_EEEEEPS7_SQ_SQ_NSC_11hip_rocprim7__merge17predicate_wrapperIssNSC_4lessIsEEEEEE10hipError_tPvRmT0_T1_T2_T3_T4_T5_mmT6_P12ihipStream_tbEUlT_E_NS1_11comp_targetILNS1_3genE8ELNS1_11target_archE1030ELNS1_3gpuE2ELNS1_3repE0EEENS1_30default_config_static_selectorELNS0_4arch9wavefront6targetE0EEEvS11_.numbered_sgpr, 0
	.set _ZN7rocprim17ROCPRIM_400000_NS6detail17trampoline_kernelINS0_14default_configENS1_21merge_config_selectorINS0_5tupleIJssEEENS0_10empty_typeEEEZNS1_10merge_implIS3_NS0_12zip_iteratorINS5_IJN6thrust23THRUST_200600_302600_NS6detail15normal_iteratorINSC_10device_ptrIKsEEEESI_EEEEESK_NSA_INS5_IJNSC_16discard_iteratorINSC_11use_defaultEEESN_EEEEEPS7_SQ_SQ_NSC_11hip_rocprim7__merge17predicate_wrapperIssNSC_4lessIsEEEEEE10hipError_tPvRmT0_T1_T2_T3_T4_T5_mmT6_P12ihipStream_tbEUlT_E_NS1_11comp_targetILNS1_3genE8ELNS1_11target_archE1030ELNS1_3gpuE2ELNS1_3repE0EEENS1_30default_config_static_selectorELNS0_4arch9wavefront6targetE0EEEvS11_.num_named_barrier, 0
	.set _ZN7rocprim17ROCPRIM_400000_NS6detail17trampoline_kernelINS0_14default_configENS1_21merge_config_selectorINS0_5tupleIJssEEENS0_10empty_typeEEEZNS1_10merge_implIS3_NS0_12zip_iteratorINS5_IJN6thrust23THRUST_200600_302600_NS6detail15normal_iteratorINSC_10device_ptrIKsEEEESI_EEEEESK_NSA_INS5_IJNSC_16discard_iteratorINSC_11use_defaultEEESN_EEEEEPS7_SQ_SQ_NSC_11hip_rocprim7__merge17predicate_wrapperIssNSC_4lessIsEEEEEE10hipError_tPvRmT0_T1_T2_T3_T4_T5_mmT6_P12ihipStream_tbEUlT_E_NS1_11comp_targetILNS1_3genE8ELNS1_11target_archE1030ELNS1_3gpuE2ELNS1_3repE0EEENS1_30default_config_static_selectorELNS0_4arch9wavefront6targetE0EEEvS11_.private_seg_size, 0
	.set _ZN7rocprim17ROCPRIM_400000_NS6detail17trampoline_kernelINS0_14default_configENS1_21merge_config_selectorINS0_5tupleIJssEEENS0_10empty_typeEEEZNS1_10merge_implIS3_NS0_12zip_iteratorINS5_IJN6thrust23THRUST_200600_302600_NS6detail15normal_iteratorINSC_10device_ptrIKsEEEESI_EEEEESK_NSA_INS5_IJNSC_16discard_iteratorINSC_11use_defaultEEESN_EEEEEPS7_SQ_SQ_NSC_11hip_rocprim7__merge17predicate_wrapperIssNSC_4lessIsEEEEEE10hipError_tPvRmT0_T1_T2_T3_T4_T5_mmT6_P12ihipStream_tbEUlT_E_NS1_11comp_targetILNS1_3genE8ELNS1_11target_archE1030ELNS1_3gpuE2ELNS1_3repE0EEENS1_30default_config_static_selectorELNS0_4arch9wavefront6targetE0EEEvS11_.uses_vcc, 0
	.set _ZN7rocprim17ROCPRIM_400000_NS6detail17trampoline_kernelINS0_14default_configENS1_21merge_config_selectorINS0_5tupleIJssEEENS0_10empty_typeEEEZNS1_10merge_implIS3_NS0_12zip_iteratorINS5_IJN6thrust23THRUST_200600_302600_NS6detail15normal_iteratorINSC_10device_ptrIKsEEEESI_EEEEESK_NSA_INS5_IJNSC_16discard_iteratorINSC_11use_defaultEEESN_EEEEEPS7_SQ_SQ_NSC_11hip_rocprim7__merge17predicate_wrapperIssNSC_4lessIsEEEEEE10hipError_tPvRmT0_T1_T2_T3_T4_T5_mmT6_P12ihipStream_tbEUlT_E_NS1_11comp_targetILNS1_3genE8ELNS1_11target_archE1030ELNS1_3gpuE2ELNS1_3repE0EEENS1_30default_config_static_selectorELNS0_4arch9wavefront6targetE0EEEvS11_.uses_flat_scratch, 0
	.set _ZN7rocprim17ROCPRIM_400000_NS6detail17trampoline_kernelINS0_14default_configENS1_21merge_config_selectorINS0_5tupleIJssEEENS0_10empty_typeEEEZNS1_10merge_implIS3_NS0_12zip_iteratorINS5_IJN6thrust23THRUST_200600_302600_NS6detail15normal_iteratorINSC_10device_ptrIKsEEEESI_EEEEESK_NSA_INS5_IJNSC_16discard_iteratorINSC_11use_defaultEEESN_EEEEEPS7_SQ_SQ_NSC_11hip_rocprim7__merge17predicate_wrapperIssNSC_4lessIsEEEEEE10hipError_tPvRmT0_T1_T2_T3_T4_T5_mmT6_P12ihipStream_tbEUlT_E_NS1_11comp_targetILNS1_3genE8ELNS1_11target_archE1030ELNS1_3gpuE2ELNS1_3repE0EEENS1_30default_config_static_selectorELNS0_4arch9wavefront6targetE0EEEvS11_.has_dyn_sized_stack, 0
	.set _ZN7rocprim17ROCPRIM_400000_NS6detail17trampoline_kernelINS0_14default_configENS1_21merge_config_selectorINS0_5tupleIJssEEENS0_10empty_typeEEEZNS1_10merge_implIS3_NS0_12zip_iteratorINS5_IJN6thrust23THRUST_200600_302600_NS6detail15normal_iteratorINSC_10device_ptrIKsEEEESI_EEEEESK_NSA_INS5_IJNSC_16discard_iteratorINSC_11use_defaultEEESN_EEEEEPS7_SQ_SQ_NSC_11hip_rocprim7__merge17predicate_wrapperIssNSC_4lessIsEEEEEE10hipError_tPvRmT0_T1_T2_T3_T4_T5_mmT6_P12ihipStream_tbEUlT_E_NS1_11comp_targetILNS1_3genE8ELNS1_11target_archE1030ELNS1_3gpuE2ELNS1_3repE0EEENS1_30default_config_static_selectorELNS0_4arch9wavefront6targetE0EEEvS11_.has_recursion, 0
	.set _ZN7rocprim17ROCPRIM_400000_NS6detail17trampoline_kernelINS0_14default_configENS1_21merge_config_selectorINS0_5tupleIJssEEENS0_10empty_typeEEEZNS1_10merge_implIS3_NS0_12zip_iteratorINS5_IJN6thrust23THRUST_200600_302600_NS6detail15normal_iteratorINSC_10device_ptrIKsEEEESI_EEEEESK_NSA_INS5_IJNSC_16discard_iteratorINSC_11use_defaultEEESN_EEEEEPS7_SQ_SQ_NSC_11hip_rocprim7__merge17predicate_wrapperIssNSC_4lessIsEEEEEE10hipError_tPvRmT0_T1_T2_T3_T4_T5_mmT6_P12ihipStream_tbEUlT_E_NS1_11comp_targetILNS1_3genE8ELNS1_11target_archE1030ELNS1_3gpuE2ELNS1_3repE0EEENS1_30default_config_static_selectorELNS0_4arch9wavefront6targetE0EEEvS11_.has_indirect_call, 0
	.section	.AMDGPU.csdata,"",@progbits
; Kernel info:
; codeLenInByte = 0
; TotalNumSgprs: 0
; NumVgprs: 0
; ScratchSize: 0
; MemoryBound: 0
; FloatMode: 240
; IeeeMode: 1
; LDSByteSize: 0 bytes/workgroup (compile time only)
; SGPRBlocks: 0
; VGPRBlocks: 0
; NumSGPRsForWavesPerEU: 1
; NumVGPRsForWavesPerEU: 1
; NamedBarCnt: 0
; Occupancy: 16
; WaveLimiterHint : 0
; COMPUTE_PGM_RSRC2:SCRATCH_EN: 0
; COMPUTE_PGM_RSRC2:USER_SGPR: 2
; COMPUTE_PGM_RSRC2:TRAP_HANDLER: 0
; COMPUTE_PGM_RSRC2:TGID_X_EN: 1
; COMPUTE_PGM_RSRC2:TGID_Y_EN: 0
; COMPUTE_PGM_RSRC2:TGID_Z_EN: 0
; COMPUTE_PGM_RSRC2:TIDIG_COMP_CNT: 0
	.section	.text._ZN7rocprim17ROCPRIM_400000_NS6detail17trampoline_kernelINS0_14default_configENS1_21merge_config_selectorINS0_5tupleIJssEEENS0_10empty_typeEEEZNS1_10merge_implIS3_NS0_12zip_iteratorINS5_IJN6thrust23THRUST_200600_302600_NS6detail15normal_iteratorINSC_10device_ptrIKsEEEESI_EEEEESK_NSA_INS5_IJNSC_16discard_iteratorINSC_11use_defaultEEESN_EEEEEPS7_SQ_SQ_NSC_11hip_rocprim7__merge17predicate_wrapperIssNSC_4lessIsEEEEEE10hipError_tPvRmT0_T1_T2_T3_T4_T5_mmT6_P12ihipStream_tbEUlT_E0_NS1_11comp_targetILNS1_3genE0ELNS1_11target_archE4294967295ELNS1_3gpuE0ELNS1_3repE0EEENS1_30default_config_static_selectorELNS0_4arch9wavefront6targetE0EEEvS11_,"axG",@progbits,_ZN7rocprim17ROCPRIM_400000_NS6detail17trampoline_kernelINS0_14default_configENS1_21merge_config_selectorINS0_5tupleIJssEEENS0_10empty_typeEEEZNS1_10merge_implIS3_NS0_12zip_iteratorINS5_IJN6thrust23THRUST_200600_302600_NS6detail15normal_iteratorINSC_10device_ptrIKsEEEESI_EEEEESK_NSA_INS5_IJNSC_16discard_iteratorINSC_11use_defaultEEESN_EEEEEPS7_SQ_SQ_NSC_11hip_rocprim7__merge17predicate_wrapperIssNSC_4lessIsEEEEEE10hipError_tPvRmT0_T1_T2_T3_T4_T5_mmT6_P12ihipStream_tbEUlT_E0_NS1_11comp_targetILNS1_3genE0ELNS1_11target_archE4294967295ELNS1_3gpuE0ELNS1_3repE0EEENS1_30default_config_static_selectorELNS0_4arch9wavefront6targetE0EEEvS11_,comdat
	.protected	_ZN7rocprim17ROCPRIM_400000_NS6detail17trampoline_kernelINS0_14default_configENS1_21merge_config_selectorINS0_5tupleIJssEEENS0_10empty_typeEEEZNS1_10merge_implIS3_NS0_12zip_iteratorINS5_IJN6thrust23THRUST_200600_302600_NS6detail15normal_iteratorINSC_10device_ptrIKsEEEESI_EEEEESK_NSA_INS5_IJNSC_16discard_iteratorINSC_11use_defaultEEESN_EEEEEPS7_SQ_SQ_NSC_11hip_rocprim7__merge17predicate_wrapperIssNSC_4lessIsEEEEEE10hipError_tPvRmT0_T1_T2_T3_T4_T5_mmT6_P12ihipStream_tbEUlT_E0_NS1_11comp_targetILNS1_3genE0ELNS1_11target_archE4294967295ELNS1_3gpuE0ELNS1_3repE0EEENS1_30default_config_static_selectorELNS0_4arch9wavefront6targetE0EEEvS11_ ; -- Begin function _ZN7rocprim17ROCPRIM_400000_NS6detail17trampoline_kernelINS0_14default_configENS1_21merge_config_selectorINS0_5tupleIJssEEENS0_10empty_typeEEEZNS1_10merge_implIS3_NS0_12zip_iteratorINS5_IJN6thrust23THRUST_200600_302600_NS6detail15normal_iteratorINSC_10device_ptrIKsEEEESI_EEEEESK_NSA_INS5_IJNSC_16discard_iteratorINSC_11use_defaultEEESN_EEEEEPS7_SQ_SQ_NSC_11hip_rocprim7__merge17predicate_wrapperIssNSC_4lessIsEEEEEE10hipError_tPvRmT0_T1_T2_T3_T4_T5_mmT6_P12ihipStream_tbEUlT_E0_NS1_11comp_targetILNS1_3genE0ELNS1_11target_archE4294967295ELNS1_3gpuE0ELNS1_3repE0EEENS1_30default_config_static_selectorELNS0_4arch9wavefront6targetE0EEEvS11_
	.globl	_ZN7rocprim17ROCPRIM_400000_NS6detail17trampoline_kernelINS0_14default_configENS1_21merge_config_selectorINS0_5tupleIJssEEENS0_10empty_typeEEEZNS1_10merge_implIS3_NS0_12zip_iteratorINS5_IJN6thrust23THRUST_200600_302600_NS6detail15normal_iteratorINSC_10device_ptrIKsEEEESI_EEEEESK_NSA_INS5_IJNSC_16discard_iteratorINSC_11use_defaultEEESN_EEEEEPS7_SQ_SQ_NSC_11hip_rocprim7__merge17predicate_wrapperIssNSC_4lessIsEEEEEE10hipError_tPvRmT0_T1_T2_T3_T4_T5_mmT6_P12ihipStream_tbEUlT_E0_NS1_11comp_targetILNS1_3genE0ELNS1_11target_archE4294967295ELNS1_3gpuE0ELNS1_3repE0EEENS1_30default_config_static_selectorELNS0_4arch9wavefront6targetE0EEEvS11_
	.p2align	8
	.type	_ZN7rocprim17ROCPRIM_400000_NS6detail17trampoline_kernelINS0_14default_configENS1_21merge_config_selectorINS0_5tupleIJssEEENS0_10empty_typeEEEZNS1_10merge_implIS3_NS0_12zip_iteratorINS5_IJN6thrust23THRUST_200600_302600_NS6detail15normal_iteratorINSC_10device_ptrIKsEEEESI_EEEEESK_NSA_INS5_IJNSC_16discard_iteratorINSC_11use_defaultEEESN_EEEEEPS7_SQ_SQ_NSC_11hip_rocprim7__merge17predicate_wrapperIssNSC_4lessIsEEEEEE10hipError_tPvRmT0_T1_T2_T3_T4_T5_mmT6_P12ihipStream_tbEUlT_E0_NS1_11comp_targetILNS1_3genE0ELNS1_11target_archE4294967295ELNS1_3gpuE0ELNS1_3repE0EEENS1_30default_config_static_selectorELNS0_4arch9wavefront6targetE0EEEvS11_,@function
_ZN7rocprim17ROCPRIM_400000_NS6detail17trampoline_kernelINS0_14default_configENS1_21merge_config_selectorINS0_5tupleIJssEEENS0_10empty_typeEEEZNS1_10merge_implIS3_NS0_12zip_iteratorINS5_IJN6thrust23THRUST_200600_302600_NS6detail15normal_iteratorINSC_10device_ptrIKsEEEESI_EEEEESK_NSA_INS5_IJNSC_16discard_iteratorINSC_11use_defaultEEESN_EEEEEPS7_SQ_SQ_NSC_11hip_rocprim7__merge17predicate_wrapperIssNSC_4lessIsEEEEEE10hipError_tPvRmT0_T1_T2_T3_T4_T5_mmT6_P12ihipStream_tbEUlT_E0_NS1_11comp_targetILNS1_3genE0ELNS1_11target_archE4294967295ELNS1_3gpuE0ELNS1_3repE0EEENS1_30default_config_static_selectorELNS0_4arch9wavefront6targetE0EEEvS11_: ; @_ZN7rocprim17ROCPRIM_400000_NS6detail17trampoline_kernelINS0_14default_configENS1_21merge_config_selectorINS0_5tupleIJssEEENS0_10empty_typeEEEZNS1_10merge_implIS3_NS0_12zip_iteratorINS5_IJN6thrust23THRUST_200600_302600_NS6detail15normal_iteratorINSC_10device_ptrIKsEEEESI_EEEEESK_NSA_INS5_IJNSC_16discard_iteratorINSC_11use_defaultEEESN_EEEEEPS7_SQ_SQ_NSC_11hip_rocprim7__merge17predicate_wrapperIssNSC_4lessIsEEEEEE10hipError_tPvRmT0_T1_T2_T3_T4_T5_mmT6_P12ihipStream_tbEUlT_E0_NS1_11comp_targetILNS1_3genE0ELNS1_11target_archE4294967295ELNS1_3gpuE0ELNS1_3repE0EEENS1_30default_config_static_selectorELNS0_4arch9wavefront6targetE0EEEvS11_
; %bb.0:
	s_clause 0x1
	s_load_b128 s[12:15], s[0:1], 0x68
	s_load_b256 s[4:11], s[0:1], 0x8
	s_bfe_u32 s2, ttmp6, 0x4000c
	s_and_b32 s3, ttmp6, 15
	s_add_co_i32 s2, s2, 1
	s_wait_kmcnt 0x0
	s_getreg_b32 s13, hwreg(HW_REG_IB_STS2, 6, 4)
	s_mul_i32 s2, ttmp9, s2
	v_mov_b32_e32 v1, 0
	s_add_co_i32 s3, s3, s2
	s_cmp_eq_u32 s13, 0
	s_cselect_b32 s2, ttmp9, s3
	s_delay_alu instid0(SALU_CYCLE_1) | instskip(SKIP_3) | instid1(SALU_CYCLE_1)
	s_mul_i32 s17, s2, 0xa00
	s_add_co_i32 s16, s14, s12
	s_add_co_i32 s12, s2, 1
	;; [unrolled: 1-line block ×3, first 2 shown]
	s_mul_hi_u32 s3, s3, 0xcccccccd
	s_delay_alu instid0(SALU_CYCLE_1) | instskip(NEXT) | instid1(SALU_CYCLE_1)
	s_lshr_b32 s3, s3, 11
	s_min_u32 s13, s2, s3
	s_min_u32 s3, s12, s3
	s_clause 0x1
	s_load_b32 s12, s[4:5], s13 offset:0x0 scale_offset
	s_load_b32 s20, s[4:5], s3 offset:0x0 scale_offset
	s_load_b64 s[18:19], s[0:1], 0x28
	s_wait_xcnt 0x0
	s_mov_b32 s13, 0
	s_add_co_i32 s0, s17, 0xa00
	s_mov_b32 s1, s13
	s_min_u32 s21, s16, s0
	s_wait_kmcnt 0x0
	s_sub_co_i32 s0, s17, s12
	s_lshl_b64 s[14:15], s[12:13], 1
	s_lshl_b64 s[4:5], s[0:1], 1
	s_add_co_i32 s0, s0, s20
	s_sub_co_i32 s12, s20, s12
	s_sub_co_i32 s0, s21, s0
	s_add_nc_u64 s[2:3], s[10:11], s[4:5]
	s_add_nc_u64 s[4:5], s[18:19], s[4:5]
	;; [unrolled: 1-line block ×3, first 2 shown]
	s_mov_b32 s1, exec_lo
	v_cmpx_le_u32_e64 s12, v0
	s_xor_b32 s1, exec_lo, s1
	s_cbranch_execz .LBB614_4
; %bb.1:
	s_mov_b32 s18, exec_lo
	v_cmpx_gt_u64_e64 s[10:11], v[0:1]
	s_cbranch_execz .LBB614_3
; %bb.2:
	v_subrev_nc_u32_e32 v2, s12, v0
	s_clause 0x1
	global_load_u16 v3, v2, s[2:3] scale_offset
	global_load_u16 v4, v2, s[4:5] scale_offset
	s_wait_xcnt 0x0
	v_lshlrev_b32_e32 v2, 2, v0
	s_wait_loadcnt 0x0
	v_perm_b32 v3, v4, v3, 0x5040100
	ds_store_b32 v2, v3
.LBB614_3:
	s_or_b32 exec_lo, exec_lo, s18
.LBB614_4:
	s_or_saveexec_b32 s1, s1
	v_lshlrev_b32_e32 v4, 2, v0
	s_add_nc_u64 s[6:7], s[6:7], s[14:15]
	s_add_nc_u64 s[8:9], s[8:9], s[14:15]
	s_xor_b32 exec_lo, exec_lo, s1
	s_cbranch_execz .LBB614_6
; %bb.5:
	s_clause 0x1
	global_load_u16 v2, v0, s[6:7] scale_offset
	global_load_u16 v3, v0, s[8:9] scale_offset
	s_wait_loadcnt 0x0
	v_perm_b32 v2, v3, v2, 0x5040100
	ds_store_b32 v4, v2
.LBB614_6:
	s_or_b32 exec_lo, exec_lo, s1
	v_or_b32_e32 v2, 0x100, v0
	s_mov_b32 s1, exec_lo
	s_delay_alu instid0(VALU_DEP_1)
	v_cmpx_le_u32_e64 s12, v2
	s_xor_b32 s1, exec_lo, s1
	s_cbranch_execz .LBB614_10
; %bb.7:
	v_mov_b32_e32 v3, 0
	s_mov_b32 s14, exec_lo
	s_delay_alu instid0(VALU_DEP_1)
	v_cmpx_gt_u64_e64 s[10:11], v[2:3]
	s_cbranch_execz .LBB614_9
; %bb.8:
	v_sub_nc_u64_e64 v[2:3], v[0:1], s[12:13]
	s_delay_alu instid0(VALU_DEP_1) | instskip(NEXT) | instid1(VALU_DEP_1)
	v_lshlrev_b64_e32 v[2:3], 1, v[2:3]
	v_add_nc_u64_e32 v[6:7], s[2:3], v[2:3]
	v_add_nc_u64_e32 v[2:3], s[4:5], v[2:3]
	global_load_u16 v5, v[6:7], off offset:512
	global_load_u16 v8, v[2:3], off offset:512
	s_wait_loadcnt 0x0
	v_perm_b32 v2, v8, v5, 0x5040100
	ds_store_b32 v4, v2 offset:1024
.LBB614_9:
	s_or_b32 exec_lo, exec_lo, s14
.LBB614_10:
	s_and_not1_saveexec_b32 s1, s1
	s_cbranch_execz .LBB614_12
; %bb.11:
	s_clause 0x1
	global_load_u16 v2, v0, s[6:7] offset:512 scale_offset
	global_load_u16 v3, v0, s[8:9] offset:512 scale_offset
	s_wait_loadcnt 0x0
	v_perm_b32 v2, v3, v2, 0x5040100
	ds_store_b32 v4, v2 offset:1024
.LBB614_12:
	s_or_b32 exec_lo, exec_lo, s1
	v_or_b32_e32 v2, 0x200, v0
	s_mov_b32 s1, exec_lo
	s_delay_alu instid0(VALU_DEP_1)
	v_cmpx_le_u32_e64 s12, v2
	s_xor_b32 s1, exec_lo, s1
	s_cbranch_execz .LBB614_16
; %bb.13:
	v_mov_b32_e32 v3, 0
	s_mov_b32 s14, exec_lo
	s_delay_alu instid0(VALU_DEP_1)
	v_cmpx_gt_u64_e64 s[10:11], v[2:3]
	s_cbranch_execz .LBB614_15
; %bb.14:
	v_sub_nc_u64_e64 v[2:3], v[0:1], s[12:13]
	s_delay_alu instid0(VALU_DEP_1) | instskip(NEXT) | instid1(VALU_DEP_1)
	v_lshlrev_b64_e32 v[2:3], 1, v[2:3]
	v_add_nc_u64_e32 v[6:7], s[2:3], v[2:3]
	v_add_nc_u64_e32 v[2:3], s[4:5], v[2:3]
	global_load_u16 v5, v[6:7], off offset:1024
	global_load_u16 v8, v[2:3], off offset:1024
	s_wait_loadcnt 0x0
	v_perm_b32 v2, v8, v5, 0x5040100
	ds_store_b32 v4, v2 offset:2048
.LBB614_15:
	s_or_b32 exec_lo, exec_lo, s14
.LBB614_16:
	s_and_not1_saveexec_b32 s1, s1
	s_cbranch_execz .LBB614_18
; %bb.17:
	s_clause 0x1
	global_load_u16 v2, v0, s[6:7] offset:1024 scale_offset
	global_load_u16 v3, v0, s[8:9] offset:1024 scale_offset
	s_wait_loadcnt 0x0
	v_perm_b32 v2, v3, v2, 0x5040100
	ds_store_b32 v4, v2 offset:2048
.LBB614_18:
	s_or_b32 exec_lo, exec_lo, s1
	v_or_b32_e32 v2, 0x300, v0
	s_mov_b32 s1, exec_lo
	s_delay_alu instid0(VALU_DEP_1)
	v_cmpx_le_u32_e64 s12, v2
	s_xor_b32 s1, exec_lo, s1
	s_cbranch_execz .LBB614_22
; %bb.19:
	v_mov_b32_e32 v3, 0
	s_mov_b32 s14, exec_lo
	s_delay_alu instid0(VALU_DEP_1)
	v_cmpx_gt_u64_e64 s[10:11], v[2:3]
	s_cbranch_execz .LBB614_21
; %bb.20:
	v_sub_nc_u64_e64 v[2:3], v[0:1], s[12:13]
	s_delay_alu instid0(VALU_DEP_1) | instskip(NEXT) | instid1(VALU_DEP_1)
	v_lshlrev_b64_e32 v[2:3], 1, v[2:3]
	v_add_nc_u64_e32 v[6:7], s[2:3], v[2:3]
	v_add_nc_u64_e32 v[2:3], s[4:5], v[2:3]
	global_load_u16 v5, v[6:7], off offset:1536
	global_load_u16 v8, v[2:3], off offset:1536
	s_wait_loadcnt 0x0
	v_perm_b32 v2, v8, v5, 0x5040100
	ds_store_b32 v4, v2 offset:3072
.LBB614_21:
	s_or_b32 exec_lo, exec_lo, s14
.LBB614_22:
	s_and_not1_saveexec_b32 s1, s1
	s_cbranch_execz .LBB614_24
; %bb.23:
	s_clause 0x1
	global_load_u16 v2, v0, s[6:7] offset:1536 scale_offset
	global_load_u16 v3, v0, s[8:9] offset:1536 scale_offset
	s_wait_loadcnt 0x0
	v_perm_b32 v2, v3, v2, 0x5040100
	ds_store_b32 v4, v2 offset:3072
.LBB614_24:
	s_or_b32 exec_lo, exec_lo, s1
	v_or_b32_e32 v2, 0x400, v0
	s_mov_b32 s1, exec_lo
	s_delay_alu instid0(VALU_DEP_1)
	v_cmpx_le_u32_e64 s12, v2
	s_xor_b32 s1, exec_lo, s1
	s_cbranch_execz .LBB614_28
; %bb.25:
	v_mov_b32_e32 v3, 0
	s_mov_b32 s14, exec_lo
	s_delay_alu instid0(VALU_DEP_1)
	v_cmpx_gt_u64_e64 s[10:11], v[2:3]
	s_cbranch_execz .LBB614_27
; %bb.26:
	v_sub_nc_u64_e64 v[2:3], v[0:1], s[12:13]
	s_delay_alu instid0(VALU_DEP_1) | instskip(NEXT) | instid1(VALU_DEP_1)
	v_lshlrev_b64_e32 v[2:3], 1, v[2:3]
	v_add_nc_u64_e32 v[6:7], s[2:3], v[2:3]
	v_add_nc_u64_e32 v[2:3], s[4:5], v[2:3]
	global_load_u16 v5, v[6:7], off offset:2048
	global_load_u16 v8, v[2:3], off offset:2048
	s_wait_loadcnt 0x0
	v_perm_b32 v2, v8, v5, 0x5040100
	ds_store_b32 v4, v2 offset:4096
.LBB614_27:
	s_or_b32 exec_lo, exec_lo, s14
.LBB614_28:
	s_and_not1_saveexec_b32 s1, s1
	s_cbranch_execz .LBB614_30
; %bb.29:
	s_clause 0x1
	global_load_u16 v2, v0, s[6:7] offset:2048 scale_offset
	global_load_u16 v3, v0, s[8:9] offset:2048 scale_offset
	s_wait_loadcnt 0x0
	v_perm_b32 v2, v3, v2, 0x5040100
	ds_store_b32 v4, v2 offset:4096
.LBB614_30:
	s_or_b32 exec_lo, exec_lo, s1
	v_or_b32_e32 v2, 0x500, v0
	s_mov_b32 s1, exec_lo
	s_delay_alu instid0(VALU_DEP_1)
	v_cmpx_le_u32_e64 s12, v2
	s_xor_b32 s1, exec_lo, s1
	s_cbranch_execz .LBB614_34
; %bb.31:
	v_mov_b32_e32 v3, 0
	s_mov_b32 s14, exec_lo
	s_delay_alu instid0(VALU_DEP_1)
	v_cmpx_gt_u64_e64 s[10:11], v[2:3]
	s_cbranch_execz .LBB614_33
; %bb.32:
	v_sub_nc_u64_e64 v[2:3], v[0:1], s[12:13]
	s_delay_alu instid0(VALU_DEP_1) | instskip(NEXT) | instid1(VALU_DEP_1)
	v_lshlrev_b64_e32 v[2:3], 1, v[2:3]
	v_add_nc_u64_e32 v[6:7], s[2:3], v[2:3]
	v_add_nc_u64_e32 v[2:3], s[4:5], v[2:3]
	global_load_u16 v5, v[6:7], off offset:2560
	global_load_u16 v8, v[2:3], off offset:2560
	s_wait_loadcnt 0x0
	v_perm_b32 v2, v8, v5, 0x5040100
	ds_store_b32 v4, v2 offset:5120
.LBB614_33:
	s_or_b32 exec_lo, exec_lo, s14
.LBB614_34:
	s_and_not1_saveexec_b32 s1, s1
	s_cbranch_execz .LBB614_36
; %bb.35:
	s_clause 0x1
	global_load_u16 v2, v0, s[6:7] offset:2560 scale_offset
	global_load_u16 v3, v0, s[8:9] offset:2560 scale_offset
	s_wait_loadcnt 0x0
	v_perm_b32 v2, v3, v2, 0x5040100
	ds_store_b32 v4, v2 offset:5120
.LBB614_36:
	s_or_b32 exec_lo, exec_lo, s1
	v_or_b32_e32 v2, 0x600, v0
	s_mov_b32 s1, exec_lo
	s_delay_alu instid0(VALU_DEP_1)
	v_cmpx_le_u32_e64 s12, v2
	s_xor_b32 s1, exec_lo, s1
	s_cbranch_execz .LBB614_40
; %bb.37:
	v_mov_b32_e32 v3, 0
	s_mov_b32 s14, exec_lo
	s_delay_alu instid0(VALU_DEP_1)
	v_cmpx_gt_u64_e64 s[10:11], v[2:3]
	s_cbranch_execz .LBB614_39
; %bb.38:
	v_sub_nc_u64_e64 v[2:3], v[0:1], s[12:13]
	s_delay_alu instid0(VALU_DEP_1) | instskip(NEXT) | instid1(VALU_DEP_1)
	v_lshlrev_b64_e32 v[2:3], 1, v[2:3]
	v_add_nc_u64_e32 v[6:7], s[2:3], v[2:3]
	v_add_nc_u64_e32 v[2:3], s[4:5], v[2:3]
	global_load_u16 v5, v[6:7], off offset:3072
	global_load_u16 v8, v[2:3], off offset:3072
	s_wait_loadcnt 0x0
	v_perm_b32 v2, v8, v5, 0x5040100
	ds_store_b32 v4, v2 offset:6144
.LBB614_39:
	s_or_b32 exec_lo, exec_lo, s14
.LBB614_40:
	s_and_not1_saveexec_b32 s1, s1
	s_cbranch_execz .LBB614_42
; %bb.41:
	s_clause 0x1
	global_load_u16 v2, v0, s[6:7] offset:3072 scale_offset
	global_load_u16 v3, v0, s[8:9] offset:3072 scale_offset
	s_wait_loadcnt 0x0
	v_perm_b32 v2, v3, v2, 0x5040100
	ds_store_b32 v4, v2 offset:6144
.LBB614_42:
	s_or_b32 exec_lo, exec_lo, s1
	v_or_b32_e32 v2, 0x700, v0
	s_mov_b32 s1, exec_lo
	s_delay_alu instid0(VALU_DEP_1)
	v_cmpx_le_u32_e64 s12, v2
	s_xor_b32 s1, exec_lo, s1
	s_cbranch_execz .LBB614_46
; %bb.43:
	v_mov_b32_e32 v3, 0
	s_mov_b32 s14, exec_lo
	s_delay_alu instid0(VALU_DEP_1)
	v_cmpx_gt_u64_e64 s[10:11], v[2:3]
	s_cbranch_execz .LBB614_45
; %bb.44:
	v_sub_nc_u64_e64 v[2:3], v[0:1], s[12:13]
	s_delay_alu instid0(VALU_DEP_1) | instskip(NEXT) | instid1(VALU_DEP_1)
	v_lshlrev_b64_e32 v[2:3], 1, v[2:3]
	v_add_nc_u64_e32 v[6:7], s[2:3], v[2:3]
	v_add_nc_u64_e32 v[2:3], s[4:5], v[2:3]
	global_load_u16 v5, v[6:7], off offset:3584
	global_load_u16 v8, v[2:3], off offset:3584
	s_wait_loadcnt 0x0
	v_perm_b32 v2, v8, v5, 0x5040100
	ds_store_b32 v4, v2 offset:7168
.LBB614_45:
	s_or_b32 exec_lo, exec_lo, s14
.LBB614_46:
	s_and_not1_saveexec_b32 s1, s1
	s_cbranch_execz .LBB614_48
; %bb.47:
	s_clause 0x1
	global_load_u16 v2, v0, s[6:7] offset:3584 scale_offset
	global_load_u16 v3, v0, s[8:9] offset:3584 scale_offset
	s_wait_loadcnt 0x0
	v_perm_b32 v2, v3, v2, 0x5040100
	ds_store_b32 v4, v2 offset:7168
.LBB614_48:
	s_or_b32 exec_lo, exec_lo, s1
	v_or_b32_e32 v2, 0x800, v0
	s_mov_b32 s1, exec_lo
	s_delay_alu instid0(VALU_DEP_1)
	v_cmpx_le_u32_e64 s12, v2
	s_xor_b32 s1, exec_lo, s1
	s_cbranch_execz .LBB614_52
; %bb.49:
	v_mov_b32_e32 v3, 0
	s_mov_b32 s14, exec_lo
	s_delay_alu instid0(VALU_DEP_1)
	v_cmpx_gt_u64_e64 s[10:11], v[2:3]
	s_cbranch_execz .LBB614_51
; %bb.50:
	v_sub_nc_u64_e64 v[2:3], v[0:1], s[12:13]
	s_delay_alu instid0(VALU_DEP_1) | instskip(NEXT) | instid1(VALU_DEP_1)
	v_lshlrev_b64_e32 v[2:3], 1, v[2:3]
	v_add_nc_u64_e32 v[6:7], s[2:3], v[2:3]
	v_add_nc_u64_e32 v[2:3], s[4:5], v[2:3]
	global_load_u16 v5, v[6:7], off offset:4096
	global_load_u16 v8, v[2:3], off offset:4096
	s_wait_loadcnt 0x0
	v_perm_b32 v2, v8, v5, 0x5040100
	ds_store_b32 v4, v2 offset:8192
.LBB614_51:
	s_or_b32 exec_lo, exec_lo, s14
.LBB614_52:
	s_and_not1_saveexec_b32 s1, s1
	s_cbranch_execz .LBB614_54
; %bb.53:
	s_clause 0x1
	global_load_u16 v2, v0, s[6:7] offset:4096 scale_offset
	global_load_u16 v3, v0, s[8:9] offset:4096 scale_offset
	s_wait_loadcnt 0x0
	v_perm_b32 v2, v3, v2, 0x5040100
	ds_store_b32 v4, v2 offset:8192
.LBB614_54:
	s_or_b32 exec_lo, exec_lo, s1
	v_or_b32_e32 v2, 0x900, v0
	s_mov_b32 s1, exec_lo
	s_delay_alu instid0(VALU_DEP_1)
	v_cmpx_le_u32_e64 s12, v2
	s_xor_b32 s1, exec_lo, s1
	s_cbranch_execz .LBB614_58
; %bb.55:
	v_mov_b32_e32 v3, 0
	s_delay_alu instid0(VALU_DEP_1)
	v_cmp_gt_u64_e32 vcc_lo, s[10:11], v[2:3]
	s_and_saveexec_b32 s10, vcc_lo
	s_cbranch_execz .LBB614_57
; %bb.56:
	v_sub_nc_u64_e64 v[2:3], v[0:1], s[12:13]
	s_delay_alu instid0(VALU_DEP_1) | instskip(NEXT) | instid1(VALU_DEP_1)
	v_lshlrev_b64_e32 v[2:3], 1, v[2:3]
	v_add_nc_u64_e32 v[6:7], s[2:3], v[2:3]
	v_add_nc_u64_e32 v[2:3], s[4:5], v[2:3]
	global_load_u16 v1, v[6:7], off offset:4608
	global_load_u16 v5, v[2:3], off offset:4608
	s_wait_loadcnt 0x0
	v_perm_b32 v1, v5, v1, 0x5040100
	ds_store_b32 v4, v1 offset:9216
.LBB614_57:
	s_or_b32 exec_lo, exec_lo, s10
                                        ; implicit-def: $vgpr4
.LBB614_58:
	s_and_not1_saveexec_b32 s1, s1
	s_cbranch_execz .LBB614_60
; %bb.59:
	s_clause 0x1
	global_load_u16 v1, v0, s[6:7] offset:4608 scale_offset
	global_load_u16 v2, v0, s[8:9] offset:4608 scale_offset
	s_wait_loadcnt 0x0
	v_perm_b32 v1, v2, v1, 0x5040100
	ds_store_b32 v4, v1 offset:9216
.LBB614_60:
	s_or_b32 exec_lo, exec_lo, s1
	v_mul_u32_u24_e32 v0, 10, v0
	s_mov_b32 s1, exec_lo
	s_wait_dscnt 0x0
	s_barrier_signal -1
	s_barrier_wait -1
	v_sub_nc_u32_e64 v11, v0, s0 clamp
	v_min_u32_e32 v1, s12, v0
	v_lshlrev_b32_e32 v10, 2, v0
	s_delay_alu instid0(VALU_DEP_2)
	v_cmpx_lt_u32_e64 v11, v1
	s_cbranch_execz .LBB614_64
; %bb.61:
	s_delay_alu instid0(VALU_DEP_2)
	v_lshl_add_u32 v2, s12, 2, v10
	s_mov_b32 s2, 0
.LBB614_62:                             ; =>This Inner Loop Header: Depth=1
	v_add_nc_u32_e32 v3, v1, v11
	s_delay_alu instid0(VALU_DEP_1) | instskip(NEXT) | instid1(VALU_DEP_1)
	v_lshrrev_b32_e32 v3, 1, v3
	v_not_b32_e32 v4, v3
	v_dual_lshlrev_b32 v5, 2, v3 :: v_dual_add_nc_u32 v6, 1, v3
	s_delay_alu instid0(VALU_DEP_2)
	v_lshl_add_u32 v4, v4, 2, v2
	ds_load_b32 v5, v5
	ds_load_b32 v4, v4
	s_wait_dscnt 0x0
	v_cmp_lt_i16_e32 vcc_lo, v4, v5
	v_cndmask_b32_e32 v1, v1, v3, vcc_lo
	v_cndmask_b32_e32 v11, v6, v11, vcc_lo
	s_delay_alu instid0(VALU_DEP_1) | instskip(SKIP_1) | instid1(SALU_CYCLE_1)
	v_cmp_ge_u32_e32 vcc_lo, v11, v1
	s_or_b32 s2, vcc_lo, s2
	s_and_not1_b32 exec_lo, exec_lo, s2
	s_cbranch_execnz .LBB614_62
; %bb.63:
	s_or_b32 exec_lo, exec_lo, s2
.LBB614_64:
	s_delay_alu instid0(SALU_CYCLE_1) | instskip(SKIP_4) | instid1(VALU_DEP_3)
	s_or_b32 exec_lo, exec_lo, s1
	v_dual_add_nc_u32 v2, s12, v0 :: v_dual_mov_b32 v0, 0
	v_mov_b32_e32 v1, 0
	s_add_co_i32 s10, s0, s12
	v_cmp_ge_u32_e32 vcc_lo, s12, v11
	v_dual_sub_nc_u32 v12, v2, v11 :: v_dual_mov_b32 v2, 0
	v_dual_mov_b32 v3, 0 :: v_dual_mov_b32 v4, 0
	v_mov_b32_e32 v5, 0
	s_delay_alu instid0(VALU_DEP_3) | instskip(SKIP_3) | instid1(SALU_CYCLE_1)
	v_cmp_ge_u32_e64 s0, s10, v12
	v_dual_mov_b32 v6, 0 :: v_dual_mov_b32 v7, 0
	v_dual_mov_b32 v8, 0 :: v_dual_mov_b32 v9, 0
	s_or_b32 s0, vcc_lo, s0
	s_and_saveexec_b32 s9, s0
	s_cbranch_execz .LBB614_70
; %bb.65:
	v_cmp_gt_u32_e32 vcc_lo, s12, v11
	v_dual_mov_b32 v1, 0 :: v_dual_mov_b32 v2, 0
	v_mov_b32_e32 v0, 0
	s_and_saveexec_b32 s0, vcc_lo
	s_cbranch_execz .LBB614_67
; %bb.66:
	v_lshlrev_b32_e32 v0, 2, v11
	ds_load_b32 v2, v0
	s_wait_dscnt 0x0
	v_lshrrev_b32_e32 v0, 16, v2
.LBB614_67:
	s_or_b32 exec_lo, exec_lo, s0
	v_cmp_le_u32_e64 s0, s10, v12
	v_mov_b32_e32 v3, 0
	s_mov_b32 s2, exec_lo
	v_cmpx_gt_u32_e64 s10, v12
	s_cbranch_execz .LBB614_69
; %bb.68:
	v_lshlrev_b32_e32 v1, 2, v12
	ds_load_b32 v1, v1
	s_wait_dscnt 0x0
	v_lshrrev_b32_e32 v3, 16, v1
.LBB614_69:
	s_or_b32 exec_lo, exec_lo, s2
	v_cmp_ge_i16_e64 s1, v1, v2
	s_delay_alu instid0(VALU_DEP_2) | instskip(SKIP_1) | instid1(SALU_CYCLE_1)
	v_lshlrev_b32_e32 v29, 16, v3
	s_and_b32 s1, vcc_lo, s1
	s_or_b32 vcc_lo, s0, s1
	v_dual_mov_b32 v4, s12 :: v_dual_cndmask_b32 v5, v12, v11
	s_delay_alu instid0(VALU_DEP_1) | instskip(NEXT) | instid1(VALU_DEP_1)
	v_dual_cndmask_b32 v6, s10, v4 :: v_dual_add_nc_u32 v5, 1, v5
	v_add_min_u32_e64 v6, v6, -1, v5
	v_dual_cndmask_b32 v7, v11, v5, vcc_lo :: v_dual_cndmask_b32 v5, v5, v12, vcc_lo
	s_delay_alu instid0(VALU_DEP_2) | instskip(NEXT) | instid1(VALU_DEP_2)
	v_lshlrev_b32_e32 v6, 2, v6
	v_cmp_gt_u32_e64 s0, s12, v7
	s_delay_alu instid0(VALU_DEP_3)
	v_cmp_le_u32_e64 s2, s10, v5
	ds_load_b32 v6, v6
	s_wait_dscnt 0x0
	v_cndmask_b32_e32 v8, v6, v1, vcc_lo
	v_cndmask_b32_e32 v9, v2, v6, vcc_lo
	v_and_b32_e32 v2, 0xffff, v2
	v_and_b32_e32 v1, 0xffff, v1
	v_lshrrev_b32_e32 v6, 16, v6
	s_delay_alu instid0(VALU_DEP_4) | instskip(NEXT) | instid1(VALU_DEP_2)
	v_cmp_ge_i16_e64 s1, v8, v9
	v_dual_cndmask_b32 v3, v6, v3, vcc_lo :: v_dual_bitop2_b32 v1, v29, v1 bitop3:0x54
	v_cndmask_b32_e32 v6, v0, v6, vcc_lo
	s_and_b32 s0, s0, s1
	s_delay_alu instid0(SALU_CYCLE_1) | instskip(NEXT) | instid1(SALU_CYCLE_1)
	s_or_b32 s0, s2, s0
	v_cndmask_b32_e64 v11, v5, v7, s0
	s_delay_alu instid0(VALU_DEP_1) | instskip(NEXT) | instid1(VALU_DEP_1)
	v_dual_cndmask_b32 v12, s10, v4, s0 :: v_dual_add_nc_u32 v11, 1, v11
	v_add_min_u32_e64 v12, v12, -1, v11
	v_cndmask_b32_e64 v7, v7, v11, s0
	s_delay_alu instid0(VALU_DEP_2) | instskip(NEXT) | instid1(VALU_DEP_2)
	v_dual_cndmask_b32 v5, v11, v5, s0 :: v_dual_lshlrev_b32 v12, 2, v12
	v_cmp_gt_u32_e64 s1, s12, v7
	s_delay_alu instid0(VALU_DEP_2)
	v_cmp_le_u32_e64 s3, s10, v5
	ds_load_b32 v12, v12
	s_wait_dscnt 0x0
	v_dual_lshlrev_b32 v29, 16, v3 :: v_dual_cndmask_b32 v13, v12, v8, s0
	v_cndmask_b32_e64 v14, v9, v12, s0
	v_and_b32_e32 v9, 0xffff, v9
	v_and_b32_e32 v8, 0xffff, v8
	v_lshrrev_b32_e32 v12, 16, v12
	s_delay_alu instid0(VALU_DEP_4) | instskip(NEXT) | instid1(VALU_DEP_2)
	v_cmp_ge_i16_e64 s2, v13, v14
	v_cndmask_b32_e64 v3, v12, v3, s0
	s_and_b32 s1, s1, s2
	s_delay_alu instid0(SALU_CYCLE_1) | instskip(NEXT) | instid1(SALU_CYCLE_1)
	s_or_b32 s1, s3, s1
	v_cndmask_b32_e64 v11, v5, v7, s1
	s_delay_alu instid0(VALU_DEP_1) | instskip(NEXT) | instid1(VALU_DEP_1)
	v_dual_cndmask_b32 v15, s10, v4, s1 :: v_dual_add_nc_u32 v11, 1, v11
	v_add_min_u32_e64 v15, v15, -1, v11
	v_cndmask_b32_e64 v5, v11, v5, s1
	v_cndmask_b32_e64 v7, v7, v11, s1
	s_delay_alu instid0(VALU_DEP_3) | instskip(NEXT) | instid1(VALU_DEP_3)
	v_lshlrev_b32_e32 v15, 2, v15
	v_cmp_le_u32_e64 s4, s10, v5
	s_delay_alu instid0(VALU_DEP_3) | instskip(SKIP_3) | instid1(VALU_DEP_1)
	v_cmp_gt_u32_e64 s2, s12, v7
	ds_load_b32 v15, v15
	s_wait_dscnt 0x0
	v_dual_cndmask_b32 v16, v15, v13, s1 :: v_dual_cndmask_b32 v17, v14, v15, s1
	v_cmp_ge_i16_e64 s3, v16, v17
	s_and_b32 s2, s2, s3
	s_delay_alu instid0(SALU_CYCLE_1) | instskip(NEXT) | instid1(SALU_CYCLE_1)
	s_or_b32 s2, s4, s2
	v_cndmask_b32_e64 v11, v5, v7, s2
	s_delay_alu instid0(VALU_DEP_1) | instskip(NEXT) | instid1(VALU_DEP_1)
	v_dual_cndmask_b32 v18, s10, v4, s2 :: v_dual_add_nc_u32 v11, 1, v11
	v_add_min_u32_e64 v18, v18, -1, v11
	s_delay_alu instid0(VALU_DEP_1) | instskip(NEXT) | instid1(VALU_DEP_1)
	v_dual_cndmask_b32 v5, v11, v5, s2 :: v_dual_lshlrev_b32 v18, 2, v18
	v_cmp_le_u32_e64 s5, s10, v5
	ds_load_b32 v18, v18
	s_wait_dscnt 0x0
	v_dual_cndmask_b32 v7, v7, v11, s2 :: v_dual_cndmask_b32 v20, v17, v18, s2
	v_cndmask_b32_e64 v19, v18, v16, s2
	s_delay_alu instid0(VALU_DEP_2) | instskip(NEXT) | instid1(VALU_DEP_2)
	v_cmp_gt_u32_e64 s3, s12, v7
	v_cmp_ge_i16_e64 s4, v19, v20
	s_and_b32 s3, s3, s4
	s_delay_alu instid0(SALU_CYCLE_1) | instskip(NEXT) | instid1(SALU_CYCLE_1)
	s_or_b32 s3, s5, s3
	v_cndmask_b32_e64 v11, v5, v7, s3
	s_delay_alu instid0(VALU_DEP_1) | instskip(NEXT) | instid1(VALU_DEP_1)
	v_dual_cndmask_b32 v21, s10, v4, s3 :: v_dual_add_nc_u32 v11, 1, v11
	v_add_min_u32_e64 v21, v21, -1, v11
	v_cndmask_b32_e64 v5, v11, v5, s3
	s_delay_alu instid0(VALU_DEP_2) | instskip(NEXT) | instid1(VALU_DEP_2)
	v_lshlrev_b32_e32 v21, 2, v21
	v_cmp_le_u32_e64 s6, s10, v5
	ds_load_b32 v21, v21
	s_wait_dscnt 0x0
	v_dual_cndmask_b32 v7, v7, v11, s3 :: v_dual_cndmask_b32 v23, v20, v21, s3
	v_cndmask_b32_e64 v22, v21, v19, s3
	s_delay_alu instid0(VALU_DEP_2) | instskip(NEXT) | instid1(VALU_DEP_2)
	v_cmp_gt_u32_e64 s4, s12, v7
	v_cmp_ge_i16_e64 s5, v22, v23
	s_and_b32 s4, s4, s5
	s_delay_alu instid0(SALU_CYCLE_1) | instskip(NEXT) | instid1(SALU_CYCLE_1)
	s_or_b32 s4, s6, s4
	v_cndmask_b32_e64 v11, v5, v7, s4
	s_delay_alu instid0(VALU_DEP_1) | instskip(NEXT) | instid1(VALU_DEP_1)
	v_dual_cndmask_b32 v24, s10, v4, s4 :: v_dual_add_nc_u32 v11, 1, v11
	v_add_min_u32_e64 v24, v24, -1, v11
	s_delay_alu instid0(VALU_DEP_1) | instskip(NEXT) | instid1(VALU_DEP_1)
	v_dual_cndmask_b32 v5, v11, v5, s4 :: v_dual_lshlrev_b32 v24, 2, v24
	v_cmp_le_u32_e64 s7, s10, v5
	ds_load_b32 v24, v24
	s_wait_dscnt 0x0
	v_dual_cndmask_b32 v7, v7, v11, s4 :: v_dual_cndmask_b32 v25, v24, v22, s4
	v_cndmask_b32_e64 v26, v23, v24, s4
	s_delay_alu instid0(VALU_DEP_2) | instskip(NEXT) | instid1(VALU_DEP_2)
	v_cmp_gt_u32_e64 s5, s12, v7
	v_cmp_ge_i16_e64 s6, v25, v26
	s_and_b32 s5, s5, s6
	s_delay_alu instid0(SALU_CYCLE_1) | instskip(NEXT) | instid1(SALU_CYCLE_1)
	s_or_b32 s5, s7, s5
	v_cndmask_b32_e64 v11, v5, v7, s5
	s_delay_alu instid0(VALU_DEP_1) | instskip(NEXT) | instid1(VALU_DEP_1)
	v_dual_cndmask_b32 v27, s10, v4, s5 :: v_dual_add_nc_u32 v11, 1, v11
	v_dual_lshlrev_b32 v28, 16, v0 :: v_dual_cndmask_b32 v7, v7, v11, s5
	s_delay_alu instid0(VALU_DEP_2) | instskip(NEXT) | instid1(VALU_DEP_2)
	v_add_min_u32_e64 v27, v27, -1, v11
	v_cmp_gt_u32_e64 s6, s12, v7
	s_delay_alu instid0(VALU_DEP_2)
	v_dual_lshlrev_b32 v27, 2, v27 :: v_dual_cndmask_b32 v5, v11, v5, s5
	v_dual_lshlrev_b32 v11, 16, v6 :: v_dual_cndmask_b32 v6, v6, v12, s0
	v_and_b32_e32 v12, 0xffff, v13
	ds_load_b32 v27, v27
	v_or_b32_e32 v2, v28, v2
	v_cmp_le_u32_e64 s8, s10, v5
	s_wait_dscnt 0x0
	v_dual_cndmask_b32 v28, v27, v25, s5 :: v_dual_cndmask_b32 v30, v26, v27, s5
	s_delay_alu instid0(VALU_DEP_1) | instskip(SKIP_1) | instid1(SALU_CYCLE_1)
	v_cmp_ge_i16_e64 s7, v28, v30
	s_and_b32 s6, s6, s7
	s_or_b32 s6, s8, s6
	s_delay_alu instid0(SALU_CYCLE_1) | instskip(SKIP_1) | instid1(VALU_DEP_2)
	v_cndmask_b32_e64 v0, v5, v7, s6
	v_cndmask_b32_e64 v31, s10, v4, s6
	v_dual_add_nc_u32 v32, 1, v0 :: v_dual_cndmask_b32 v0, v1, v2, vcc_lo
	v_or_b32_e32 v1, v11, v9
	v_dual_lshrrev_b32 v11, 16, v15 :: v_dual_bitop2_b32 v2, v29, v8 bitop3:0x54
	s_delay_alu instid0(VALU_DEP_3) | instskip(SKIP_2) | instid1(VALU_DEP_4)
	v_add_min_u32_e64 v8, v31, -1, v32
	v_lshlrev_b32_e32 v13, 16, v6
	v_and_b32_e32 v9, 0xffff, v14
	v_dual_lshlrev_b32 v14, 16, v3 :: v_dual_cndmask_b32 v3, v11, v3, s1
	s_delay_alu instid0(VALU_DEP_4) | instskip(NEXT) | instid1(VALU_DEP_3)
	v_dual_lshlrev_b32 v8, 2, v8 :: v_dual_cndmask_b32 v6, v6, v11, s1
	v_or_b32_e32 v9, v13, v9
	v_and_b32_e32 v11, 0xffff, v17
	v_and_b32_e32 v15, 0xffff, v16
	ds_load_b32 v8, v8
	v_dual_lshlrev_b32 v16, 16, v6 :: v_dual_lshlrev_b32 v17, 16, v3
	v_dual_lshrrev_b32 v13, 16, v18 :: v_dual_bitop2_b32 v12, v14, v12 bitop3:0x54
	s_delay_alu instid0(VALU_DEP_2) | instskip(NEXT) | instid1(VALU_DEP_2)
	v_dual_cndmask_b32 v1, v2, v1, s0 :: v_dual_bitop2_b32 v11, v16, v11 bitop3:0x54
	v_dual_cndmask_b32 v2, v12, v9, s1 :: v_dual_bitop2_b32 v14, v17, v15 bitop3:0x54
	s_delay_alu instid0(VALU_DEP_3) | instskip(NEXT) | instid1(VALU_DEP_2)
	v_dual_cndmask_b32 v6, v6, v13, s2 :: v_dual_cndmask_b32 v9, v13, v3, s2
	v_dual_cndmask_b32 v7, v7, v32, s6 :: v_dual_cndmask_b32 v3, v14, v11, s2
	v_and_b32_e32 v11, 0xffff, v20
	s_delay_alu instid0(VALU_DEP_3) | instskip(NEXT) | instid1(VALU_DEP_3)
	v_dual_lshlrev_b32 v13, 16, v6 :: v_dual_lshlrev_b32 v14, 16, v9
	v_cmp_gt_u32_e32 vcc_lo, s12, v7
	v_and_b32_e32 v12, 0xffff, v19
	s_delay_alu instid0(VALU_DEP_3)
	v_dual_lshrrev_b32 v18, 16, v24 :: v_dual_bitop2_b32 v11, v13, v11 bitop3:0x54
	s_wait_dscnt 0x0
	v_cndmask_b32_e64 v15, v8, v28, s6
	v_dual_cndmask_b32 v16, v30, v8, s6 :: v_dual_cndmask_b32 v13, v32, v5, s6
	v_dual_lshrrev_b32 v5, 16, v21 :: v_dual_bitop2_b32 v12, v14, v12 bitop3:0x54
	v_and_b32_e32 v17, 0xffff, v22
	s_delay_alu instid0(VALU_DEP_3) | instskip(NEXT) | instid1(VALU_DEP_4)
	v_cmp_ge_i16_e64 s0, v15, v16
	v_cmp_le_u32_e64 s1, s10, v13
	s_delay_alu instid0(VALU_DEP_4) | instskip(SKIP_1) | instid1(SALU_CYCLE_1)
	v_dual_cndmask_b32 v9, v5, v9, s3 :: v_dual_lshrrev_b32 v8, 16, v8
	s_and_b32 s0, vcc_lo, s0
	s_or_b32 vcc_lo, s1, s0
	s_delay_alu instid0(SALU_CYCLE_1) | instskip(NEXT) | instid1(VALU_DEP_2)
	v_dual_cndmask_b32 v5, v6, v5, s3 :: v_dual_cndmask_b32 v14, v13, v7, vcc_lo
	v_dual_cndmask_b32 v4, s10, v4, vcc_lo :: v_dual_lshlrev_b32 v20, 16, v9
	s_delay_alu instid0(VALU_DEP_2) | instskip(NEXT) | instid1(VALU_DEP_3)
	v_dual_cndmask_b32 v9, v18, v9, s4 :: v_dual_cndmask_b32 v21, v5, v18, s4
	v_dual_lshlrev_b32 v19, 16, v5 :: v_dual_add_nc_u32 v14, 1, v14
	v_and_b32_e32 v6, 0xffff, v23
	s_delay_alu instid0(VALU_DEP_4) | instskip(NEXT) | instid1(VALU_DEP_4)
	v_or_b32_e32 v17, v20, v17
	v_lshlrev_b32_e32 v18, 16, v21
	s_delay_alu instid0(VALU_DEP_4) | instskip(NEXT) | instid1(VALU_DEP_4)
	v_add_min_u32_e64 v4, v4, -1, v14
	v_dual_lshlrev_b32 v22, 16, v9 :: v_dual_bitop2_b32 v5, v19, v6 bitop3:0x54
	v_and_b32_e32 v6, 0xffff, v26
	v_and_b32_e32 v19, 0xffff, v25
	s_delay_alu instid0(VALU_DEP_4) | instskip(NEXT) | instid1(VALU_DEP_3)
	v_dual_cndmask_b32 v13, v14, v13 :: v_dual_lshlrev_b32 v4, 2, v4
	v_dual_lshrrev_b32 v18, 16, v27 :: v_dual_bitop2_b32 v6, v18, v6 bitop3:0x54
	ds_load_b32 v20, v4
	v_dual_cndmask_b32 v5, v17, v5, s4 :: v_dual_bitop2_b32 v19, v22, v19 bitop3:0x54
	v_dual_cndmask_b32 v4, v12, v11, s3 :: v_dual_cndmask_b32 v11, v21, v18, s5
	s_delay_alu instid0(VALU_DEP_2) | instskip(SKIP_2) | instid1(VALU_DEP_4)
	v_dual_cndmask_b32 v9, v18, v9, s5 :: v_dual_cndmask_b32 v6, v19, v6, s5
	v_and_b32_e32 v17, 0xffff, v28
	v_and_b32_e32 v12, 0xffff, v30
	v_dual_cndmask_b32 v18, v11, v8, s6 :: v_dual_lshlrev_b32 v11, 16, v11
	s_delay_alu instid0(VALU_DEP_4) | instskip(SKIP_1) | instid1(VALU_DEP_3)
	v_dual_cndmask_b32 v8, v8, v9, s6 :: v_dual_lshlrev_b32 v9, 16, v9
	v_and_b32_e32 v19, 0xffff, v16
	v_lshlrev_b32_e32 v21, 16, v18
	v_and_b32_e32 v22, 0xffff, v15
	s_delay_alu instid0(VALU_DEP_4) | instskip(SKIP_3) | instid1(VALU_DEP_3)
	v_dual_lshlrev_b32 v23, 16, v8 :: v_dual_bitop2_b32 v9, v9, v17 bitop3:0x54
	v_or_b32_e32 v11, v11, v12
	s_wait_dscnt 0x0
	v_dual_cndmask_b32 v16, v16, v20, vcc_lo :: v_dual_bitop2_b32 v12, v21, v19 bitop3:0x54
	v_dual_lshrrev_b32 v17, 16, v20 :: v_dual_bitop2_b32 v19, v23, v22 bitop3:0x54
	v_cndmask_b32_e32 v15, v20, v15, vcc_lo
	v_cmp_le_u32_e64 s2, s10, v13
	s_delay_alu instid0(VALU_DEP_3)
	v_dual_cndmask_b32 v18, v18, v17, vcc_lo :: v_dual_cndmask_b32 v8, v17, v8, vcc_lo
	v_cndmask_b32_e32 v7, v7, v14, vcc_lo
	v_and_b32_e32 v14, 0xffff, v16
	v_and_b32_e32 v17, 0xffff, v15
	v_cmp_ge_i16_e64 s1, v15, v16
	v_dual_lshlrev_b32 v8, 16, v8 :: v_dual_lshlrev_b32 v18, 16, v18
	v_cmp_gt_u32_e64 s0, s12, v7
	s_delay_alu instid0(VALU_DEP_2) | instskip(NEXT) | instid1(VALU_DEP_3)
	v_dual_cndmask_b32 v7, v9, v11, s6 :: v_dual_bitop2_b32 v13, v18, v14 bitop3:0x54
	v_or_b32_e32 v14, v8, v17
	s_and_b32 s0, s0, s1
	v_cndmask_b32_e32 v8, v19, v12, vcc_lo
	s_or_b32 vcc_lo, s2, s0
	s_delay_alu instid0(VALU_DEP_2)
	v_cndmask_b32_e32 v9, v14, v13, vcc_lo
.LBB614_70:
	s_or_b32 exec_lo, exec_lo, s9
	s_sub_co_i32 s0, s16, s17
	s_delay_alu instid0(SALU_CYCLE_1)
	s_cmp_gt_u32 s0, 0x9ff
	s_mov_b32 s0, -1
	s_barrier_signal -1
	s_barrier_wait -1
	ds_store_2addr_b64 v10, v[0:1], v[2:3] offset1:1
	ds_store_2addr_b64 v10, v[4:5], v[6:7] offset0:2 offset1:3
	ds_store_b64 v10, v[8:9] offset:32
	s_wait_dscnt 0x0
	s_cbranch_scc1 .LBB614_73
; %bb.71:
	s_and_not1_b32 vcc_lo, exec_lo, s0
	s_cbranch_vccz .LBB614_74
.LBB614_72:
	s_endpgm
.LBB614_73:
	s_barrier_signal -1
	s_barrier_wait -1
	s_cbranch_execnz .LBB614_72
.LBB614_74:
	s_barrier_signal -1
	s_barrier_wait -1
	s_endpgm
	.section	.rodata,"a",@progbits
	.p2align	6, 0x0
	.amdhsa_kernel _ZN7rocprim17ROCPRIM_400000_NS6detail17trampoline_kernelINS0_14default_configENS1_21merge_config_selectorINS0_5tupleIJssEEENS0_10empty_typeEEEZNS1_10merge_implIS3_NS0_12zip_iteratorINS5_IJN6thrust23THRUST_200600_302600_NS6detail15normal_iteratorINSC_10device_ptrIKsEEEESI_EEEEESK_NSA_INS5_IJNSC_16discard_iteratorINSC_11use_defaultEEESN_EEEEEPS7_SQ_SQ_NSC_11hip_rocprim7__merge17predicate_wrapperIssNSC_4lessIsEEEEEE10hipError_tPvRmT0_T1_T2_T3_T4_T5_mmT6_P12ihipStream_tbEUlT_E0_NS1_11comp_targetILNS1_3genE0ELNS1_11target_archE4294967295ELNS1_3gpuE0ELNS1_3repE0EEENS1_30default_config_static_selectorELNS0_4arch9wavefront6targetE0EEEvS11_
		.amdhsa_group_segment_fixed_size 10256
		.amdhsa_private_segment_fixed_size 0
		.amdhsa_kernarg_size 128
		.amdhsa_user_sgpr_count 2
		.amdhsa_user_sgpr_dispatch_ptr 0
		.amdhsa_user_sgpr_queue_ptr 0
		.amdhsa_user_sgpr_kernarg_segment_ptr 1
		.amdhsa_user_sgpr_dispatch_id 0
		.amdhsa_user_sgpr_kernarg_preload_length 0
		.amdhsa_user_sgpr_kernarg_preload_offset 0
		.amdhsa_user_sgpr_private_segment_size 0
		.amdhsa_wavefront_size32 1
		.amdhsa_uses_dynamic_stack 0
		.amdhsa_enable_private_segment 0
		.amdhsa_system_sgpr_workgroup_id_x 1
		.amdhsa_system_sgpr_workgroup_id_y 0
		.amdhsa_system_sgpr_workgroup_id_z 0
		.amdhsa_system_sgpr_workgroup_info 0
		.amdhsa_system_vgpr_workitem_id 0
		.amdhsa_next_free_vgpr 33
		.amdhsa_next_free_sgpr 22
		.amdhsa_named_barrier_count 0
		.amdhsa_reserve_vcc 1
		.amdhsa_float_round_mode_32 0
		.amdhsa_float_round_mode_16_64 0
		.amdhsa_float_denorm_mode_32 3
		.amdhsa_float_denorm_mode_16_64 3
		.amdhsa_fp16_overflow 0
		.amdhsa_memory_ordered 1
		.amdhsa_forward_progress 1
		.amdhsa_inst_pref_size 34
		.amdhsa_round_robin_scheduling 0
		.amdhsa_exception_fp_ieee_invalid_op 0
		.amdhsa_exception_fp_denorm_src 0
		.amdhsa_exception_fp_ieee_div_zero 0
		.amdhsa_exception_fp_ieee_overflow 0
		.amdhsa_exception_fp_ieee_underflow 0
		.amdhsa_exception_fp_ieee_inexact 0
		.amdhsa_exception_int_div_zero 0
	.end_amdhsa_kernel
	.section	.text._ZN7rocprim17ROCPRIM_400000_NS6detail17trampoline_kernelINS0_14default_configENS1_21merge_config_selectorINS0_5tupleIJssEEENS0_10empty_typeEEEZNS1_10merge_implIS3_NS0_12zip_iteratorINS5_IJN6thrust23THRUST_200600_302600_NS6detail15normal_iteratorINSC_10device_ptrIKsEEEESI_EEEEESK_NSA_INS5_IJNSC_16discard_iteratorINSC_11use_defaultEEESN_EEEEEPS7_SQ_SQ_NSC_11hip_rocprim7__merge17predicate_wrapperIssNSC_4lessIsEEEEEE10hipError_tPvRmT0_T1_T2_T3_T4_T5_mmT6_P12ihipStream_tbEUlT_E0_NS1_11comp_targetILNS1_3genE0ELNS1_11target_archE4294967295ELNS1_3gpuE0ELNS1_3repE0EEENS1_30default_config_static_selectorELNS0_4arch9wavefront6targetE0EEEvS11_,"axG",@progbits,_ZN7rocprim17ROCPRIM_400000_NS6detail17trampoline_kernelINS0_14default_configENS1_21merge_config_selectorINS0_5tupleIJssEEENS0_10empty_typeEEEZNS1_10merge_implIS3_NS0_12zip_iteratorINS5_IJN6thrust23THRUST_200600_302600_NS6detail15normal_iteratorINSC_10device_ptrIKsEEEESI_EEEEESK_NSA_INS5_IJNSC_16discard_iteratorINSC_11use_defaultEEESN_EEEEEPS7_SQ_SQ_NSC_11hip_rocprim7__merge17predicate_wrapperIssNSC_4lessIsEEEEEE10hipError_tPvRmT0_T1_T2_T3_T4_T5_mmT6_P12ihipStream_tbEUlT_E0_NS1_11comp_targetILNS1_3genE0ELNS1_11target_archE4294967295ELNS1_3gpuE0ELNS1_3repE0EEENS1_30default_config_static_selectorELNS0_4arch9wavefront6targetE0EEEvS11_,comdat
.Lfunc_end614:
	.size	_ZN7rocprim17ROCPRIM_400000_NS6detail17trampoline_kernelINS0_14default_configENS1_21merge_config_selectorINS0_5tupleIJssEEENS0_10empty_typeEEEZNS1_10merge_implIS3_NS0_12zip_iteratorINS5_IJN6thrust23THRUST_200600_302600_NS6detail15normal_iteratorINSC_10device_ptrIKsEEEESI_EEEEESK_NSA_INS5_IJNSC_16discard_iteratorINSC_11use_defaultEEESN_EEEEEPS7_SQ_SQ_NSC_11hip_rocprim7__merge17predicate_wrapperIssNSC_4lessIsEEEEEE10hipError_tPvRmT0_T1_T2_T3_T4_T5_mmT6_P12ihipStream_tbEUlT_E0_NS1_11comp_targetILNS1_3genE0ELNS1_11target_archE4294967295ELNS1_3gpuE0ELNS1_3repE0EEENS1_30default_config_static_selectorELNS0_4arch9wavefront6targetE0EEEvS11_, .Lfunc_end614-_ZN7rocprim17ROCPRIM_400000_NS6detail17trampoline_kernelINS0_14default_configENS1_21merge_config_selectorINS0_5tupleIJssEEENS0_10empty_typeEEEZNS1_10merge_implIS3_NS0_12zip_iteratorINS5_IJN6thrust23THRUST_200600_302600_NS6detail15normal_iteratorINSC_10device_ptrIKsEEEESI_EEEEESK_NSA_INS5_IJNSC_16discard_iteratorINSC_11use_defaultEEESN_EEEEEPS7_SQ_SQ_NSC_11hip_rocprim7__merge17predicate_wrapperIssNSC_4lessIsEEEEEE10hipError_tPvRmT0_T1_T2_T3_T4_T5_mmT6_P12ihipStream_tbEUlT_E0_NS1_11comp_targetILNS1_3genE0ELNS1_11target_archE4294967295ELNS1_3gpuE0ELNS1_3repE0EEENS1_30default_config_static_selectorELNS0_4arch9wavefront6targetE0EEEvS11_
                                        ; -- End function
	.set _ZN7rocprim17ROCPRIM_400000_NS6detail17trampoline_kernelINS0_14default_configENS1_21merge_config_selectorINS0_5tupleIJssEEENS0_10empty_typeEEEZNS1_10merge_implIS3_NS0_12zip_iteratorINS5_IJN6thrust23THRUST_200600_302600_NS6detail15normal_iteratorINSC_10device_ptrIKsEEEESI_EEEEESK_NSA_INS5_IJNSC_16discard_iteratorINSC_11use_defaultEEESN_EEEEEPS7_SQ_SQ_NSC_11hip_rocprim7__merge17predicate_wrapperIssNSC_4lessIsEEEEEE10hipError_tPvRmT0_T1_T2_T3_T4_T5_mmT6_P12ihipStream_tbEUlT_E0_NS1_11comp_targetILNS1_3genE0ELNS1_11target_archE4294967295ELNS1_3gpuE0ELNS1_3repE0EEENS1_30default_config_static_selectorELNS0_4arch9wavefront6targetE0EEEvS11_.num_vgpr, 33
	.set _ZN7rocprim17ROCPRIM_400000_NS6detail17trampoline_kernelINS0_14default_configENS1_21merge_config_selectorINS0_5tupleIJssEEENS0_10empty_typeEEEZNS1_10merge_implIS3_NS0_12zip_iteratorINS5_IJN6thrust23THRUST_200600_302600_NS6detail15normal_iteratorINSC_10device_ptrIKsEEEESI_EEEEESK_NSA_INS5_IJNSC_16discard_iteratorINSC_11use_defaultEEESN_EEEEEPS7_SQ_SQ_NSC_11hip_rocprim7__merge17predicate_wrapperIssNSC_4lessIsEEEEEE10hipError_tPvRmT0_T1_T2_T3_T4_T5_mmT6_P12ihipStream_tbEUlT_E0_NS1_11comp_targetILNS1_3genE0ELNS1_11target_archE4294967295ELNS1_3gpuE0ELNS1_3repE0EEENS1_30default_config_static_selectorELNS0_4arch9wavefront6targetE0EEEvS11_.num_agpr, 0
	.set _ZN7rocprim17ROCPRIM_400000_NS6detail17trampoline_kernelINS0_14default_configENS1_21merge_config_selectorINS0_5tupleIJssEEENS0_10empty_typeEEEZNS1_10merge_implIS3_NS0_12zip_iteratorINS5_IJN6thrust23THRUST_200600_302600_NS6detail15normal_iteratorINSC_10device_ptrIKsEEEESI_EEEEESK_NSA_INS5_IJNSC_16discard_iteratorINSC_11use_defaultEEESN_EEEEEPS7_SQ_SQ_NSC_11hip_rocprim7__merge17predicate_wrapperIssNSC_4lessIsEEEEEE10hipError_tPvRmT0_T1_T2_T3_T4_T5_mmT6_P12ihipStream_tbEUlT_E0_NS1_11comp_targetILNS1_3genE0ELNS1_11target_archE4294967295ELNS1_3gpuE0ELNS1_3repE0EEENS1_30default_config_static_selectorELNS0_4arch9wavefront6targetE0EEEvS11_.numbered_sgpr, 22
	.set _ZN7rocprim17ROCPRIM_400000_NS6detail17trampoline_kernelINS0_14default_configENS1_21merge_config_selectorINS0_5tupleIJssEEENS0_10empty_typeEEEZNS1_10merge_implIS3_NS0_12zip_iteratorINS5_IJN6thrust23THRUST_200600_302600_NS6detail15normal_iteratorINSC_10device_ptrIKsEEEESI_EEEEESK_NSA_INS5_IJNSC_16discard_iteratorINSC_11use_defaultEEESN_EEEEEPS7_SQ_SQ_NSC_11hip_rocprim7__merge17predicate_wrapperIssNSC_4lessIsEEEEEE10hipError_tPvRmT0_T1_T2_T3_T4_T5_mmT6_P12ihipStream_tbEUlT_E0_NS1_11comp_targetILNS1_3genE0ELNS1_11target_archE4294967295ELNS1_3gpuE0ELNS1_3repE0EEENS1_30default_config_static_selectorELNS0_4arch9wavefront6targetE0EEEvS11_.num_named_barrier, 0
	.set _ZN7rocprim17ROCPRIM_400000_NS6detail17trampoline_kernelINS0_14default_configENS1_21merge_config_selectorINS0_5tupleIJssEEENS0_10empty_typeEEEZNS1_10merge_implIS3_NS0_12zip_iteratorINS5_IJN6thrust23THRUST_200600_302600_NS6detail15normal_iteratorINSC_10device_ptrIKsEEEESI_EEEEESK_NSA_INS5_IJNSC_16discard_iteratorINSC_11use_defaultEEESN_EEEEEPS7_SQ_SQ_NSC_11hip_rocprim7__merge17predicate_wrapperIssNSC_4lessIsEEEEEE10hipError_tPvRmT0_T1_T2_T3_T4_T5_mmT6_P12ihipStream_tbEUlT_E0_NS1_11comp_targetILNS1_3genE0ELNS1_11target_archE4294967295ELNS1_3gpuE0ELNS1_3repE0EEENS1_30default_config_static_selectorELNS0_4arch9wavefront6targetE0EEEvS11_.private_seg_size, 0
	.set _ZN7rocprim17ROCPRIM_400000_NS6detail17trampoline_kernelINS0_14default_configENS1_21merge_config_selectorINS0_5tupleIJssEEENS0_10empty_typeEEEZNS1_10merge_implIS3_NS0_12zip_iteratorINS5_IJN6thrust23THRUST_200600_302600_NS6detail15normal_iteratorINSC_10device_ptrIKsEEEESI_EEEEESK_NSA_INS5_IJNSC_16discard_iteratorINSC_11use_defaultEEESN_EEEEEPS7_SQ_SQ_NSC_11hip_rocprim7__merge17predicate_wrapperIssNSC_4lessIsEEEEEE10hipError_tPvRmT0_T1_T2_T3_T4_T5_mmT6_P12ihipStream_tbEUlT_E0_NS1_11comp_targetILNS1_3genE0ELNS1_11target_archE4294967295ELNS1_3gpuE0ELNS1_3repE0EEENS1_30default_config_static_selectorELNS0_4arch9wavefront6targetE0EEEvS11_.uses_vcc, 1
	.set _ZN7rocprim17ROCPRIM_400000_NS6detail17trampoline_kernelINS0_14default_configENS1_21merge_config_selectorINS0_5tupleIJssEEENS0_10empty_typeEEEZNS1_10merge_implIS3_NS0_12zip_iteratorINS5_IJN6thrust23THRUST_200600_302600_NS6detail15normal_iteratorINSC_10device_ptrIKsEEEESI_EEEEESK_NSA_INS5_IJNSC_16discard_iteratorINSC_11use_defaultEEESN_EEEEEPS7_SQ_SQ_NSC_11hip_rocprim7__merge17predicate_wrapperIssNSC_4lessIsEEEEEE10hipError_tPvRmT0_T1_T2_T3_T4_T5_mmT6_P12ihipStream_tbEUlT_E0_NS1_11comp_targetILNS1_3genE0ELNS1_11target_archE4294967295ELNS1_3gpuE0ELNS1_3repE0EEENS1_30default_config_static_selectorELNS0_4arch9wavefront6targetE0EEEvS11_.uses_flat_scratch, 0
	.set _ZN7rocprim17ROCPRIM_400000_NS6detail17trampoline_kernelINS0_14default_configENS1_21merge_config_selectorINS0_5tupleIJssEEENS0_10empty_typeEEEZNS1_10merge_implIS3_NS0_12zip_iteratorINS5_IJN6thrust23THRUST_200600_302600_NS6detail15normal_iteratorINSC_10device_ptrIKsEEEESI_EEEEESK_NSA_INS5_IJNSC_16discard_iteratorINSC_11use_defaultEEESN_EEEEEPS7_SQ_SQ_NSC_11hip_rocprim7__merge17predicate_wrapperIssNSC_4lessIsEEEEEE10hipError_tPvRmT0_T1_T2_T3_T4_T5_mmT6_P12ihipStream_tbEUlT_E0_NS1_11comp_targetILNS1_3genE0ELNS1_11target_archE4294967295ELNS1_3gpuE0ELNS1_3repE0EEENS1_30default_config_static_selectorELNS0_4arch9wavefront6targetE0EEEvS11_.has_dyn_sized_stack, 0
	.set _ZN7rocprim17ROCPRIM_400000_NS6detail17trampoline_kernelINS0_14default_configENS1_21merge_config_selectorINS0_5tupleIJssEEENS0_10empty_typeEEEZNS1_10merge_implIS3_NS0_12zip_iteratorINS5_IJN6thrust23THRUST_200600_302600_NS6detail15normal_iteratorINSC_10device_ptrIKsEEEESI_EEEEESK_NSA_INS5_IJNSC_16discard_iteratorINSC_11use_defaultEEESN_EEEEEPS7_SQ_SQ_NSC_11hip_rocprim7__merge17predicate_wrapperIssNSC_4lessIsEEEEEE10hipError_tPvRmT0_T1_T2_T3_T4_T5_mmT6_P12ihipStream_tbEUlT_E0_NS1_11comp_targetILNS1_3genE0ELNS1_11target_archE4294967295ELNS1_3gpuE0ELNS1_3repE0EEENS1_30default_config_static_selectorELNS0_4arch9wavefront6targetE0EEEvS11_.has_recursion, 0
	.set _ZN7rocprim17ROCPRIM_400000_NS6detail17trampoline_kernelINS0_14default_configENS1_21merge_config_selectorINS0_5tupleIJssEEENS0_10empty_typeEEEZNS1_10merge_implIS3_NS0_12zip_iteratorINS5_IJN6thrust23THRUST_200600_302600_NS6detail15normal_iteratorINSC_10device_ptrIKsEEEESI_EEEEESK_NSA_INS5_IJNSC_16discard_iteratorINSC_11use_defaultEEESN_EEEEEPS7_SQ_SQ_NSC_11hip_rocprim7__merge17predicate_wrapperIssNSC_4lessIsEEEEEE10hipError_tPvRmT0_T1_T2_T3_T4_T5_mmT6_P12ihipStream_tbEUlT_E0_NS1_11comp_targetILNS1_3genE0ELNS1_11target_archE4294967295ELNS1_3gpuE0ELNS1_3repE0EEENS1_30default_config_static_selectorELNS0_4arch9wavefront6targetE0EEEvS11_.has_indirect_call, 0
	.section	.AMDGPU.csdata,"",@progbits
; Kernel info:
; codeLenInByte = 4336
; TotalNumSgprs: 24
; NumVgprs: 33
; ScratchSize: 0
; MemoryBound: 0
; FloatMode: 240
; IeeeMode: 1
; LDSByteSize: 10256 bytes/workgroup (compile time only)
; SGPRBlocks: 0
; VGPRBlocks: 2
; NumSGPRsForWavesPerEU: 24
; NumVGPRsForWavesPerEU: 33
; NamedBarCnt: 0
; Occupancy: 16
; WaveLimiterHint : 1
; COMPUTE_PGM_RSRC2:SCRATCH_EN: 0
; COMPUTE_PGM_RSRC2:USER_SGPR: 2
; COMPUTE_PGM_RSRC2:TRAP_HANDLER: 0
; COMPUTE_PGM_RSRC2:TGID_X_EN: 1
; COMPUTE_PGM_RSRC2:TGID_Y_EN: 0
; COMPUTE_PGM_RSRC2:TGID_Z_EN: 0
; COMPUTE_PGM_RSRC2:TIDIG_COMP_CNT: 0
	.section	.text._ZN7rocprim17ROCPRIM_400000_NS6detail17trampoline_kernelINS0_14default_configENS1_21merge_config_selectorINS0_5tupleIJssEEENS0_10empty_typeEEEZNS1_10merge_implIS3_NS0_12zip_iteratorINS5_IJN6thrust23THRUST_200600_302600_NS6detail15normal_iteratorINSC_10device_ptrIKsEEEESI_EEEEESK_NSA_INS5_IJNSC_16discard_iteratorINSC_11use_defaultEEESN_EEEEEPS7_SQ_SQ_NSC_11hip_rocprim7__merge17predicate_wrapperIssNSC_4lessIsEEEEEE10hipError_tPvRmT0_T1_T2_T3_T4_T5_mmT6_P12ihipStream_tbEUlT_E0_NS1_11comp_targetILNS1_3genE5ELNS1_11target_archE942ELNS1_3gpuE9ELNS1_3repE0EEENS1_30default_config_static_selectorELNS0_4arch9wavefront6targetE0EEEvS11_,"axG",@progbits,_ZN7rocprim17ROCPRIM_400000_NS6detail17trampoline_kernelINS0_14default_configENS1_21merge_config_selectorINS0_5tupleIJssEEENS0_10empty_typeEEEZNS1_10merge_implIS3_NS0_12zip_iteratorINS5_IJN6thrust23THRUST_200600_302600_NS6detail15normal_iteratorINSC_10device_ptrIKsEEEESI_EEEEESK_NSA_INS5_IJNSC_16discard_iteratorINSC_11use_defaultEEESN_EEEEEPS7_SQ_SQ_NSC_11hip_rocprim7__merge17predicate_wrapperIssNSC_4lessIsEEEEEE10hipError_tPvRmT0_T1_T2_T3_T4_T5_mmT6_P12ihipStream_tbEUlT_E0_NS1_11comp_targetILNS1_3genE5ELNS1_11target_archE942ELNS1_3gpuE9ELNS1_3repE0EEENS1_30default_config_static_selectorELNS0_4arch9wavefront6targetE0EEEvS11_,comdat
	.protected	_ZN7rocprim17ROCPRIM_400000_NS6detail17trampoline_kernelINS0_14default_configENS1_21merge_config_selectorINS0_5tupleIJssEEENS0_10empty_typeEEEZNS1_10merge_implIS3_NS0_12zip_iteratorINS5_IJN6thrust23THRUST_200600_302600_NS6detail15normal_iteratorINSC_10device_ptrIKsEEEESI_EEEEESK_NSA_INS5_IJNSC_16discard_iteratorINSC_11use_defaultEEESN_EEEEEPS7_SQ_SQ_NSC_11hip_rocprim7__merge17predicate_wrapperIssNSC_4lessIsEEEEEE10hipError_tPvRmT0_T1_T2_T3_T4_T5_mmT6_P12ihipStream_tbEUlT_E0_NS1_11comp_targetILNS1_3genE5ELNS1_11target_archE942ELNS1_3gpuE9ELNS1_3repE0EEENS1_30default_config_static_selectorELNS0_4arch9wavefront6targetE0EEEvS11_ ; -- Begin function _ZN7rocprim17ROCPRIM_400000_NS6detail17trampoline_kernelINS0_14default_configENS1_21merge_config_selectorINS0_5tupleIJssEEENS0_10empty_typeEEEZNS1_10merge_implIS3_NS0_12zip_iteratorINS5_IJN6thrust23THRUST_200600_302600_NS6detail15normal_iteratorINSC_10device_ptrIKsEEEESI_EEEEESK_NSA_INS5_IJNSC_16discard_iteratorINSC_11use_defaultEEESN_EEEEEPS7_SQ_SQ_NSC_11hip_rocprim7__merge17predicate_wrapperIssNSC_4lessIsEEEEEE10hipError_tPvRmT0_T1_T2_T3_T4_T5_mmT6_P12ihipStream_tbEUlT_E0_NS1_11comp_targetILNS1_3genE5ELNS1_11target_archE942ELNS1_3gpuE9ELNS1_3repE0EEENS1_30default_config_static_selectorELNS0_4arch9wavefront6targetE0EEEvS11_
	.globl	_ZN7rocprim17ROCPRIM_400000_NS6detail17trampoline_kernelINS0_14default_configENS1_21merge_config_selectorINS0_5tupleIJssEEENS0_10empty_typeEEEZNS1_10merge_implIS3_NS0_12zip_iteratorINS5_IJN6thrust23THRUST_200600_302600_NS6detail15normal_iteratorINSC_10device_ptrIKsEEEESI_EEEEESK_NSA_INS5_IJNSC_16discard_iteratorINSC_11use_defaultEEESN_EEEEEPS7_SQ_SQ_NSC_11hip_rocprim7__merge17predicate_wrapperIssNSC_4lessIsEEEEEE10hipError_tPvRmT0_T1_T2_T3_T4_T5_mmT6_P12ihipStream_tbEUlT_E0_NS1_11comp_targetILNS1_3genE5ELNS1_11target_archE942ELNS1_3gpuE9ELNS1_3repE0EEENS1_30default_config_static_selectorELNS0_4arch9wavefront6targetE0EEEvS11_
	.p2align	8
	.type	_ZN7rocprim17ROCPRIM_400000_NS6detail17trampoline_kernelINS0_14default_configENS1_21merge_config_selectorINS0_5tupleIJssEEENS0_10empty_typeEEEZNS1_10merge_implIS3_NS0_12zip_iteratorINS5_IJN6thrust23THRUST_200600_302600_NS6detail15normal_iteratorINSC_10device_ptrIKsEEEESI_EEEEESK_NSA_INS5_IJNSC_16discard_iteratorINSC_11use_defaultEEESN_EEEEEPS7_SQ_SQ_NSC_11hip_rocprim7__merge17predicate_wrapperIssNSC_4lessIsEEEEEE10hipError_tPvRmT0_T1_T2_T3_T4_T5_mmT6_P12ihipStream_tbEUlT_E0_NS1_11comp_targetILNS1_3genE5ELNS1_11target_archE942ELNS1_3gpuE9ELNS1_3repE0EEENS1_30default_config_static_selectorELNS0_4arch9wavefront6targetE0EEEvS11_,@function
_ZN7rocprim17ROCPRIM_400000_NS6detail17trampoline_kernelINS0_14default_configENS1_21merge_config_selectorINS0_5tupleIJssEEENS0_10empty_typeEEEZNS1_10merge_implIS3_NS0_12zip_iteratorINS5_IJN6thrust23THRUST_200600_302600_NS6detail15normal_iteratorINSC_10device_ptrIKsEEEESI_EEEEESK_NSA_INS5_IJNSC_16discard_iteratorINSC_11use_defaultEEESN_EEEEEPS7_SQ_SQ_NSC_11hip_rocprim7__merge17predicate_wrapperIssNSC_4lessIsEEEEEE10hipError_tPvRmT0_T1_T2_T3_T4_T5_mmT6_P12ihipStream_tbEUlT_E0_NS1_11comp_targetILNS1_3genE5ELNS1_11target_archE942ELNS1_3gpuE9ELNS1_3repE0EEENS1_30default_config_static_selectorELNS0_4arch9wavefront6targetE0EEEvS11_: ; @_ZN7rocprim17ROCPRIM_400000_NS6detail17trampoline_kernelINS0_14default_configENS1_21merge_config_selectorINS0_5tupleIJssEEENS0_10empty_typeEEEZNS1_10merge_implIS3_NS0_12zip_iteratorINS5_IJN6thrust23THRUST_200600_302600_NS6detail15normal_iteratorINSC_10device_ptrIKsEEEESI_EEEEESK_NSA_INS5_IJNSC_16discard_iteratorINSC_11use_defaultEEESN_EEEEEPS7_SQ_SQ_NSC_11hip_rocprim7__merge17predicate_wrapperIssNSC_4lessIsEEEEEE10hipError_tPvRmT0_T1_T2_T3_T4_T5_mmT6_P12ihipStream_tbEUlT_E0_NS1_11comp_targetILNS1_3genE5ELNS1_11target_archE942ELNS1_3gpuE9ELNS1_3repE0EEENS1_30default_config_static_selectorELNS0_4arch9wavefront6targetE0EEEvS11_
; %bb.0:
	.section	.rodata,"a",@progbits
	.p2align	6, 0x0
	.amdhsa_kernel _ZN7rocprim17ROCPRIM_400000_NS6detail17trampoline_kernelINS0_14default_configENS1_21merge_config_selectorINS0_5tupleIJssEEENS0_10empty_typeEEEZNS1_10merge_implIS3_NS0_12zip_iteratorINS5_IJN6thrust23THRUST_200600_302600_NS6detail15normal_iteratorINSC_10device_ptrIKsEEEESI_EEEEESK_NSA_INS5_IJNSC_16discard_iteratorINSC_11use_defaultEEESN_EEEEEPS7_SQ_SQ_NSC_11hip_rocprim7__merge17predicate_wrapperIssNSC_4lessIsEEEEEE10hipError_tPvRmT0_T1_T2_T3_T4_T5_mmT6_P12ihipStream_tbEUlT_E0_NS1_11comp_targetILNS1_3genE5ELNS1_11target_archE942ELNS1_3gpuE9ELNS1_3repE0EEENS1_30default_config_static_selectorELNS0_4arch9wavefront6targetE0EEEvS11_
		.amdhsa_group_segment_fixed_size 0
		.amdhsa_private_segment_fixed_size 0
		.amdhsa_kernarg_size 128
		.amdhsa_user_sgpr_count 2
		.amdhsa_user_sgpr_dispatch_ptr 0
		.amdhsa_user_sgpr_queue_ptr 0
		.amdhsa_user_sgpr_kernarg_segment_ptr 1
		.amdhsa_user_sgpr_dispatch_id 0
		.amdhsa_user_sgpr_kernarg_preload_length 0
		.amdhsa_user_sgpr_kernarg_preload_offset 0
		.amdhsa_user_sgpr_private_segment_size 0
		.amdhsa_wavefront_size32 1
		.amdhsa_uses_dynamic_stack 0
		.amdhsa_enable_private_segment 0
		.amdhsa_system_sgpr_workgroup_id_x 1
		.amdhsa_system_sgpr_workgroup_id_y 0
		.amdhsa_system_sgpr_workgroup_id_z 0
		.amdhsa_system_sgpr_workgroup_info 0
		.amdhsa_system_vgpr_workitem_id 0
		.amdhsa_next_free_vgpr 1
		.amdhsa_next_free_sgpr 1
		.amdhsa_named_barrier_count 0
		.amdhsa_reserve_vcc 0
		.amdhsa_float_round_mode_32 0
		.amdhsa_float_round_mode_16_64 0
		.amdhsa_float_denorm_mode_32 3
		.amdhsa_float_denorm_mode_16_64 3
		.amdhsa_fp16_overflow 0
		.amdhsa_memory_ordered 1
		.amdhsa_forward_progress 1
		.amdhsa_inst_pref_size 0
		.amdhsa_round_robin_scheduling 0
		.amdhsa_exception_fp_ieee_invalid_op 0
		.amdhsa_exception_fp_denorm_src 0
		.amdhsa_exception_fp_ieee_div_zero 0
		.amdhsa_exception_fp_ieee_overflow 0
		.amdhsa_exception_fp_ieee_underflow 0
		.amdhsa_exception_fp_ieee_inexact 0
		.amdhsa_exception_int_div_zero 0
	.end_amdhsa_kernel
	.section	.text._ZN7rocprim17ROCPRIM_400000_NS6detail17trampoline_kernelINS0_14default_configENS1_21merge_config_selectorINS0_5tupleIJssEEENS0_10empty_typeEEEZNS1_10merge_implIS3_NS0_12zip_iteratorINS5_IJN6thrust23THRUST_200600_302600_NS6detail15normal_iteratorINSC_10device_ptrIKsEEEESI_EEEEESK_NSA_INS5_IJNSC_16discard_iteratorINSC_11use_defaultEEESN_EEEEEPS7_SQ_SQ_NSC_11hip_rocprim7__merge17predicate_wrapperIssNSC_4lessIsEEEEEE10hipError_tPvRmT0_T1_T2_T3_T4_T5_mmT6_P12ihipStream_tbEUlT_E0_NS1_11comp_targetILNS1_3genE5ELNS1_11target_archE942ELNS1_3gpuE9ELNS1_3repE0EEENS1_30default_config_static_selectorELNS0_4arch9wavefront6targetE0EEEvS11_,"axG",@progbits,_ZN7rocprim17ROCPRIM_400000_NS6detail17trampoline_kernelINS0_14default_configENS1_21merge_config_selectorINS0_5tupleIJssEEENS0_10empty_typeEEEZNS1_10merge_implIS3_NS0_12zip_iteratorINS5_IJN6thrust23THRUST_200600_302600_NS6detail15normal_iteratorINSC_10device_ptrIKsEEEESI_EEEEESK_NSA_INS5_IJNSC_16discard_iteratorINSC_11use_defaultEEESN_EEEEEPS7_SQ_SQ_NSC_11hip_rocprim7__merge17predicate_wrapperIssNSC_4lessIsEEEEEE10hipError_tPvRmT0_T1_T2_T3_T4_T5_mmT6_P12ihipStream_tbEUlT_E0_NS1_11comp_targetILNS1_3genE5ELNS1_11target_archE942ELNS1_3gpuE9ELNS1_3repE0EEENS1_30default_config_static_selectorELNS0_4arch9wavefront6targetE0EEEvS11_,comdat
.Lfunc_end615:
	.size	_ZN7rocprim17ROCPRIM_400000_NS6detail17trampoline_kernelINS0_14default_configENS1_21merge_config_selectorINS0_5tupleIJssEEENS0_10empty_typeEEEZNS1_10merge_implIS3_NS0_12zip_iteratorINS5_IJN6thrust23THRUST_200600_302600_NS6detail15normal_iteratorINSC_10device_ptrIKsEEEESI_EEEEESK_NSA_INS5_IJNSC_16discard_iteratorINSC_11use_defaultEEESN_EEEEEPS7_SQ_SQ_NSC_11hip_rocprim7__merge17predicate_wrapperIssNSC_4lessIsEEEEEE10hipError_tPvRmT0_T1_T2_T3_T4_T5_mmT6_P12ihipStream_tbEUlT_E0_NS1_11comp_targetILNS1_3genE5ELNS1_11target_archE942ELNS1_3gpuE9ELNS1_3repE0EEENS1_30default_config_static_selectorELNS0_4arch9wavefront6targetE0EEEvS11_, .Lfunc_end615-_ZN7rocprim17ROCPRIM_400000_NS6detail17trampoline_kernelINS0_14default_configENS1_21merge_config_selectorINS0_5tupleIJssEEENS0_10empty_typeEEEZNS1_10merge_implIS3_NS0_12zip_iteratorINS5_IJN6thrust23THRUST_200600_302600_NS6detail15normal_iteratorINSC_10device_ptrIKsEEEESI_EEEEESK_NSA_INS5_IJNSC_16discard_iteratorINSC_11use_defaultEEESN_EEEEEPS7_SQ_SQ_NSC_11hip_rocprim7__merge17predicate_wrapperIssNSC_4lessIsEEEEEE10hipError_tPvRmT0_T1_T2_T3_T4_T5_mmT6_P12ihipStream_tbEUlT_E0_NS1_11comp_targetILNS1_3genE5ELNS1_11target_archE942ELNS1_3gpuE9ELNS1_3repE0EEENS1_30default_config_static_selectorELNS0_4arch9wavefront6targetE0EEEvS11_
                                        ; -- End function
	.set _ZN7rocprim17ROCPRIM_400000_NS6detail17trampoline_kernelINS0_14default_configENS1_21merge_config_selectorINS0_5tupleIJssEEENS0_10empty_typeEEEZNS1_10merge_implIS3_NS0_12zip_iteratorINS5_IJN6thrust23THRUST_200600_302600_NS6detail15normal_iteratorINSC_10device_ptrIKsEEEESI_EEEEESK_NSA_INS5_IJNSC_16discard_iteratorINSC_11use_defaultEEESN_EEEEEPS7_SQ_SQ_NSC_11hip_rocprim7__merge17predicate_wrapperIssNSC_4lessIsEEEEEE10hipError_tPvRmT0_T1_T2_T3_T4_T5_mmT6_P12ihipStream_tbEUlT_E0_NS1_11comp_targetILNS1_3genE5ELNS1_11target_archE942ELNS1_3gpuE9ELNS1_3repE0EEENS1_30default_config_static_selectorELNS0_4arch9wavefront6targetE0EEEvS11_.num_vgpr, 0
	.set _ZN7rocprim17ROCPRIM_400000_NS6detail17trampoline_kernelINS0_14default_configENS1_21merge_config_selectorINS0_5tupleIJssEEENS0_10empty_typeEEEZNS1_10merge_implIS3_NS0_12zip_iteratorINS5_IJN6thrust23THRUST_200600_302600_NS6detail15normal_iteratorINSC_10device_ptrIKsEEEESI_EEEEESK_NSA_INS5_IJNSC_16discard_iteratorINSC_11use_defaultEEESN_EEEEEPS7_SQ_SQ_NSC_11hip_rocprim7__merge17predicate_wrapperIssNSC_4lessIsEEEEEE10hipError_tPvRmT0_T1_T2_T3_T4_T5_mmT6_P12ihipStream_tbEUlT_E0_NS1_11comp_targetILNS1_3genE5ELNS1_11target_archE942ELNS1_3gpuE9ELNS1_3repE0EEENS1_30default_config_static_selectorELNS0_4arch9wavefront6targetE0EEEvS11_.num_agpr, 0
	.set _ZN7rocprim17ROCPRIM_400000_NS6detail17trampoline_kernelINS0_14default_configENS1_21merge_config_selectorINS0_5tupleIJssEEENS0_10empty_typeEEEZNS1_10merge_implIS3_NS0_12zip_iteratorINS5_IJN6thrust23THRUST_200600_302600_NS6detail15normal_iteratorINSC_10device_ptrIKsEEEESI_EEEEESK_NSA_INS5_IJNSC_16discard_iteratorINSC_11use_defaultEEESN_EEEEEPS7_SQ_SQ_NSC_11hip_rocprim7__merge17predicate_wrapperIssNSC_4lessIsEEEEEE10hipError_tPvRmT0_T1_T2_T3_T4_T5_mmT6_P12ihipStream_tbEUlT_E0_NS1_11comp_targetILNS1_3genE5ELNS1_11target_archE942ELNS1_3gpuE9ELNS1_3repE0EEENS1_30default_config_static_selectorELNS0_4arch9wavefront6targetE0EEEvS11_.numbered_sgpr, 0
	.set _ZN7rocprim17ROCPRIM_400000_NS6detail17trampoline_kernelINS0_14default_configENS1_21merge_config_selectorINS0_5tupleIJssEEENS0_10empty_typeEEEZNS1_10merge_implIS3_NS0_12zip_iteratorINS5_IJN6thrust23THRUST_200600_302600_NS6detail15normal_iteratorINSC_10device_ptrIKsEEEESI_EEEEESK_NSA_INS5_IJNSC_16discard_iteratorINSC_11use_defaultEEESN_EEEEEPS7_SQ_SQ_NSC_11hip_rocprim7__merge17predicate_wrapperIssNSC_4lessIsEEEEEE10hipError_tPvRmT0_T1_T2_T3_T4_T5_mmT6_P12ihipStream_tbEUlT_E0_NS1_11comp_targetILNS1_3genE5ELNS1_11target_archE942ELNS1_3gpuE9ELNS1_3repE0EEENS1_30default_config_static_selectorELNS0_4arch9wavefront6targetE0EEEvS11_.num_named_barrier, 0
	.set _ZN7rocprim17ROCPRIM_400000_NS6detail17trampoline_kernelINS0_14default_configENS1_21merge_config_selectorINS0_5tupleIJssEEENS0_10empty_typeEEEZNS1_10merge_implIS3_NS0_12zip_iteratorINS5_IJN6thrust23THRUST_200600_302600_NS6detail15normal_iteratorINSC_10device_ptrIKsEEEESI_EEEEESK_NSA_INS5_IJNSC_16discard_iteratorINSC_11use_defaultEEESN_EEEEEPS7_SQ_SQ_NSC_11hip_rocprim7__merge17predicate_wrapperIssNSC_4lessIsEEEEEE10hipError_tPvRmT0_T1_T2_T3_T4_T5_mmT6_P12ihipStream_tbEUlT_E0_NS1_11comp_targetILNS1_3genE5ELNS1_11target_archE942ELNS1_3gpuE9ELNS1_3repE0EEENS1_30default_config_static_selectorELNS0_4arch9wavefront6targetE0EEEvS11_.private_seg_size, 0
	.set _ZN7rocprim17ROCPRIM_400000_NS6detail17trampoline_kernelINS0_14default_configENS1_21merge_config_selectorINS0_5tupleIJssEEENS0_10empty_typeEEEZNS1_10merge_implIS3_NS0_12zip_iteratorINS5_IJN6thrust23THRUST_200600_302600_NS6detail15normal_iteratorINSC_10device_ptrIKsEEEESI_EEEEESK_NSA_INS5_IJNSC_16discard_iteratorINSC_11use_defaultEEESN_EEEEEPS7_SQ_SQ_NSC_11hip_rocprim7__merge17predicate_wrapperIssNSC_4lessIsEEEEEE10hipError_tPvRmT0_T1_T2_T3_T4_T5_mmT6_P12ihipStream_tbEUlT_E0_NS1_11comp_targetILNS1_3genE5ELNS1_11target_archE942ELNS1_3gpuE9ELNS1_3repE0EEENS1_30default_config_static_selectorELNS0_4arch9wavefront6targetE0EEEvS11_.uses_vcc, 0
	.set _ZN7rocprim17ROCPRIM_400000_NS6detail17trampoline_kernelINS0_14default_configENS1_21merge_config_selectorINS0_5tupleIJssEEENS0_10empty_typeEEEZNS1_10merge_implIS3_NS0_12zip_iteratorINS5_IJN6thrust23THRUST_200600_302600_NS6detail15normal_iteratorINSC_10device_ptrIKsEEEESI_EEEEESK_NSA_INS5_IJNSC_16discard_iteratorINSC_11use_defaultEEESN_EEEEEPS7_SQ_SQ_NSC_11hip_rocprim7__merge17predicate_wrapperIssNSC_4lessIsEEEEEE10hipError_tPvRmT0_T1_T2_T3_T4_T5_mmT6_P12ihipStream_tbEUlT_E0_NS1_11comp_targetILNS1_3genE5ELNS1_11target_archE942ELNS1_3gpuE9ELNS1_3repE0EEENS1_30default_config_static_selectorELNS0_4arch9wavefront6targetE0EEEvS11_.uses_flat_scratch, 0
	.set _ZN7rocprim17ROCPRIM_400000_NS6detail17trampoline_kernelINS0_14default_configENS1_21merge_config_selectorINS0_5tupleIJssEEENS0_10empty_typeEEEZNS1_10merge_implIS3_NS0_12zip_iteratorINS5_IJN6thrust23THRUST_200600_302600_NS6detail15normal_iteratorINSC_10device_ptrIKsEEEESI_EEEEESK_NSA_INS5_IJNSC_16discard_iteratorINSC_11use_defaultEEESN_EEEEEPS7_SQ_SQ_NSC_11hip_rocprim7__merge17predicate_wrapperIssNSC_4lessIsEEEEEE10hipError_tPvRmT0_T1_T2_T3_T4_T5_mmT6_P12ihipStream_tbEUlT_E0_NS1_11comp_targetILNS1_3genE5ELNS1_11target_archE942ELNS1_3gpuE9ELNS1_3repE0EEENS1_30default_config_static_selectorELNS0_4arch9wavefront6targetE0EEEvS11_.has_dyn_sized_stack, 0
	.set _ZN7rocprim17ROCPRIM_400000_NS6detail17trampoline_kernelINS0_14default_configENS1_21merge_config_selectorINS0_5tupleIJssEEENS0_10empty_typeEEEZNS1_10merge_implIS3_NS0_12zip_iteratorINS5_IJN6thrust23THRUST_200600_302600_NS6detail15normal_iteratorINSC_10device_ptrIKsEEEESI_EEEEESK_NSA_INS5_IJNSC_16discard_iteratorINSC_11use_defaultEEESN_EEEEEPS7_SQ_SQ_NSC_11hip_rocprim7__merge17predicate_wrapperIssNSC_4lessIsEEEEEE10hipError_tPvRmT0_T1_T2_T3_T4_T5_mmT6_P12ihipStream_tbEUlT_E0_NS1_11comp_targetILNS1_3genE5ELNS1_11target_archE942ELNS1_3gpuE9ELNS1_3repE0EEENS1_30default_config_static_selectorELNS0_4arch9wavefront6targetE0EEEvS11_.has_recursion, 0
	.set _ZN7rocprim17ROCPRIM_400000_NS6detail17trampoline_kernelINS0_14default_configENS1_21merge_config_selectorINS0_5tupleIJssEEENS0_10empty_typeEEEZNS1_10merge_implIS3_NS0_12zip_iteratorINS5_IJN6thrust23THRUST_200600_302600_NS6detail15normal_iteratorINSC_10device_ptrIKsEEEESI_EEEEESK_NSA_INS5_IJNSC_16discard_iteratorINSC_11use_defaultEEESN_EEEEEPS7_SQ_SQ_NSC_11hip_rocprim7__merge17predicate_wrapperIssNSC_4lessIsEEEEEE10hipError_tPvRmT0_T1_T2_T3_T4_T5_mmT6_P12ihipStream_tbEUlT_E0_NS1_11comp_targetILNS1_3genE5ELNS1_11target_archE942ELNS1_3gpuE9ELNS1_3repE0EEENS1_30default_config_static_selectorELNS0_4arch9wavefront6targetE0EEEvS11_.has_indirect_call, 0
	.section	.AMDGPU.csdata,"",@progbits
; Kernel info:
; codeLenInByte = 0
; TotalNumSgprs: 0
; NumVgprs: 0
; ScratchSize: 0
; MemoryBound: 0
; FloatMode: 240
; IeeeMode: 1
; LDSByteSize: 0 bytes/workgroup (compile time only)
; SGPRBlocks: 0
; VGPRBlocks: 0
; NumSGPRsForWavesPerEU: 1
; NumVGPRsForWavesPerEU: 1
; NamedBarCnt: 0
; Occupancy: 16
; WaveLimiterHint : 0
; COMPUTE_PGM_RSRC2:SCRATCH_EN: 0
; COMPUTE_PGM_RSRC2:USER_SGPR: 2
; COMPUTE_PGM_RSRC2:TRAP_HANDLER: 0
; COMPUTE_PGM_RSRC2:TGID_X_EN: 1
; COMPUTE_PGM_RSRC2:TGID_Y_EN: 0
; COMPUTE_PGM_RSRC2:TGID_Z_EN: 0
; COMPUTE_PGM_RSRC2:TIDIG_COMP_CNT: 0
	.section	.text._ZN7rocprim17ROCPRIM_400000_NS6detail17trampoline_kernelINS0_14default_configENS1_21merge_config_selectorINS0_5tupleIJssEEENS0_10empty_typeEEEZNS1_10merge_implIS3_NS0_12zip_iteratorINS5_IJN6thrust23THRUST_200600_302600_NS6detail15normal_iteratorINSC_10device_ptrIKsEEEESI_EEEEESK_NSA_INS5_IJNSC_16discard_iteratorINSC_11use_defaultEEESN_EEEEEPS7_SQ_SQ_NSC_11hip_rocprim7__merge17predicate_wrapperIssNSC_4lessIsEEEEEE10hipError_tPvRmT0_T1_T2_T3_T4_T5_mmT6_P12ihipStream_tbEUlT_E0_NS1_11comp_targetILNS1_3genE4ELNS1_11target_archE910ELNS1_3gpuE8ELNS1_3repE0EEENS1_30default_config_static_selectorELNS0_4arch9wavefront6targetE0EEEvS11_,"axG",@progbits,_ZN7rocprim17ROCPRIM_400000_NS6detail17trampoline_kernelINS0_14default_configENS1_21merge_config_selectorINS0_5tupleIJssEEENS0_10empty_typeEEEZNS1_10merge_implIS3_NS0_12zip_iteratorINS5_IJN6thrust23THRUST_200600_302600_NS6detail15normal_iteratorINSC_10device_ptrIKsEEEESI_EEEEESK_NSA_INS5_IJNSC_16discard_iteratorINSC_11use_defaultEEESN_EEEEEPS7_SQ_SQ_NSC_11hip_rocprim7__merge17predicate_wrapperIssNSC_4lessIsEEEEEE10hipError_tPvRmT0_T1_T2_T3_T4_T5_mmT6_P12ihipStream_tbEUlT_E0_NS1_11comp_targetILNS1_3genE4ELNS1_11target_archE910ELNS1_3gpuE8ELNS1_3repE0EEENS1_30default_config_static_selectorELNS0_4arch9wavefront6targetE0EEEvS11_,comdat
	.protected	_ZN7rocprim17ROCPRIM_400000_NS6detail17trampoline_kernelINS0_14default_configENS1_21merge_config_selectorINS0_5tupleIJssEEENS0_10empty_typeEEEZNS1_10merge_implIS3_NS0_12zip_iteratorINS5_IJN6thrust23THRUST_200600_302600_NS6detail15normal_iteratorINSC_10device_ptrIKsEEEESI_EEEEESK_NSA_INS5_IJNSC_16discard_iteratorINSC_11use_defaultEEESN_EEEEEPS7_SQ_SQ_NSC_11hip_rocprim7__merge17predicate_wrapperIssNSC_4lessIsEEEEEE10hipError_tPvRmT0_T1_T2_T3_T4_T5_mmT6_P12ihipStream_tbEUlT_E0_NS1_11comp_targetILNS1_3genE4ELNS1_11target_archE910ELNS1_3gpuE8ELNS1_3repE0EEENS1_30default_config_static_selectorELNS0_4arch9wavefront6targetE0EEEvS11_ ; -- Begin function _ZN7rocprim17ROCPRIM_400000_NS6detail17trampoline_kernelINS0_14default_configENS1_21merge_config_selectorINS0_5tupleIJssEEENS0_10empty_typeEEEZNS1_10merge_implIS3_NS0_12zip_iteratorINS5_IJN6thrust23THRUST_200600_302600_NS6detail15normal_iteratorINSC_10device_ptrIKsEEEESI_EEEEESK_NSA_INS5_IJNSC_16discard_iteratorINSC_11use_defaultEEESN_EEEEEPS7_SQ_SQ_NSC_11hip_rocprim7__merge17predicate_wrapperIssNSC_4lessIsEEEEEE10hipError_tPvRmT0_T1_T2_T3_T4_T5_mmT6_P12ihipStream_tbEUlT_E0_NS1_11comp_targetILNS1_3genE4ELNS1_11target_archE910ELNS1_3gpuE8ELNS1_3repE0EEENS1_30default_config_static_selectorELNS0_4arch9wavefront6targetE0EEEvS11_
	.globl	_ZN7rocprim17ROCPRIM_400000_NS6detail17trampoline_kernelINS0_14default_configENS1_21merge_config_selectorINS0_5tupleIJssEEENS0_10empty_typeEEEZNS1_10merge_implIS3_NS0_12zip_iteratorINS5_IJN6thrust23THRUST_200600_302600_NS6detail15normal_iteratorINSC_10device_ptrIKsEEEESI_EEEEESK_NSA_INS5_IJNSC_16discard_iteratorINSC_11use_defaultEEESN_EEEEEPS7_SQ_SQ_NSC_11hip_rocprim7__merge17predicate_wrapperIssNSC_4lessIsEEEEEE10hipError_tPvRmT0_T1_T2_T3_T4_T5_mmT6_P12ihipStream_tbEUlT_E0_NS1_11comp_targetILNS1_3genE4ELNS1_11target_archE910ELNS1_3gpuE8ELNS1_3repE0EEENS1_30default_config_static_selectorELNS0_4arch9wavefront6targetE0EEEvS11_
	.p2align	8
	.type	_ZN7rocprim17ROCPRIM_400000_NS6detail17trampoline_kernelINS0_14default_configENS1_21merge_config_selectorINS0_5tupleIJssEEENS0_10empty_typeEEEZNS1_10merge_implIS3_NS0_12zip_iteratorINS5_IJN6thrust23THRUST_200600_302600_NS6detail15normal_iteratorINSC_10device_ptrIKsEEEESI_EEEEESK_NSA_INS5_IJNSC_16discard_iteratorINSC_11use_defaultEEESN_EEEEEPS7_SQ_SQ_NSC_11hip_rocprim7__merge17predicate_wrapperIssNSC_4lessIsEEEEEE10hipError_tPvRmT0_T1_T2_T3_T4_T5_mmT6_P12ihipStream_tbEUlT_E0_NS1_11comp_targetILNS1_3genE4ELNS1_11target_archE910ELNS1_3gpuE8ELNS1_3repE0EEENS1_30default_config_static_selectorELNS0_4arch9wavefront6targetE0EEEvS11_,@function
_ZN7rocprim17ROCPRIM_400000_NS6detail17trampoline_kernelINS0_14default_configENS1_21merge_config_selectorINS0_5tupleIJssEEENS0_10empty_typeEEEZNS1_10merge_implIS3_NS0_12zip_iteratorINS5_IJN6thrust23THRUST_200600_302600_NS6detail15normal_iteratorINSC_10device_ptrIKsEEEESI_EEEEESK_NSA_INS5_IJNSC_16discard_iteratorINSC_11use_defaultEEESN_EEEEEPS7_SQ_SQ_NSC_11hip_rocprim7__merge17predicate_wrapperIssNSC_4lessIsEEEEEE10hipError_tPvRmT0_T1_T2_T3_T4_T5_mmT6_P12ihipStream_tbEUlT_E0_NS1_11comp_targetILNS1_3genE4ELNS1_11target_archE910ELNS1_3gpuE8ELNS1_3repE0EEENS1_30default_config_static_selectorELNS0_4arch9wavefront6targetE0EEEvS11_: ; @_ZN7rocprim17ROCPRIM_400000_NS6detail17trampoline_kernelINS0_14default_configENS1_21merge_config_selectorINS0_5tupleIJssEEENS0_10empty_typeEEEZNS1_10merge_implIS3_NS0_12zip_iteratorINS5_IJN6thrust23THRUST_200600_302600_NS6detail15normal_iteratorINSC_10device_ptrIKsEEEESI_EEEEESK_NSA_INS5_IJNSC_16discard_iteratorINSC_11use_defaultEEESN_EEEEEPS7_SQ_SQ_NSC_11hip_rocprim7__merge17predicate_wrapperIssNSC_4lessIsEEEEEE10hipError_tPvRmT0_T1_T2_T3_T4_T5_mmT6_P12ihipStream_tbEUlT_E0_NS1_11comp_targetILNS1_3genE4ELNS1_11target_archE910ELNS1_3gpuE8ELNS1_3repE0EEENS1_30default_config_static_selectorELNS0_4arch9wavefront6targetE0EEEvS11_
; %bb.0:
	.section	.rodata,"a",@progbits
	.p2align	6, 0x0
	.amdhsa_kernel _ZN7rocprim17ROCPRIM_400000_NS6detail17trampoline_kernelINS0_14default_configENS1_21merge_config_selectorINS0_5tupleIJssEEENS0_10empty_typeEEEZNS1_10merge_implIS3_NS0_12zip_iteratorINS5_IJN6thrust23THRUST_200600_302600_NS6detail15normal_iteratorINSC_10device_ptrIKsEEEESI_EEEEESK_NSA_INS5_IJNSC_16discard_iteratorINSC_11use_defaultEEESN_EEEEEPS7_SQ_SQ_NSC_11hip_rocprim7__merge17predicate_wrapperIssNSC_4lessIsEEEEEE10hipError_tPvRmT0_T1_T2_T3_T4_T5_mmT6_P12ihipStream_tbEUlT_E0_NS1_11comp_targetILNS1_3genE4ELNS1_11target_archE910ELNS1_3gpuE8ELNS1_3repE0EEENS1_30default_config_static_selectorELNS0_4arch9wavefront6targetE0EEEvS11_
		.amdhsa_group_segment_fixed_size 0
		.amdhsa_private_segment_fixed_size 0
		.amdhsa_kernarg_size 128
		.amdhsa_user_sgpr_count 2
		.amdhsa_user_sgpr_dispatch_ptr 0
		.amdhsa_user_sgpr_queue_ptr 0
		.amdhsa_user_sgpr_kernarg_segment_ptr 1
		.amdhsa_user_sgpr_dispatch_id 0
		.amdhsa_user_sgpr_kernarg_preload_length 0
		.amdhsa_user_sgpr_kernarg_preload_offset 0
		.amdhsa_user_sgpr_private_segment_size 0
		.amdhsa_wavefront_size32 1
		.amdhsa_uses_dynamic_stack 0
		.amdhsa_enable_private_segment 0
		.amdhsa_system_sgpr_workgroup_id_x 1
		.amdhsa_system_sgpr_workgroup_id_y 0
		.amdhsa_system_sgpr_workgroup_id_z 0
		.amdhsa_system_sgpr_workgroup_info 0
		.amdhsa_system_vgpr_workitem_id 0
		.amdhsa_next_free_vgpr 1
		.amdhsa_next_free_sgpr 1
		.amdhsa_named_barrier_count 0
		.amdhsa_reserve_vcc 0
		.amdhsa_float_round_mode_32 0
		.amdhsa_float_round_mode_16_64 0
		.amdhsa_float_denorm_mode_32 3
		.amdhsa_float_denorm_mode_16_64 3
		.amdhsa_fp16_overflow 0
		.amdhsa_memory_ordered 1
		.amdhsa_forward_progress 1
		.amdhsa_inst_pref_size 0
		.amdhsa_round_robin_scheduling 0
		.amdhsa_exception_fp_ieee_invalid_op 0
		.amdhsa_exception_fp_denorm_src 0
		.amdhsa_exception_fp_ieee_div_zero 0
		.amdhsa_exception_fp_ieee_overflow 0
		.amdhsa_exception_fp_ieee_underflow 0
		.amdhsa_exception_fp_ieee_inexact 0
		.amdhsa_exception_int_div_zero 0
	.end_amdhsa_kernel
	.section	.text._ZN7rocprim17ROCPRIM_400000_NS6detail17trampoline_kernelINS0_14default_configENS1_21merge_config_selectorINS0_5tupleIJssEEENS0_10empty_typeEEEZNS1_10merge_implIS3_NS0_12zip_iteratorINS5_IJN6thrust23THRUST_200600_302600_NS6detail15normal_iteratorINSC_10device_ptrIKsEEEESI_EEEEESK_NSA_INS5_IJNSC_16discard_iteratorINSC_11use_defaultEEESN_EEEEEPS7_SQ_SQ_NSC_11hip_rocprim7__merge17predicate_wrapperIssNSC_4lessIsEEEEEE10hipError_tPvRmT0_T1_T2_T3_T4_T5_mmT6_P12ihipStream_tbEUlT_E0_NS1_11comp_targetILNS1_3genE4ELNS1_11target_archE910ELNS1_3gpuE8ELNS1_3repE0EEENS1_30default_config_static_selectorELNS0_4arch9wavefront6targetE0EEEvS11_,"axG",@progbits,_ZN7rocprim17ROCPRIM_400000_NS6detail17trampoline_kernelINS0_14default_configENS1_21merge_config_selectorINS0_5tupleIJssEEENS0_10empty_typeEEEZNS1_10merge_implIS3_NS0_12zip_iteratorINS5_IJN6thrust23THRUST_200600_302600_NS6detail15normal_iteratorINSC_10device_ptrIKsEEEESI_EEEEESK_NSA_INS5_IJNSC_16discard_iteratorINSC_11use_defaultEEESN_EEEEEPS7_SQ_SQ_NSC_11hip_rocprim7__merge17predicate_wrapperIssNSC_4lessIsEEEEEE10hipError_tPvRmT0_T1_T2_T3_T4_T5_mmT6_P12ihipStream_tbEUlT_E0_NS1_11comp_targetILNS1_3genE4ELNS1_11target_archE910ELNS1_3gpuE8ELNS1_3repE0EEENS1_30default_config_static_selectorELNS0_4arch9wavefront6targetE0EEEvS11_,comdat
.Lfunc_end616:
	.size	_ZN7rocprim17ROCPRIM_400000_NS6detail17trampoline_kernelINS0_14default_configENS1_21merge_config_selectorINS0_5tupleIJssEEENS0_10empty_typeEEEZNS1_10merge_implIS3_NS0_12zip_iteratorINS5_IJN6thrust23THRUST_200600_302600_NS6detail15normal_iteratorINSC_10device_ptrIKsEEEESI_EEEEESK_NSA_INS5_IJNSC_16discard_iteratorINSC_11use_defaultEEESN_EEEEEPS7_SQ_SQ_NSC_11hip_rocprim7__merge17predicate_wrapperIssNSC_4lessIsEEEEEE10hipError_tPvRmT0_T1_T2_T3_T4_T5_mmT6_P12ihipStream_tbEUlT_E0_NS1_11comp_targetILNS1_3genE4ELNS1_11target_archE910ELNS1_3gpuE8ELNS1_3repE0EEENS1_30default_config_static_selectorELNS0_4arch9wavefront6targetE0EEEvS11_, .Lfunc_end616-_ZN7rocprim17ROCPRIM_400000_NS6detail17trampoline_kernelINS0_14default_configENS1_21merge_config_selectorINS0_5tupleIJssEEENS0_10empty_typeEEEZNS1_10merge_implIS3_NS0_12zip_iteratorINS5_IJN6thrust23THRUST_200600_302600_NS6detail15normal_iteratorINSC_10device_ptrIKsEEEESI_EEEEESK_NSA_INS5_IJNSC_16discard_iteratorINSC_11use_defaultEEESN_EEEEEPS7_SQ_SQ_NSC_11hip_rocprim7__merge17predicate_wrapperIssNSC_4lessIsEEEEEE10hipError_tPvRmT0_T1_T2_T3_T4_T5_mmT6_P12ihipStream_tbEUlT_E0_NS1_11comp_targetILNS1_3genE4ELNS1_11target_archE910ELNS1_3gpuE8ELNS1_3repE0EEENS1_30default_config_static_selectorELNS0_4arch9wavefront6targetE0EEEvS11_
                                        ; -- End function
	.set _ZN7rocprim17ROCPRIM_400000_NS6detail17trampoline_kernelINS0_14default_configENS1_21merge_config_selectorINS0_5tupleIJssEEENS0_10empty_typeEEEZNS1_10merge_implIS3_NS0_12zip_iteratorINS5_IJN6thrust23THRUST_200600_302600_NS6detail15normal_iteratorINSC_10device_ptrIKsEEEESI_EEEEESK_NSA_INS5_IJNSC_16discard_iteratorINSC_11use_defaultEEESN_EEEEEPS7_SQ_SQ_NSC_11hip_rocprim7__merge17predicate_wrapperIssNSC_4lessIsEEEEEE10hipError_tPvRmT0_T1_T2_T3_T4_T5_mmT6_P12ihipStream_tbEUlT_E0_NS1_11comp_targetILNS1_3genE4ELNS1_11target_archE910ELNS1_3gpuE8ELNS1_3repE0EEENS1_30default_config_static_selectorELNS0_4arch9wavefront6targetE0EEEvS11_.num_vgpr, 0
	.set _ZN7rocprim17ROCPRIM_400000_NS6detail17trampoline_kernelINS0_14default_configENS1_21merge_config_selectorINS0_5tupleIJssEEENS0_10empty_typeEEEZNS1_10merge_implIS3_NS0_12zip_iteratorINS5_IJN6thrust23THRUST_200600_302600_NS6detail15normal_iteratorINSC_10device_ptrIKsEEEESI_EEEEESK_NSA_INS5_IJNSC_16discard_iteratorINSC_11use_defaultEEESN_EEEEEPS7_SQ_SQ_NSC_11hip_rocprim7__merge17predicate_wrapperIssNSC_4lessIsEEEEEE10hipError_tPvRmT0_T1_T2_T3_T4_T5_mmT6_P12ihipStream_tbEUlT_E0_NS1_11comp_targetILNS1_3genE4ELNS1_11target_archE910ELNS1_3gpuE8ELNS1_3repE0EEENS1_30default_config_static_selectorELNS0_4arch9wavefront6targetE0EEEvS11_.num_agpr, 0
	.set _ZN7rocprim17ROCPRIM_400000_NS6detail17trampoline_kernelINS0_14default_configENS1_21merge_config_selectorINS0_5tupleIJssEEENS0_10empty_typeEEEZNS1_10merge_implIS3_NS0_12zip_iteratorINS5_IJN6thrust23THRUST_200600_302600_NS6detail15normal_iteratorINSC_10device_ptrIKsEEEESI_EEEEESK_NSA_INS5_IJNSC_16discard_iteratorINSC_11use_defaultEEESN_EEEEEPS7_SQ_SQ_NSC_11hip_rocprim7__merge17predicate_wrapperIssNSC_4lessIsEEEEEE10hipError_tPvRmT0_T1_T2_T3_T4_T5_mmT6_P12ihipStream_tbEUlT_E0_NS1_11comp_targetILNS1_3genE4ELNS1_11target_archE910ELNS1_3gpuE8ELNS1_3repE0EEENS1_30default_config_static_selectorELNS0_4arch9wavefront6targetE0EEEvS11_.numbered_sgpr, 0
	.set _ZN7rocprim17ROCPRIM_400000_NS6detail17trampoline_kernelINS0_14default_configENS1_21merge_config_selectorINS0_5tupleIJssEEENS0_10empty_typeEEEZNS1_10merge_implIS3_NS0_12zip_iteratorINS5_IJN6thrust23THRUST_200600_302600_NS6detail15normal_iteratorINSC_10device_ptrIKsEEEESI_EEEEESK_NSA_INS5_IJNSC_16discard_iteratorINSC_11use_defaultEEESN_EEEEEPS7_SQ_SQ_NSC_11hip_rocprim7__merge17predicate_wrapperIssNSC_4lessIsEEEEEE10hipError_tPvRmT0_T1_T2_T3_T4_T5_mmT6_P12ihipStream_tbEUlT_E0_NS1_11comp_targetILNS1_3genE4ELNS1_11target_archE910ELNS1_3gpuE8ELNS1_3repE0EEENS1_30default_config_static_selectorELNS0_4arch9wavefront6targetE0EEEvS11_.num_named_barrier, 0
	.set _ZN7rocprim17ROCPRIM_400000_NS6detail17trampoline_kernelINS0_14default_configENS1_21merge_config_selectorINS0_5tupleIJssEEENS0_10empty_typeEEEZNS1_10merge_implIS3_NS0_12zip_iteratorINS5_IJN6thrust23THRUST_200600_302600_NS6detail15normal_iteratorINSC_10device_ptrIKsEEEESI_EEEEESK_NSA_INS5_IJNSC_16discard_iteratorINSC_11use_defaultEEESN_EEEEEPS7_SQ_SQ_NSC_11hip_rocprim7__merge17predicate_wrapperIssNSC_4lessIsEEEEEE10hipError_tPvRmT0_T1_T2_T3_T4_T5_mmT6_P12ihipStream_tbEUlT_E0_NS1_11comp_targetILNS1_3genE4ELNS1_11target_archE910ELNS1_3gpuE8ELNS1_3repE0EEENS1_30default_config_static_selectorELNS0_4arch9wavefront6targetE0EEEvS11_.private_seg_size, 0
	.set _ZN7rocprim17ROCPRIM_400000_NS6detail17trampoline_kernelINS0_14default_configENS1_21merge_config_selectorINS0_5tupleIJssEEENS0_10empty_typeEEEZNS1_10merge_implIS3_NS0_12zip_iteratorINS5_IJN6thrust23THRUST_200600_302600_NS6detail15normal_iteratorINSC_10device_ptrIKsEEEESI_EEEEESK_NSA_INS5_IJNSC_16discard_iteratorINSC_11use_defaultEEESN_EEEEEPS7_SQ_SQ_NSC_11hip_rocprim7__merge17predicate_wrapperIssNSC_4lessIsEEEEEE10hipError_tPvRmT0_T1_T2_T3_T4_T5_mmT6_P12ihipStream_tbEUlT_E0_NS1_11comp_targetILNS1_3genE4ELNS1_11target_archE910ELNS1_3gpuE8ELNS1_3repE0EEENS1_30default_config_static_selectorELNS0_4arch9wavefront6targetE0EEEvS11_.uses_vcc, 0
	.set _ZN7rocprim17ROCPRIM_400000_NS6detail17trampoline_kernelINS0_14default_configENS1_21merge_config_selectorINS0_5tupleIJssEEENS0_10empty_typeEEEZNS1_10merge_implIS3_NS0_12zip_iteratorINS5_IJN6thrust23THRUST_200600_302600_NS6detail15normal_iteratorINSC_10device_ptrIKsEEEESI_EEEEESK_NSA_INS5_IJNSC_16discard_iteratorINSC_11use_defaultEEESN_EEEEEPS7_SQ_SQ_NSC_11hip_rocprim7__merge17predicate_wrapperIssNSC_4lessIsEEEEEE10hipError_tPvRmT0_T1_T2_T3_T4_T5_mmT6_P12ihipStream_tbEUlT_E0_NS1_11comp_targetILNS1_3genE4ELNS1_11target_archE910ELNS1_3gpuE8ELNS1_3repE0EEENS1_30default_config_static_selectorELNS0_4arch9wavefront6targetE0EEEvS11_.uses_flat_scratch, 0
	.set _ZN7rocprim17ROCPRIM_400000_NS6detail17trampoline_kernelINS0_14default_configENS1_21merge_config_selectorINS0_5tupleIJssEEENS0_10empty_typeEEEZNS1_10merge_implIS3_NS0_12zip_iteratorINS5_IJN6thrust23THRUST_200600_302600_NS6detail15normal_iteratorINSC_10device_ptrIKsEEEESI_EEEEESK_NSA_INS5_IJNSC_16discard_iteratorINSC_11use_defaultEEESN_EEEEEPS7_SQ_SQ_NSC_11hip_rocprim7__merge17predicate_wrapperIssNSC_4lessIsEEEEEE10hipError_tPvRmT0_T1_T2_T3_T4_T5_mmT6_P12ihipStream_tbEUlT_E0_NS1_11comp_targetILNS1_3genE4ELNS1_11target_archE910ELNS1_3gpuE8ELNS1_3repE0EEENS1_30default_config_static_selectorELNS0_4arch9wavefront6targetE0EEEvS11_.has_dyn_sized_stack, 0
	.set _ZN7rocprim17ROCPRIM_400000_NS6detail17trampoline_kernelINS0_14default_configENS1_21merge_config_selectorINS0_5tupleIJssEEENS0_10empty_typeEEEZNS1_10merge_implIS3_NS0_12zip_iteratorINS5_IJN6thrust23THRUST_200600_302600_NS6detail15normal_iteratorINSC_10device_ptrIKsEEEESI_EEEEESK_NSA_INS5_IJNSC_16discard_iteratorINSC_11use_defaultEEESN_EEEEEPS7_SQ_SQ_NSC_11hip_rocprim7__merge17predicate_wrapperIssNSC_4lessIsEEEEEE10hipError_tPvRmT0_T1_T2_T3_T4_T5_mmT6_P12ihipStream_tbEUlT_E0_NS1_11comp_targetILNS1_3genE4ELNS1_11target_archE910ELNS1_3gpuE8ELNS1_3repE0EEENS1_30default_config_static_selectorELNS0_4arch9wavefront6targetE0EEEvS11_.has_recursion, 0
	.set _ZN7rocprim17ROCPRIM_400000_NS6detail17trampoline_kernelINS0_14default_configENS1_21merge_config_selectorINS0_5tupleIJssEEENS0_10empty_typeEEEZNS1_10merge_implIS3_NS0_12zip_iteratorINS5_IJN6thrust23THRUST_200600_302600_NS6detail15normal_iteratorINSC_10device_ptrIKsEEEESI_EEEEESK_NSA_INS5_IJNSC_16discard_iteratorINSC_11use_defaultEEESN_EEEEEPS7_SQ_SQ_NSC_11hip_rocprim7__merge17predicate_wrapperIssNSC_4lessIsEEEEEE10hipError_tPvRmT0_T1_T2_T3_T4_T5_mmT6_P12ihipStream_tbEUlT_E0_NS1_11comp_targetILNS1_3genE4ELNS1_11target_archE910ELNS1_3gpuE8ELNS1_3repE0EEENS1_30default_config_static_selectorELNS0_4arch9wavefront6targetE0EEEvS11_.has_indirect_call, 0
	.section	.AMDGPU.csdata,"",@progbits
; Kernel info:
; codeLenInByte = 0
; TotalNumSgprs: 0
; NumVgprs: 0
; ScratchSize: 0
; MemoryBound: 0
; FloatMode: 240
; IeeeMode: 1
; LDSByteSize: 0 bytes/workgroup (compile time only)
; SGPRBlocks: 0
; VGPRBlocks: 0
; NumSGPRsForWavesPerEU: 1
; NumVGPRsForWavesPerEU: 1
; NamedBarCnt: 0
; Occupancy: 16
; WaveLimiterHint : 0
; COMPUTE_PGM_RSRC2:SCRATCH_EN: 0
; COMPUTE_PGM_RSRC2:USER_SGPR: 2
; COMPUTE_PGM_RSRC2:TRAP_HANDLER: 0
; COMPUTE_PGM_RSRC2:TGID_X_EN: 1
; COMPUTE_PGM_RSRC2:TGID_Y_EN: 0
; COMPUTE_PGM_RSRC2:TGID_Z_EN: 0
; COMPUTE_PGM_RSRC2:TIDIG_COMP_CNT: 0
	.section	.text._ZN7rocprim17ROCPRIM_400000_NS6detail17trampoline_kernelINS0_14default_configENS1_21merge_config_selectorINS0_5tupleIJssEEENS0_10empty_typeEEEZNS1_10merge_implIS3_NS0_12zip_iteratorINS5_IJN6thrust23THRUST_200600_302600_NS6detail15normal_iteratorINSC_10device_ptrIKsEEEESI_EEEEESK_NSA_INS5_IJNSC_16discard_iteratorINSC_11use_defaultEEESN_EEEEEPS7_SQ_SQ_NSC_11hip_rocprim7__merge17predicate_wrapperIssNSC_4lessIsEEEEEE10hipError_tPvRmT0_T1_T2_T3_T4_T5_mmT6_P12ihipStream_tbEUlT_E0_NS1_11comp_targetILNS1_3genE3ELNS1_11target_archE908ELNS1_3gpuE7ELNS1_3repE0EEENS1_30default_config_static_selectorELNS0_4arch9wavefront6targetE0EEEvS11_,"axG",@progbits,_ZN7rocprim17ROCPRIM_400000_NS6detail17trampoline_kernelINS0_14default_configENS1_21merge_config_selectorINS0_5tupleIJssEEENS0_10empty_typeEEEZNS1_10merge_implIS3_NS0_12zip_iteratorINS5_IJN6thrust23THRUST_200600_302600_NS6detail15normal_iteratorINSC_10device_ptrIKsEEEESI_EEEEESK_NSA_INS5_IJNSC_16discard_iteratorINSC_11use_defaultEEESN_EEEEEPS7_SQ_SQ_NSC_11hip_rocprim7__merge17predicate_wrapperIssNSC_4lessIsEEEEEE10hipError_tPvRmT0_T1_T2_T3_T4_T5_mmT6_P12ihipStream_tbEUlT_E0_NS1_11comp_targetILNS1_3genE3ELNS1_11target_archE908ELNS1_3gpuE7ELNS1_3repE0EEENS1_30default_config_static_selectorELNS0_4arch9wavefront6targetE0EEEvS11_,comdat
	.protected	_ZN7rocprim17ROCPRIM_400000_NS6detail17trampoline_kernelINS0_14default_configENS1_21merge_config_selectorINS0_5tupleIJssEEENS0_10empty_typeEEEZNS1_10merge_implIS3_NS0_12zip_iteratorINS5_IJN6thrust23THRUST_200600_302600_NS6detail15normal_iteratorINSC_10device_ptrIKsEEEESI_EEEEESK_NSA_INS5_IJNSC_16discard_iteratorINSC_11use_defaultEEESN_EEEEEPS7_SQ_SQ_NSC_11hip_rocprim7__merge17predicate_wrapperIssNSC_4lessIsEEEEEE10hipError_tPvRmT0_T1_T2_T3_T4_T5_mmT6_P12ihipStream_tbEUlT_E0_NS1_11comp_targetILNS1_3genE3ELNS1_11target_archE908ELNS1_3gpuE7ELNS1_3repE0EEENS1_30default_config_static_selectorELNS0_4arch9wavefront6targetE0EEEvS11_ ; -- Begin function _ZN7rocprim17ROCPRIM_400000_NS6detail17trampoline_kernelINS0_14default_configENS1_21merge_config_selectorINS0_5tupleIJssEEENS0_10empty_typeEEEZNS1_10merge_implIS3_NS0_12zip_iteratorINS5_IJN6thrust23THRUST_200600_302600_NS6detail15normal_iteratorINSC_10device_ptrIKsEEEESI_EEEEESK_NSA_INS5_IJNSC_16discard_iteratorINSC_11use_defaultEEESN_EEEEEPS7_SQ_SQ_NSC_11hip_rocprim7__merge17predicate_wrapperIssNSC_4lessIsEEEEEE10hipError_tPvRmT0_T1_T2_T3_T4_T5_mmT6_P12ihipStream_tbEUlT_E0_NS1_11comp_targetILNS1_3genE3ELNS1_11target_archE908ELNS1_3gpuE7ELNS1_3repE0EEENS1_30default_config_static_selectorELNS0_4arch9wavefront6targetE0EEEvS11_
	.globl	_ZN7rocprim17ROCPRIM_400000_NS6detail17trampoline_kernelINS0_14default_configENS1_21merge_config_selectorINS0_5tupleIJssEEENS0_10empty_typeEEEZNS1_10merge_implIS3_NS0_12zip_iteratorINS5_IJN6thrust23THRUST_200600_302600_NS6detail15normal_iteratorINSC_10device_ptrIKsEEEESI_EEEEESK_NSA_INS5_IJNSC_16discard_iteratorINSC_11use_defaultEEESN_EEEEEPS7_SQ_SQ_NSC_11hip_rocprim7__merge17predicate_wrapperIssNSC_4lessIsEEEEEE10hipError_tPvRmT0_T1_T2_T3_T4_T5_mmT6_P12ihipStream_tbEUlT_E0_NS1_11comp_targetILNS1_3genE3ELNS1_11target_archE908ELNS1_3gpuE7ELNS1_3repE0EEENS1_30default_config_static_selectorELNS0_4arch9wavefront6targetE0EEEvS11_
	.p2align	8
	.type	_ZN7rocprim17ROCPRIM_400000_NS6detail17trampoline_kernelINS0_14default_configENS1_21merge_config_selectorINS0_5tupleIJssEEENS0_10empty_typeEEEZNS1_10merge_implIS3_NS0_12zip_iteratorINS5_IJN6thrust23THRUST_200600_302600_NS6detail15normal_iteratorINSC_10device_ptrIKsEEEESI_EEEEESK_NSA_INS5_IJNSC_16discard_iteratorINSC_11use_defaultEEESN_EEEEEPS7_SQ_SQ_NSC_11hip_rocprim7__merge17predicate_wrapperIssNSC_4lessIsEEEEEE10hipError_tPvRmT0_T1_T2_T3_T4_T5_mmT6_P12ihipStream_tbEUlT_E0_NS1_11comp_targetILNS1_3genE3ELNS1_11target_archE908ELNS1_3gpuE7ELNS1_3repE0EEENS1_30default_config_static_selectorELNS0_4arch9wavefront6targetE0EEEvS11_,@function
_ZN7rocprim17ROCPRIM_400000_NS6detail17trampoline_kernelINS0_14default_configENS1_21merge_config_selectorINS0_5tupleIJssEEENS0_10empty_typeEEEZNS1_10merge_implIS3_NS0_12zip_iteratorINS5_IJN6thrust23THRUST_200600_302600_NS6detail15normal_iteratorINSC_10device_ptrIKsEEEESI_EEEEESK_NSA_INS5_IJNSC_16discard_iteratorINSC_11use_defaultEEESN_EEEEEPS7_SQ_SQ_NSC_11hip_rocprim7__merge17predicate_wrapperIssNSC_4lessIsEEEEEE10hipError_tPvRmT0_T1_T2_T3_T4_T5_mmT6_P12ihipStream_tbEUlT_E0_NS1_11comp_targetILNS1_3genE3ELNS1_11target_archE908ELNS1_3gpuE7ELNS1_3repE0EEENS1_30default_config_static_selectorELNS0_4arch9wavefront6targetE0EEEvS11_: ; @_ZN7rocprim17ROCPRIM_400000_NS6detail17trampoline_kernelINS0_14default_configENS1_21merge_config_selectorINS0_5tupleIJssEEENS0_10empty_typeEEEZNS1_10merge_implIS3_NS0_12zip_iteratorINS5_IJN6thrust23THRUST_200600_302600_NS6detail15normal_iteratorINSC_10device_ptrIKsEEEESI_EEEEESK_NSA_INS5_IJNSC_16discard_iteratorINSC_11use_defaultEEESN_EEEEEPS7_SQ_SQ_NSC_11hip_rocprim7__merge17predicate_wrapperIssNSC_4lessIsEEEEEE10hipError_tPvRmT0_T1_T2_T3_T4_T5_mmT6_P12ihipStream_tbEUlT_E0_NS1_11comp_targetILNS1_3genE3ELNS1_11target_archE908ELNS1_3gpuE7ELNS1_3repE0EEENS1_30default_config_static_selectorELNS0_4arch9wavefront6targetE0EEEvS11_
; %bb.0:
	.section	.rodata,"a",@progbits
	.p2align	6, 0x0
	.amdhsa_kernel _ZN7rocprim17ROCPRIM_400000_NS6detail17trampoline_kernelINS0_14default_configENS1_21merge_config_selectorINS0_5tupleIJssEEENS0_10empty_typeEEEZNS1_10merge_implIS3_NS0_12zip_iteratorINS5_IJN6thrust23THRUST_200600_302600_NS6detail15normal_iteratorINSC_10device_ptrIKsEEEESI_EEEEESK_NSA_INS5_IJNSC_16discard_iteratorINSC_11use_defaultEEESN_EEEEEPS7_SQ_SQ_NSC_11hip_rocprim7__merge17predicate_wrapperIssNSC_4lessIsEEEEEE10hipError_tPvRmT0_T1_T2_T3_T4_T5_mmT6_P12ihipStream_tbEUlT_E0_NS1_11comp_targetILNS1_3genE3ELNS1_11target_archE908ELNS1_3gpuE7ELNS1_3repE0EEENS1_30default_config_static_selectorELNS0_4arch9wavefront6targetE0EEEvS11_
		.amdhsa_group_segment_fixed_size 0
		.amdhsa_private_segment_fixed_size 0
		.amdhsa_kernarg_size 128
		.amdhsa_user_sgpr_count 2
		.amdhsa_user_sgpr_dispatch_ptr 0
		.amdhsa_user_sgpr_queue_ptr 0
		.amdhsa_user_sgpr_kernarg_segment_ptr 1
		.amdhsa_user_sgpr_dispatch_id 0
		.amdhsa_user_sgpr_kernarg_preload_length 0
		.amdhsa_user_sgpr_kernarg_preload_offset 0
		.amdhsa_user_sgpr_private_segment_size 0
		.amdhsa_wavefront_size32 1
		.amdhsa_uses_dynamic_stack 0
		.amdhsa_enable_private_segment 0
		.amdhsa_system_sgpr_workgroup_id_x 1
		.amdhsa_system_sgpr_workgroup_id_y 0
		.amdhsa_system_sgpr_workgroup_id_z 0
		.amdhsa_system_sgpr_workgroup_info 0
		.amdhsa_system_vgpr_workitem_id 0
		.amdhsa_next_free_vgpr 1
		.amdhsa_next_free_sgpr 1
		.amdhsa_named_barrier_count 0
		.amdhsa_reserve_vcc 0
		.amdhsa_float_round_mode_32 0
		.amdhsa_float_round_mode_16_64 0
		.amdhsa_float_denorm_mode_32 3
		.amdhsa_float_denorm_mode_16_64 3
		.amdhsa_fp16_overflow 0
		.amdhsa_memory_ordered 1
		.amdhsa_forward_progress 1
		.amdhsa_inst_pref_size 0
		.amdhsa_round_robin_scheduling 0
		.amdhsa_exception_fp_ieee_invalid_op 0
		.amdhsa_exception_fp_denorm_src 0
		.amdhsa_exception_fp_ieee_div_zero 0
		.amdhsa_exception_fp_ieee_overflow 0
		.amdhsa_exception_fp_ieee_underflow 0
		.amdhsa_exception_fp_ieee_inexact 0
		.amdhsa_exception_int_div_zero 0
	.end_amdhsa_kernel
	.section	.text._ZN7rocprim17ROCPRIM_400000_NS6detail17trampoline_kernelINS0_14default_configENS1_21merge_config_selectorINS0_5tupleIJssEEENS0_10empty_typeEEEZNS1_10merge_implIS3_NS0_12zip_iteratorINS5_IJN6thrust23THRUST_200600_302600_NS6detail15normal_iteratorINSC_10device_ptrIKsEEEESI_EEEEESK_NSA_INS5_IJNSC_16discard_iteratorINSC_11use_defaultEEESN_EEEEEPS7_SQ_SQ_NSC_11hip_rocprim7__merge17predicate_wrapperIssNSC_4lessIsEEEEEE10hipError_tPvRmT0_T1_T2_T3_T4_T5_mmT6_P12ihipStream_tbEUlT_E0_NS1_11comp_targetILNS1_3genE3ELNS1_11target_archE908ELNS1_3gpuE7ELNS1_3repE0EEENS1_30default_config_static_selectorELNS0_4arch9wavefront6targetE0EEEvS11_,"axG",@progbits,_ZN7rocprim17ROCPRIM_400000_NS6detail17trampoline_kernelINS0_14default_configENS1_21merge_config_selectorINS0_5tupleIJssEEENS0_10empty_typeEEEZNS1_10merge_implIS3_NS0_12zip_iteratorINS5_IJN6thrust23THRUST_200600_302600_NS6detail15normal_iteratorINSC_10device_ptrIKsEEEESI_EEEEESK_NSA_INS5_IJNSC_16discard_iteratorINSC_11use_defaultEEESN_EEEEEPS7_SQ_SQ_NSC_11hip_rocprim7__merge17predicate_wrapperIssNSC_4lessIsEEEEEE10hipError_tPvRmT0_T1_T2_T3_T4_T5_mmT6_P12ihipStream_tbEUlT_E0_NS1_11comp_targetILNS1_3genE3ELNS1_11target_archE908ELNS1_3gpuE7ELNS1_3repE0EEENS1_30default_config_static_selectorELNS0_4arch9wavefront6targetE0EEEvS11_,comdat
.Lfunc_end617:
	.size	_ZN7rocprim17ROCPRIM_400000_NS6detail17trampoline_kernelINS0_14default_configENS1_21merge_config_selectorINS0_5tupleIJssEEENS0_10empty_typeEEEZNS1_10merge_implIS3_NS0_12zip_iteratorINS5_IJN6thrust23THRUST_200600_302600_NS6detail15normal_iteratorINSC_10device_ptrIKsEEEESI_EEEEESK_NSA_INS5_IJNSC_16discard_iteratorINSC_11use_defaultEEESN_EEEEEPS7_SQ_SQ_NSC_11hip_rocprim7__merge17predicate_wrapperIssNSC_4lessIsEEEEEE10hipError_tPvRmT0_T1_T2_T3_T4_T5_mmT6_P12ihipStream_tbEUlT_E0_NS1_11comp_targetILNS1_3genE3ELNS1_11target_archE908ELNS1_3gpuE7ELNS1_3repE0EEENS1_30default_config_static_selectorELNS0_4arch9wavefront6targetE0EEEvS11_, .Lfunc_end617-_ZN7rocprim17ROCPRIM_400000_NS6detail17trampoline_kernelINS0_14default_configENS1_21merge_config_selectorINS0_5tupleIJssEEENS0_10empty_typeEEEZNS1_10merge_implIS3_NS0_12zip_iteratorINS5_IJN6thrust23THRUST_200600_302600_NS6detail15normal_iteratorINSC_10device_ptrIKsEEEESI_EEEEESK_NSA_INS5_IJNSC_16discard_iteratorINSC_11use_defaultEEESN_EEEEEPS7_SQ_SQ_NSC_11hip_rocprim7__merge17predicate_wrapperIssNSC_4lessIsEEEEEE10hipError_tPvRmT0_T1_T2_T3_T4_T5_mmT6_P12ihipStream_tbEUlT_E0_NS1_11comp_targetILNS1_3genE3ELNS1_11target_archE908ELNS1_3gpuE7ELNS1_3repE0EEENS1_30default_config_static_selectorELNS0_4arch9wavefront6targetE0EEEvS11_
                                        ; -- End function
	.set _ZN7rocprim17ROCPRIM_400000_NS6detail17trampoline_kernelINS0_14default_configENS1_21merge_config_selectorINS0_5tupleIJssEEENS0_10empty_typeEEEZNS1_10merge_implIS3_NS0_12zip_iteratorINS5_IJN6thrust23THRUST_200600_302600_NS6detail15normal_iteratorINSC_10device_ptrIKsEEEESI_EEEEESK_NSA_INS5_IJNSC_16discard_iteratorINSC_11use_defaultEEESN_EEEEEPS7_SQ_SQ_NSC_11hip_rocprim7__merge17predicate_wrapperIssNSC_4lessIsEEEEEE10hipError_tPvRmT0_T1_T2_T3_T4_T5_mmT6_P12ihipStream_tbEUlT_E0_NS1_11comp_targetILNS1_3genE3ELNS1_11target_archE908ELNS1_3gpuE7ELNS1_3repE0EEENS1_30default_config_static_selectorELNS0_4arch9wavefront6targetE0EEEvS11_.num_vgpr, 0
	.set _ZN7rocprim17ROCPRIM_400000_NS6detail17trampoline_kernelINS0_14default_configENS1_21merge_config_selectorINS0_5tupleIJssEEENS0_10empty_typeEEEZNS1_10merge_implIS3_NS0_12zip_iteratorINS5_IJN6thrust23THRUST_200600_302600_NS6detail15normal_iteratorINSC_10device_ptrIKsEEEESI_EEEEESK_NSA_INS5_IJNSC_16discard_iteratorINSC_11use_defaultEEESN_EEEEEPS7_SQ_SQ_NSC_11hip_rocprim7__merge17predicate_wrapperIssNSC_4lessIsEEEEEE10hipError_tPvRmT0_T1_T2_T3_T4_T5_mmT6_P12ihipStream_tbEUlT_E0_NS1_11comp_targetILNS1_3genE3ELNS1_11target_archE908ELNS1_3gpuE7ELNS1_3repE0EEENS1_30default_config_static_selectorELNS0_4arch9wavefront6targetE0EEEvS11_.num_agpr, 0
	.set _ZN7rocprim17ROCPRIM_400000_NS6detail17trampoline_kernelINS0_14default_configENS1_21merge_config_selectorINS0_5tupleIJssEEENS0_10empty_typeEEEZNS1_10merge_implIS3_NS0_12zip_iteratorINS5_IJN6thrust23THRUST_200600_302600_NS6detail15normal_iteratorINSC_10device_ptrIKsEEEESI_EEEEESK_NSA_INS5_IJNSC_16discard_iteratorINSC_11use_defaultEEESN_EEEEEPS7_SQ_SQ_NSC_11hip_rocprim7__merge17predicate_wrapperIssNSC_4lessIsEEEEEE10hipError_tPvRmT0_T1_T2_T3_T4_T5_mmT6_P12ihipStream_tbEUlT_E0_NS1_11comp_targetILNS1_3genE3ELNS1_11target_archE908ELNS1_3gpuE7ELNS1_3repE0EEENS1_30default_config_static_selectorELNS0_4arch9wavefront6targetE0EEEvS11_.numbered_sgpr, 0
	.set _ZN7rocprim17ROCPRIM_400000_NS6detail17trampoline_kernelINS0_14default_configENS1_21merge_config_selectorINS0_5tupleIJssEEENS0_10empty_typeEEEZNS1_10merge_implIS3_NS0_12zip_iteratorINS5_IJN6thrust23THRUST_200600_302600_NS6detail15normal_iteratorINSC_10device_ptrIKsEEEESI_EEEEESK_NSA_INS5_IJNSC_16discard_iteratorINSC_11use_defaultEEESN_EEEEEPS7_SQ_SQ_NSC_11hip_rocprim7__merge17predicate_wrapperIssNSC_4lessIsEEEEEE10hipError_tPvRmT0_T1_T2_T3_T4_T5_mmT6_P12ihipStream_tbEUlT_E0_NS1_11comp_targetILNS1_3genE3ELNS1_11target_archE908ELNS1_3gpuE7ELNS1_3repE0EEENS1_30default_config_static_selectorELNS0_4arch9wavefront6targetE0EEEvS11_.num_named_barrier, 0
	.set _ZN7rocprim17ROCPRIM_400000_NS6detail17trampoline_kernelINS0_14default_configENS1_21merge_config_selectorINS0_5tupleIJssEEENS0_10empty_typeEEEZNS1_10merge_implIS3_NS0_12zip_iteratorINS5_IJN6thrust23THRUST_200600_302600_NS6detail15normal_iteratorINSC_10device_ptrIKsEEEESI_EEEEESK_NSA_INS5_IJNSC_16discard_iteratorINSC_11use_defaultEEESN_EEEEEPS7_SQ_SQ_NSC_11hip_rocprim7__merge17predicate_wrapperIssNSC_4lessIsEEEEEE10hipError_tPvRmT0_T1_T2_T3_T4_T5_mmT6_P12ihipStream_tbEUlT_E0_NS1_11comp_targetILNS1_3genE3ELNS1_11target_archE908ELNS1_3gpuE7ELNS1_3repE0EEENS1_30default_config_static_selectorELNS0_4arch9wavefront6targetE0EEEvS11_.private_seg_size, 0
	.set _ZN7rocprim17ROCPRIM_400000_NS6detail17trampoline_kernelINS0_14default_configENS1_21merge_config_selectorINS0_5tupleIJssEEENS0_10empty_typeEEEZNS1_10merge_implIS3_NS0_12zip_iteratorINS5_IJN6thrust23THRUST_200600_302600_NS6detail15normal_iteratorINSC_10device_ptrIKsEEEESI_EEEEESK_NSA_INS5_IJNSC_16discard_iteratorINSC_11use_defaultEEESN_EEEEEPS7_SQ_SQ_NSC_11hip_rocprim7__merge17predicate_wrapperIssNSC_4lessIsEEEEEE10hipError_tPvRmT0_T1_T2_T3_T4_T5_mmT6_P12ihipStream_tbEUlT_E0_NS1_11comp_targetILNS1_3genE3ELNS1_11target_archE908ELNS1_3gpuE7ELNS1_3repE0EEENS1_30default_config_static_selectorELNS0_4arch9wavefront6targetE0EEEvS11_.uses_vcc, 0
	.set _ZN7rocprim17ROCPRIM_400000_NS6detail17trampoline_kernelINS0_14default_configENS1_21merge_config_selectorINS0_5tupleIJssEEENS0_10empty_typeEEEZNS1_10merge_implIS3_NS0_12zip_iteratorINS5_IJN6thrust23THRUST_200600_302600_NS6detail15normal_iteratorINSC_10device_ptrIKsEEEESI_EEEEESK_NSA_INS5_IJNSC_16discard_iteratorINSC_11use_defaultEEESN_EEEEEPS7_SQ_SQ_NSC_11hip_rocprim7__merge17predicate_wrapperIssNSC_4lessIsEEEEEE10hipError_tPvRmT0_T1_T2_T3_T4_T5_mmT6_P12ihipStream_tbEUlT_E0_NS1_11comp_targetILNS1_3genE3ELNS1_11target_archE908ELNS1_3gpuE7ELNS1_3repE0EEENS1_30default_config_static_selectorELNS0_4arch9wavefront6targetE0EEEvS11_.uses_flat_scratch, 0
	.set _ZN7rocprim17ROCPRIM_400000_NS6detail17trampoline_kernelINS0_14default_configENS1_21merge_config_selectorINS0_5tupleIJssEEENS0_10empty_typeEEEZNS1_10merge_implIS3_NS0_12zip_iteratorINS5_IJN6thrust23THRUST_200600_302600_NS6detail15normal_iteratorINSC_10device_ptrIKsEEEESI_EEEEESK_NSA_INS5_IJNSC_16discard_iteratorINSC_11use_defaultEEESN_EEEEEPS7_SQ_SQ_NSC_11hip_rocprim7__merge17predicate_wrapperIssNSC_4lessIsEEEEEE10hipError_tPvRmT0_T1_T2_T3_T4_T5_mmT6_P12ihipStream_tbEUlT_E0_NS1_11comp_targetILNS1_3genE3ELNS1_11target_archE908ELNS1_3gpuE7ELNS1_3repE0EEENS1_30default_config_static_selectorELNS0_4arch9wavefront6targetE0EEEvS11_.has_dyn_sized_stack, 0
	.set _ZN7rocprim17ROCPRIM_400000_NS6detail17trampoline_kernelINS0_14default_configENS1_21merge_config_selectorINS0_5tupleIJssEEENS0_10empty_typeEEEZNS1_10merge_implIS3_NS0_12zip_iteratorINS5_IJN6thrust23THRUST_200600_302600_NS6detail15normal_iteratorINSC_10device_ptrIKsEEEESI_EEEEESK_NSA_INS5_IJNSC_16discard_iteratorINSC_11use_defaultEEESN_EEEEEPS7_SQ_SQ_NSC_11hip_rocprim7__merge17predicate_wrapperIssNSC_4lessIsEEEEEE10hipError_tPvRmT0_T1_T2_T3_T4_T5_mmT6_P12ihipStream_tbEUlT_E0_NS1_11comp_targetILNS1_3genE3ELNS1_11target_archE908ELNS1_3gpuE7ELNS1_3repE0EEENS1_30default_config_static_selectorELNS0_4arch9wavefront6targetE0EEEvS11_.has_recursion, 0
	.set _ZN7rocprim17ROCPRIM_400000_NS6detail17trampoline_kernelINS0_14default_configENS1_21merge_config_selectorINS0_5tupleIJssEEENS0_10empty_typeEEEZNS1_10merge_implIS3_NS0_12zip_iteratorINS5_IJN6thrust23THRUST_200600_302600_NS6detail15normal_iteratorINSC_10device_ptrIKsEEEESI_EEEEESK_NSA_INS5_IJNSC_16discard_iteratorINSC_11use_defaultEEESN_EEEEEPS7_SQ_SQ_NSC_11hip_rocprim7__merge17predicate_wrapperIssNSC_4lessIsEEEEEE10hipError_tPvRmT0_T1_T2_T3_T4_T5_mmT6_P12ihipStream_tbEUlT_E0_NS1_11comp_targetILNS1_3genE3ELNS1_11target_archE908ELNS1_3gpuE7ELNS1_3repE0EEENS1_30default_config_static_selectorELNS0_4arch9wavefront6targetE0EEEvS11_.has_indirect_call, 0
	.section	.AMDGPU.csdata,"",@progbits
; Kernel info:
; codeLenInByte = 0
; TotalNumSgprs: 0
; NumVgprs: 0
; ScratchSize: 0
; MemoryBound: 0
; FloatMode: 240
; IeeeMode: 1
; LDSByteSize: 0 bytes/workgroup (compile time only)
; SGPRBlocks: 0
; VGPRBlocks: 0
; NumSGPRsForWavesPerEU: 1
; NumVGPRsForWavesPerEU: 1
; NamedBarCnt: 0
; Occupancy: 16
; WaveLimiterHint : 0
; COMPUTE_PGM_RSRC2:SCRATCH_EN: 0
; COMPUTE_PGM_RSRC2:USER_SGPR: 2
; COMPUTE_PGM_RSRC2:TRAP_HANDLER: 0
; COMPUTE_PGM_RSRC2:TGID_X_EN: 1
; COMPUTE_PGM_RSRC2:TGID_Y_EN: 0
; COMPUTE_PGM_RSRC2:TGID_Z_EN: 0
; COMPUTE_PGM_RSRC2:TIDIG_COMP_CNT: 0
	.section	.text._ZN7rocprim17ROCPRIM_400000_NS6detail17trampoline_kernelINS0_14default_configENS1_21merge_config_selectorINS0_5tupleIJssEEENS0_10empty_typeEEEZNS1_10merge_implIS3_NS0_12zip_iteratorINS5_IJN6thrust23THRUST_200600_302600_NS6detail15normal_iteratorINSC_10device_ptrIKsEEEESI_EEEEESK_NSA_INS5_IJNSC_16discard_iteratorINSC_11use_defaultEEESN_EEEEEPS7_SQ_SQ_NSC_11hip_rocprim7__merge17predicate_wrapperIssNSC_4lessIsEEEEEE10hipError_tPvRmT0_T1_T2_T3_T4_T5_mmT6_P12ihipStream_tbEUlT_E0_NS1_11comp_targetILNS1_3genE2ELNS1_11target_archE906ELNS1_3gpuE6ELNS1_3repE0EEENS1_30default_config_static_selectorELNS0_4arch9wavefront6targetE0EEEvS11_,"axG",@progbits,_ZN7rocprim17ROCPRIM_400000_NS6detail17trampoline_kernelINS0_14default_configENS1_21merge_config_selectorINS0_5tupleIJssEEENS0_10empty_typeEEEZNS1_10merge_implIS3_NS0_12zip_iteratorINS5_IJN6thrust23THRUST_200600_302600_NS6detail15normal_iteratorINSC_10device_ptrIKsEEEESI_EEEEESK_NSA_INS5_IJNSC_16discard_iteratorINSC_11use_defaultEEESN_EEEEEPS7_SQ_SQ_NSC_11hip_rocprim7__merge17predicate_wrapperIssNSC_4lessIsEEEEEE10hipError_tPvRmT0_T1_T2_T3_T4_T5_mmT6_P12ihipStream_tbEUlT_E0_NS1_11comp_targetILNS1_3genE2ELNS1_11target_archE906ELNS1_3gpuE6ELNS1_3repE0EEENS1_30default_config_static_selectorELNS0_4arch9wavefront6targetE0EEEvS11_,comdat
	.protected	_ZN7rocprim17ROCPRIM_400000_NS6detail17trampoline_kernelINS0_14default_configENS1_21merge_config_selectorINS0_5tupleIJssEEENS0_10empty_typeEEEZNS1_10merge_implIS3_NS0_12zip_iteratorINS5_IJN6thrust23THRUST_200600_302600_NS6detail15normal_iteratorINSC_10device_ptrIKsEEEESI_EEEEESK_NSA_INS5_IJNSC_16discard_iteratorINSC_11use_defaultEEESN_EEEEEPS7_SQ_SQ_NSC_11hip_rocprim7__merge17predicate_wrapperIssNSC_4lessIsEEEEEE10hipError_tPvRmT0_T1_T2_T3_T4_T5_mmT6_P12ihipStream_tbEUlT_E0_NS1_11comp_targetILNS1_3genE2ELNS1_11target_archE906ELNS1_3gpuE6ELNS1_3repE0EEENS1_30default_config_static_selectorELNS0_4arch9wavefront6targetE0EEEvS11_ ; -- Begin function _ZN7rocprim17ROCPRIM_400000_NS6detail17trampoline_kernelINS0_14default_configENS1_21merge_config_selectorINS0_5tupleIJssEEENS0_10empty_typeEEEZNS1_10merge_implIS3_NS0_12zip_iteratorINS5_IJN6thrust23THRUST_200600_302600_NS6detail15normal_iteratorINSC_10device_ptrIKsEEEESI_EEEEESK_NSA_INS5_IJNSC_16discard_iteratorINSC_11use_defaultEEESN_EEEEEPS7_SQ_SQ_NSC_11hip_rocprim7__merge17predicate_wrapperIssNSC_4lessIsEEEEEE10hipError_tPvRmT0_T1_T2_T3_T4_T5_mmT6_P12ihipStream_tbEUlT_E0_NS1_11comp_targetILNS1_3genE2ELNS1_11target_archE906ELNS1_3gpuE6ELNS1_3repE0EEENS1_30default_config_static_selectorELNS0_4arch9wavefront6targetE0EEEvS11_
	.globl	_ZN7rocprim17ROCPRIM_400000_NS6detail17trampoline_kernelINS0_14default_configENS1_21merge_config_selectorINS0_5tupleIJssEEENS0_10empty_typeEEEZNS1_10merge_implIS3_NS0_12zip_iteratorINS5_IJN6thrust23THRUST_200600_302600_NS6detail15normal_iteratorINSC_10device_ptrIKsEEEESI_EEEEESK_NSA_INS5_IJNSC_16discard_iteratorINSC_11use_defaultEEESN_EEEEEPS7_SQ_SQ_NSC_11hip_rocprim7__merge17predicate_wrapperIssNSC_4lessIsEEEEEE10hipError_tPvRmT0_T1_T2_T3_T4_T5_mmT6_P12ihipStream_tbEUlT_E0_NS1_11comp_targetILNS1_3genE2ELNS1_11target_archE906ELNS1_3gpuE6ELNS1_3repE0EEENS1_30default_config_static_selectorELNS0_4arch9wavefront6targetE0EEEvS11_
	.p2align	8
	.type	_ZN7rocprim17ROCPRIM_400000_NS6detail17trampoline_kernelINS0_14default_configENS1_21merge_config_selectorINS0_5tupleIJssEEENS0_10empty_typeEEEZNS1_10merge_implIS3_NS0_12zip_iteratorINS5_IJN6thrust23THRUST_200600_302600_NS6detail15normal_iteratorINSC_10device_ptrIKsEEEESI_EEEEESK_NSA_INS5_IJNSC_16discard_iteratorINSC_11use_defaultEEESN_EEEEEPS7_SQ_SQ_NSC_11hip_rocprim7__merge17predicate_wrapperIssNSC_4lessIsEEEEEE10hipError_tPvRmT0_T1_T2_T3_T4_T5_mmT6_P12ihipStream_tbEUlT_E0_NS1_11comp_targetILNS1_3genE2ELNS1_11target_archE906ELNS1_3gpuE6ELNS1_3repE0EEENS1_30default_config_static_selectorELNS0_4arch9wavefront6targetE0EEEvS11_,@function
_ZN7rocprim17ROCPRIM_400000_NS6detail17trampoline_kernelINS0_14default_configENS1_21merge_config_selectorINS0_5tupleIJssEEENS0_10empty_typeEEEZNS1_10merge_implIS3_NS0_12zip_iteratorINS5_IJN6thrust23THRUST_200600_302600_NS6detail15normal_iteratorINSC_10device_ptrIKsEEEESI_EEEEESK_NSA_INS5_IJNSC_16discard_iteratorINSC_11use_defaultEEESN_EEEEEPS7_SQ_SQ_NSC_11hip_rocprim7__merge17predicate_wrapperIssNSC_4lessIsEEEEEE10hipError_tPvRmT0_T1_T2_T3_T4_T5_mmT6_P12ihipStream_tbEUlT_E0_NS1_11comp_targetILNS1_3genE2ELNS1_11target_archE906ELNS1_3gpuE6ELNS1_3repE0EEENS1_30default_config_static_selectorELNS0_4arch9wavefront6targetE0EEEvS11_: ; @_ZN7rocprim17ROCPRIM_400000_NS6detail17trampoline_kernelINS0_14default_configENS1_21merge_config_selectorINS0_5tupleIJssEEENS0_10empty_typeEEEZNS1_10merge_implIS3_NS0_12zip_iteratorINS5_IJN6thrust23THRUST_200600_302600_NS6detail15normal_iteratorINSC_10device_ptrIKsEEEESI_EEEEESK_NSA_INS5_IJNSC_16discard_iteratorINSC_11use_defaultEEESN_EEEEEPS7_SQ_SQ_NSC_11hip_rocprim7__merge17predicate_wrapperIssNSC_4lessIsEEEEEE10hipError_tPvRmT0_T1_T2_T3_T4_T5_mmT6_P12ihipStream_tbEUlT_E0_NS1_11comp_targetILNS1_3genE2ELNS1_11target_archE906ELNS1_3gpuE6ELNS1_3repE0EEENS1_30default_config_static_selectorELNS0_4arch9wavefront6targetE0EEEvS11_
; %bb.0:
	.section	.rodata,"a",@progbits
	.p2align	6, 0x0
	.amdhsa_kernel _ZN7rocprim17ROCPRIM_400000_NS6detail17trampoline_kernelINS0_14default_configENS1_21merge_config_selectorINS0_5tupleIJssEEENS0_10empty_typeEEEZNS1_10merge_implIS3_NS0_12zip_iteratorINS5_IJN6thrust23THRUST_200600_302600_NS6detail15normal_iteratorINSC_10device_ptrIKsEEEESI_EEEEESK_NSA_INS5_IJNSC_16discard_iteratorINSC_11use_defaultEEESN_EEEEEPS7_SQ_SQ_NSC_11hip_rocprim7__merge17predicate_wrapperIssNSC_4lessIsEEEEEE10hipError_tPvRmT0_T1_T2_T3_T4_T5_mmT6_P12ihipStream_tbEUlT_E0_NS1_11comp_targetILNS1_3genE2ELNS1_11target_archE906ELNS1_3gpuE6ELNS1_3repE0EEENS1_30default_config_static_selectorELNS0_4arch9wavefront6targetE0EEEvS11_
		.amdhsa_group_segment_fixed_size 0
		.amdhsa_private_segment_fixed_size 0
		.amdhsa_kernarg_size 128
		.amdhsa_user_sgpr_count 2
		.amdhsa_user_sgpr_dispatch_ptr 0
		.amdhsa_user_sgpr_queue_ptr 0
		.amdhsa_user_sgpr_kernarg_segment_ptr 1
		.amdhsa_user_sgpr_dispatch_id 0
		.amdhsa_user_sgpr_kernarg_preload_length 0
		.amdhsa_user_sgpr_kernarg_preload_offset 0
		.amdhsa_user_sgpr_private_segment_size 0
		.amdhsa_wavefront_size32 1
		.amdhsa_uses_dynamic_stack 0
		.amdhsa_enable_private_segment 0
		.amdhsa_system_sgpr_workgroup_id_x 1
		.amdhsa_system_sgpr_workgroup_id_y 0
		.amdhsa_system_sgpr_workgroup_id_z 0
		.amdhsa_system_sgpr_workgroup_info 0
		.amdhsa_system_vgpr_workitem_id 0
		.amdhsa_next_free_vgpr 1
		.amdhsa_next_free_sgpr 1
		.amdhsa_named_barrier_count 0
		.amdhsa_reserve_vcc 0
		.amdhsa_float_round_mode_32 0
		.amdhsa_float_round_mode_16_64 0
		.amdhsa_float_denorm_mode_32 3
		.amdhsa_float_denorm_mode_16_64 3
		.amdhsa_fp16_overflow 0
		.amdhsa_memory_ordered 1
		.amdhsa_forward_progress 1
		.amdhsa_inst_pref_size 0
		.amdhsa_round_robin_scheduling 0
		.amdhsa_exception_fp_ieee_invalid_op 0
		.amdhsa_exception_fp_denorm_src 0
		.amdhsa_exception_fp_ieee_div_zero 0
		.amdhsa_exception_fp_ieee_overflow 0
		.amdhsa_exception_fp_ieee_underflow 0
		.amdhsa_exception_fp_ieee_inexact 0
		.amdhsa_exception_int_div_zero 0
	.end_amdhsa_kernel
	.section	.text._ZN7rocprim17ROCPRIM_400000_NS6detail17trampoline_kernelINS0_14default_configENS1_21merge_config_selectorINS0_5tupleIJssEEENS0_10empty_typeEEEZNS1_10merge_implIS3_NS0_12zip_iteratorINS5_IJN6thrust23THRUST_200600_302600_NS6detail15normal_iteratorINSC_10device_ptrIKsEEEESI_EEEEESK_NSA_INS5_IJNSC_16discard_iteratorINSC_11use_defaultEEESN_EEEEEPS7_SQ_SQ_NSC_11hip_rocprim7__merge17predicate_wrapperIssNSC_4lessIsEEEEEE10hipError_tPvRmT0_T1_T2_T3_T4_T5_mmT6_P12ihipStream_tbEUlT_E0_NS1_11comp_targetILNS1_3genE2ELNS1_11target_archE906ELNS1_3gpuE6ELNS1_3repE0EEENS1_30default_config_static_selectorELNS0_4arch9wavefront6targetE0EEEvS11_,"axG",@progbits,_ZN7rocprim17ROCPRIM_400000_NS6detail17trampoline_kernelINS0_14default_configENS1_21merge_config_selectorINS0_5tupleIJssEEENS0_10empty_typeEEEZNS1_10merge_implIS3_NS0_12zip_iteratorINS5_IJN6thrust23THRUST_200600_302600_NS6detail15normal_iteratorINSC_10device_ptrIKsEEEESI_EEEEESK_NSA_INS5_IJNSC_16discard_iteratorINSC_11use_defaultEEESN_EEEEEPS7_SQ_SQ_NSC_11hip_rocprim7__merge17predicate_wrapperIssNSC_4lessIsEEEEEE10hipError_tPvRmT0_T1_T2_T3_T4_T5_mmT6_P12ihipStream_tbEUlT_E0_NS1_11comp_targetILNS1_3genE2ELNS1_11target_archE906ELNS1_3gpuE6ELNS1_3repE0EEENS1_30default_config_static_selectorELNS0_4arch9wavefront6targetE0EEEvS11_,comdat
.Lfunc_end618:
	.size	_ZN7rocprim17ROCPRIM_400000_NS6detail17trampoline_kernelINS0_14default_configENS1_21merge_config_selectorINS0_5tupleIJssEEENS0_10empty_typeEEEZNS1_10merge_implIS3_NS0_12zip_iteratorINS5_IJN6thrust23THRUST_200600_302600_NS6detail15normal_iteratorINSC_10device_ptrIKsEEEESI_EEEEESK_NSA_INS5_IJNSC_16discard_iteratorINSC_11use_defaultEEESN_EEEEEPS7_SQ_SQ_NSC_11hip_rocprim7__merge17predicate_wrapperIssNSC_4lessIsEEEEEE10hipError_tPvRmT0_T1_T2_T3_T4_T5_mmT6_P12ihipStream_tbEUlT_E0_NS1_11comp_targetILNS1_3genE2ELNS1_11target_archE906ELNS1_3gpuE6ELNS1_3repE0EEENS1_30default_config_static_selectorELNS0_4arch9wavefront6targetE0EEEvS11_, .Lfunc_end618-_ZN7rocprim17ROCPRIM_400000_NS6detail17trampoline_kernelINS0_14default_configENS1_21merge_config_selectorINS0_5tupleIJssEEENS0_10empty_typeEEEZNS1_10merge_implIS3_NS0_12zip_iteratorINS5_IJN6thrust23THRUST_200600_302600_NS6detail15normal_iteratorINSC_10device_ptrIKsEEEESI_EEEEESK_NSA_INS5_IJNSC_16discard_iteratorINSC_11use_defaultEEESN_EEEEEPS7_SQ_SQ_NSC_11hip_rocprim7__merge17predicate_wrapperIssNSC_4lessIsEEEEEE10hipError_tPvRmT0_T1_T2_T3_T4_T5_mmT6_P12ihipStream_tbEUlT_E0_NS1_11comp_targetILNS1_3genE2ELNS1_11target_archE906ELNS1_3gpuE6ELNS1_3repE0EEENS1_30default_config_static_selectorELNS0_4arch9wavefront6targetE0EEEvS11_
                                        ; -- End function
	.set _ZN7rocprim17ROCPRIM_400000_NS6detail17trampoline_kernelINS0_14default_configENS1_21merge_config_selectorINS0_5tupleIJssEEENS0_10empty_typeEEEZNS1_10merge_implIS3_NS0_12zip_iteratorINS5_IJN6thrust23THRUST_200600_302600_NS6detail15normal_iteratorINSC_10device_ptrIKsEEEESI_EEEEESK_NSA_INS5_IJNSC_16discard_iteratorINSC_11use_defaultEEESN_EEEEEPS7_SQ_SQ_NSC_11hip_rocprim7__merge17predicate_wrapperIssNSC_4lessIsEEEEEE10hipError_tPvRmT0_T1_T2_T3_T4_T5_mmT6_P12ihipStream_tbEUlT_E0_NS1_11comp_targetILNS1_3genE2ELNS1_11target_archE906ELNS1_3gpuE6ELNS1_3repE0EEENS1_30default_config_static_selectorELNS0_4arch9wavefront6targetE0EEEvS11_.num_vgpr, 0
	.set _ZN7rocprim17ROCPRIM_400000_NS6detail17trampoline_kernelINS0_14default_configENS1_21merge_config_selectorINS0_5tupleIJssEEENS0_10empty_typeEEEZNS1_10merge_implIS3_NS0_12zip_iteratorINS5_IJN6thrust23THRUST_200600_302600_NS6detail15normal_iteratorINSC_10device_ptrIKsEEEESI_EEEEESK_NSA_INS5_IJNSC_16discard_iteratorINSC_11use_defaultEEESN_EEEEEPS7_SQ_SQ_NSC_11hip_rocprim7__merge17predicate_wrapperIssNSC_4lessIsEEEEEE10hipError_tPvRmT0_T1_T2_T3_T4_T5_mmT6_P12ihipStream_tbEUlT_E0_NS1_11comp_targetILNS1_3genE2ELNS1_11target_archE906ELNS1_3gpuE6ELNS1_3repE0EEENS1_30default_config_static_selectorELNS0_4arch9wavefront6targetE0EEEvS11_.num_agpr, 0
	.set _ZN7rocprim17ROCPRIM_400000_NS6detail17trampoline_kernelINS0_14default_configENS1_21merge_config_selectorINS0_5tupleIJssEEENS0_10empty_typeEEEZNS1_10merge_implIS3_NS0_12zip_iteratorINS5_IJN6thrust23THRUST_200600_302600_NS6detail15normal_iteratorINSC_10device_ptrIKsEEEESI_EEEEESK_NSA_INS5_IJNSC_16discard_iteratorINSC_11use_defaultEEESN_EEEEEPS7_SQ_SQ_NSC_11hip_rocprim7__merge17predicate_wrapperIssNSC_4lessIsEEEEEE10hipError_tPvRmT0_T1_T2_T3_T4_T5_mmT6_P12ihipStream_tbEUlT_E0_NS1_11comp_targetILNS1_3genE2ELNS1_11target_archE906ELNS1_3gpuE6ELNS1_3repE0EEENS1_30default_config_static_selectorELNS0_4arch9wavefront6targetE0EEEvS11_.numbered_sgpr, 0
	.set _ZN7rocprim17ROCPRIM_400000_NS6detail17trampoline_kernelINS0_14default_configENS1_21merge_config_selectorINS0_5tupleIJssEEENS0_10empty_typeEEEZNS1_10merge_implIS3_NS0_12zip_iteratorINS5_IJN6thrust23THRUST_200600_302600_NS6detail15normal_iteratorINSC_10device_ptrIKsEEEESI_EEEEESK_NSA_INS5_IJNSC_16discard_iteratorINSC_11use_defaultEEESN_EEEEEPS7_SQ_SQ_NSC_11hip_rocprim7__merge17predicate_wrapperIssNSC_4lessIsEEEEEE10hipError_tPvRmT0_T1_T2_T3_T4_T5_mmT6_P12ihipStream_tbEUlT_E0_NS1_11comp_targetILNS1_3genE2ELNS1_11target_archE906ELNS1_3gpuE6ELNS1_3repE0EEENS1_30default_config_static_selectorELNS0_4arch9wavefront6targetE0EEEvS11_.num_named_barrier, 0
	.set _ZN7rocprim17ROCPRIM_400000_NS6detail17trampoline_kernelINS0_14default_configENS1_21merge_config_selectorINS0_5tupleIJssEEENS0_10empty_typeEEEZNS1_10merge_implIS3_NS0_12zip_iteratorINS5_IJN6thrust23THRUST_200600_302600_NS6detail15normal_iteratorINSC_10device_ptrIKsEEEESI_EEEEESK_NSA_INS5_IJNSC_16discard_iteratorINSC_11use_defaultEEESN_EEEEEPS7_SQ_SQ_NSC_11hip_rocprim7__merge17predicate_wrapperIssNSC_4lessIsEEEEEE10hipError_tPvRmT0_T1_T2_T3_T4_T5_mmT6_P12ihipStream_tbEUlT_E0_NS1_11comp_targetILNS1_3genE2ELNS1_11target_archE906ELNS1_3gpuE6ELNS1_3repE0EEENS1_30default_config_static_selectorELNS0_4arch9wavefront6targetE0EEEvS11_.private_seg_size, 0
	.set _ZN7rocprim17ROCPRIM_400000_NS6detail17trampoline_kernelINS0_14default_configENS1_21merge_config_selectorINS0_5tupleIJssEEENS0_10empty_typeEEEZNS1_10merge_implIS3_NS0_12zip_iteratorINS5_IJN6thrust23THRUST_200600_302600_NS6detail15normal_iteratorINSC_10device_ptrIKsEEEESI_EEEEESK_NSA_INS5_IJNSC_16discard_iteratorINSC_11use_defaultEEESN_EEEEEPS7_SQ_SQ_NSC_11hip_rocprim7__merge17predicate_wrapperIssNSC_4lessIsEEEEEE10hipError_tPvRmT0_T1_T2_T3_T4_T5_mmT6_P12ihipStream_tbEUlT_E0_NS1_11comp_targetILNS1_3genE2ELNS1_11target_archE906ELNS1_3gpuE6ELNS1_3repE0EEENS1_30default_config_static_selectorELNS0_4arch9wavefront6targetE0EEEvS11_.uses_vcc, 0
	.set _ZN7rocprim17ROCPRIM_400000_NS6detail17trampoline_kernelINS0_14default_configENS1_21merge_config_selectorINS0_5tupleIJssEEENS0_10empty_typeEEEZNS1_10merge_implIS3_NS0_12zip_iteratorINS5_IJN6thrust23THRUST_200600_302600_NS6detail15normal_iteratorINSC_10device_ptrIKsEEEESI_EEEEESK_NSA_INS5_IJNSC_16discard_iteratorINSC_11use_defaultEEESN_EEEEEPS7_SQ_SQ_NSC_11hip_rocprim7__merge17predicate_wrapperIssNSC_4lessIsEEEEEE10hipError_tPvRmT0_T1_T2_T3_T4_T5_mmT6_P12ihipStream_tbEUlT_E0_NS1_11comp_targetILNS1_3genE2ELNS1_11target_archE906ELNS1_3gpuE6ELNS1_3repE0EEENS1_30default_config_static_selectorELNS0_4arch9wavefront6targetE0EEEvS11_.uses_flat_scratch, 0
	.set _ZN7rocprim17ROCPRIM_400000_NS6detail17trampoline_kernelINS0_14default_configENS1_21merge_config_selectorINS0_5tupleIJssEEENS0_10empty_typeEEEZNS1_10merge_implIS3_NS0_12zip_iteratorINS5_IJN6thrust23THRUST_200600_302600_NS6detail15normal_iteratorINSC_10device_ptrIKsEEEESI_EEEEESK_NSA_INS5_IJNSC_16discard_iteratorINSC_11use_defaultEEESN_EEEEEPS7_SQ_SQ_NSC_11hip_rocprim7__merge17predicate_wrapperIssNSC_4lessIsEEEEEE10hipError_tPvRmT0_T1_T2_T3_T4_T5_mmT6_P12ihipStream_tbEUlT_E0_NS1_11comp_targetILNS1_3genE2ELNS1_11target_archE906ELNS1_3gpuE6ELNS1_3repE0EEENS1_30default_config_static_selectorELNS0_4arch9wavefront6targetE0EEEvS11_.has_dyn_sized_stack, 0
	.set _ZN7rocprim17ROCPRIM_400000_NS6detail17trampoline_kernelINS0_14default_configENS1_21merge_config_selectorINS0_5tupleIJssEEENS0_10empty_typeEEEZNS1_10merge_implIS3_NS0_12zip_iteratorINS5_IJN6thrust23THRUST_200600_302600_NS6detail15normal_iteratorINSC_10device_ptrIKsEEEESI_EEEEESK_NSA_INS5_IJNSC_16discard_iteratorINSC_11use_defaultEEESN_EEEEEPS7_SQ_SQ_NSC_11hip_rocprim7__merge17predicate_wrapperIssNSC_4lessIsEEEEEE10hipError_tPvRmT0_T1_T2_T3_T4_T5_mmT6_P12ihipStream_tbEUlT_E0_NS1_11comp_targetILNS1_3genE2ELNS1_11target_archE906ELNS1_3gpuE6ELNS1_3repE0EEENS1_30default_config_static_selectorELNS0_4arch9wavefront6targetE0EEEvS11_.has_recursion, 0
	.set _ZN7rocprim17ROCPRIM_400000_NS6detail17trampoline_kernelINS0_14default_configENS1_21merge_config_selectorINS0_5tupleIJssEEENS0_10empty_typeEEEZNS1_10merge_implIS3_NS0_12zip_iteratorINS5_IJN6thrust23THRUST_200600_302600_NS6detail15normal_iteratorINSC_10device_ptrIKsEEEESI_EEEEESK_NSA_INS5_IJNSC_16discard_iteratorINSC_11use_defaultEEESN_EEEEEPS7_SQ_SQ_NSC_11hip_rocprim7__merge17predicate_wrapperIssNSC_4lessIsEEEEEE10hipError_tPvRmT0_T1_T2_T3_T4_T5_mmT6_P12ihipStream_tbEUlT_E0_NS1_11comp_targetILNS1_3genE2ELNS1_11target_archE906ELNS1_3gpuE6ELNS1_3repE0EEENS1_30default_config_static_selectorELNS0_4arch9wavefront6targetE0EEEvS11_.has_indirect_call, 0
	.section	.AMDGPU.csdata,"",@progbits
; Kernel info:
; codeLenInByte = 0
; TotalNumSgprs: 0
; NumVgprs: 0
; ScratchSize: 0
; MemoryBound: 0
; FloatMode: 240
; IeeeMode: 1
; LDSByteSize: 0 bytes/workgroup (compile time only)
; SGPRBlocks: 0
; VGPRBlocks: 0
; NumSGPRsForWavesPerEU: 1
; NumVGPRsForWavesPerEU: 1
; NamedBarCnt: 0
; Occupancy: 16
; WaveLimiterHint : 0
; COMPUTE_PGM_RSRC2:SCRATCH_EN: 0
; COMPUTE_PGM_RSRC2:USER_SGPR: 2
; COMPUTE_PGM_RSRC2:TRAP_HANDLER: 0
; COMPUTE_PGM_RSRC2:TGID_X_EN: 1
; COMPUTE_PGM_RSRC2:TGID_Y_EN: 0
; COMPUTE_PGM_RSRC2:TGID_Z_EN: 0
; COMPUTE_PGM_RSRC2:TIDIG_COMP_CNT: 0
	.section	.text._ZN7rocprim17ROCPRIM_400000_NS6detail17trampoline_kernelINS0_14default_configENS1_21merge_config_selectorINS0_5tupleIJssEEENS0_10empty_typeEEEZNS1_10merge_implIS3_NS0_12zip_iteratorINS5_IJN6thrust23THRUST_200600_302600_NS6detail15normal_iteratorINSC_10device_ptrIKsEEEESI_EEEEESK_NSA_INS5_IJNSC_16discard_iteratorINSC_11use_defaultEEESN_EEEEEPS7_SQ_SQ_NSC_11hip_rocprim7__merge17predicate_wrapperIssNSC_4lessIsEEEEEE10hipError_tPvRmT0_T1_T2_T3_T4_T5_mmT6_P12ihipStream_tbEUlT_E0_NS1_11comp_targetILNS1_3genE10ELNS1_11target_archE1201ELNS1_3gpuE5ELNS1_3repE0EEENS1_30default_config_static_selectorELNS0_4arch9wavefront6targetE0EEEvS11_,"axG",@progbits,_ZN7rocprim17ROCPRIM_400000_NS6detail17trampoline_kernelINS0_14default_configENS1_21merge_config_selectorINS0_5tupleIJssEEENS0_10empty_typeEEEZNS1_10merge_implIS3_NS0_12zip_iteratorINS5_IJN6thrust23THRUST_200600_302600_NS6detail15normal_iteratorINSC_10device_ptrIKsEEEESI_EEEEESK_NSA_INS5_IJNSC_16discard_iteratorINSC_11use_defaultEEESN_EEEEEPS7_SQ_SQ_NSC_11hip_rocprim7__merge17predicate_wrapperIssNSC_4lessIsEEEEEE10hipError_tPvRmT0_T1_T2_T3_T4_T5_mmT6_P12ihipStream_tbEUlT_E0_NS1_11comp_targetILNS1_3genE10ELNS1_11target_archE1201ELNS1_3gpuE5ELNS1_3repE0EEENS1_30default_config_static_selectorELNS0_4arch9wavefront6targetE0EEEvS11_,comdat
	.protected	_ZN7rocprim17ROCPRIM_400000_NS6detail17trampoline_kernelINS0_14default_configENS1_21merge_config_selectorINS0_5tupleIJssEEENS0_10empty_typeEEEZNS1_10merge_implIS3_NS0_12zip_iteratorINS5_IJN6thrust23THRUST_200600_302600_NS6detail15normal_iteratorINSC_10device_ptrIKsEEEESI_EEEEESK_NSA_INS5_IJNSC_16discard_iteratorINSC_11use_defaultEEESN_EEEEEPS7_SQ_SQ_NSC_11hip_rocprim7__merge17predicate_wrapperIssNSC_4lessIsEEEEEE10hipError_tPvRmT0_T1_T2_T3_T4_T5_mmT6_P12ihipStream_tbEUlT_E0_NS1_11comp_targetILNS1_3genE10ELNS1_11target_archE1201ELNS1_3gpuE5ELNS1_3repE0EEENS1_30default_config_static_selectorELNS0_4arch9wavefront6targetE0EEEvS11_ ; -- Begin function _ZN7rocprim17ROCPRIM_400000_NS6detail17trampoline_kernelINS0_14default_configENS1_21merge_config_selectorINS0_5tupleIJssEEENS0_10empty_typeEEEZNS1_10merge_implIS3_NS0_12zip_iteratorINS5_IJN6thrust23THRUST_200600_302600_NS6detail15normal_iteratorINSC_10device_ptrIKsEEEESI_EEEEESK_NSA_INS5_IJNSC_16discard_iteratorINSC_11use_defaultEEESN_EEEEEPS7_SQ_SQ_NSC_11hip_rocprim7__merge17predicate_wrapperIssNSC_4lessIsEEEEEE10hipError_tPvRmT0_T1_T2_T3_T4_T5_mmT6_P12ihipStream_tbEUlT_E0_NS1_11comp_targetILNS1_3genE10ELNS1_11target_archE1201ELNS1_3gpuE5ELNS1_3repE0EEENS1_30default_config_static_selectorELNS0_4arch9wavefront6targetE0EEEvS11_
	.globl	_ZN7rocprim17ROCPRIM_400000_NS6detail17trampoline_kernelINS0_14default_configENS1_21merge_config_selectorINS0_5tupleIJssEEENS0_10empty_typeEEEZNS1_10merge_implIS3_NS0_12zip_iteratorINS5_IJN6thrust23THRUST_200600_302600_NS6detail15normal_iteratorINSC_10device_ptrIKsEEEESI_EEEEESK_NSA_INS5_IJNSC_16discard_iteratorINSC_11use_defaultEEESN_EEEEEPS7_SQ_SQ_NSC_11hip_rocprim7__merge17predicate_wrapperIssNSC_4lessIsEEEEEE10hipError_tPvRmT0_T1_T2_T3_T4_T5_mmT6_P12ihipStream_tbEUlT_E0_NS1_11comp_targetILNS1_3genE10ELNS1_11target_archE1201ELNS1_3gpuE5ELNS1_3repE0EEENS1_30default_config_static_selectorELNS0_4arch9wavefront6targetE0EEEvS11_
	.p2align	8
	.type	_ZN7rocprim17ROCPRIM_400000_NS6detail17trampoline_kernelINS0_14default_configENS1_21merge_config_selectorINS0_5tupleIJssEEENS0_10empty_typeEEEZNS1_10merge_implIS3_NS0_12zip_iteratorINS5_IJN6thrust23THRUST_200600_302600_NS6detail15normal_iteratorINSC_10device_ptrIKsEEEESI_EEEEESK_NSA_INS5_IJNSC_16discard_iteratorINSC_11use_defaultEEESN_EEEEEPS7_SQ_SQ_NSC_11hip_rocprim7__merge17predicate_wrapperIssNSC_4lessIsEEEEEE10hipError_tPvRmT0_T1_T2_T3_T4_T5_mmT6_P12ihipStream_tbEUlT_E0_NS1_11comp_targetILNS1_3genE10ELNS1_11target_archE1201ELNS1_3gpuE5ELNS1_3repE0EEENS1_30default_config_static_selectorELNS0_4arch9wavefront6targetE0EEEvS11_,@function
_ZN7rocprim17ROCPRIM_400000_NS6detail17trampoline_kernelINS0_14default_configENS1_21merge_config_selectorINS0_5tupleIJssEEENS0_10empty_typeEEEZNS1_10merge_implIS3_NS0_12zip_iteratorINS5_IJN6thrust23THRUST_200600_302600_NS6detail15normal_iteratorINSC_10device_ptrIKsEEEESI_EEEEESK_NSA_INS5_IJNSC_16discard_iteratorINSC_11use_defaultEEESN_EEEEEPS7_SQ_SQ_NSC_11hip_rocprim7__merge17predicate_wrapperIssNSC_4lessIsEEEEEE10hipError_tPvRmT0_T1_T2_T3_T4_T5_mmT6_P12ihipStream_tbEUlT_E0_NS1_11comp_targetILNS1_3genE10ELNS1_11target_archE1201ELNS1_3gpuE5ELNS1_3repE0EEENS1_30default_config_static_selectorELNS0_4arch9wavefront6targetE0EEEvS11_: ; @_ZN7rocprim17ROCPRIM_400000_NS6detail17trampoline_kernelINS0_14default_configENS1_21merge_config_selectorINS0_5tupleIJssEEENS0_10empty_typeEEEZNS1_10merge_implIS3_NS0_12zip_iteratorINS5_IJN6thrust23THRUST_200600_302600_NS6detail15normal_iteratorINSC_10device_ptrIKsEEEESI_EEEEESK_NSA_INS5_IJNSC_16discard_iteratorINSC_11use_defaultEEESN_EEEEEPS7_SQ_SQ_NSC_11hip_rocprim7__merge17predicate_wrapperIssNSC_4lessIsEEEEEE10hipError_tPvRmT0_T1_T2_T3_T4_T5_mmT6_P12ihipStream_tbEUlT_E0_NS1_11comp_targetILNS1_3genE10ELNS1_11target_archE1201ELNS1_3gpuE5ELNS1_3repE0EEENS1_30default_config_static_selectorELNS0_4arch9wavefront6targetE0EEEvS11_
; %bb.0:
	.section	.rodata,"a",@progbits
	.p2align	6, 0x0
	.amdhsa_kernel _ZN7rocprim17ROCPRIM_400000_NS6detail17trampoline_kernelINS0_14default_configENS1_21merge_config_selectorINS0_5tupleIJssEEENS0_10empty_typeEEEZNS1_10merge_implIS3_NS0_12zip_iteratorINS5_IJN6thrust23THRUST_200600_302600_NS6detail15normal_iteratorINSC_10device_ptrIKsEEEESI_EEEEESK_NSA_INS5_IJNSC_16discard_iteratorINSC_11use_defaultEEESN_EEEEEPS7_SQ_SQ_NSC_11hip_rocprim7__merge17predicate_wrapperIssNSC_4lessIsEEEEEE10hipError_tPvRmT0_T1_T2_T3_T4_T5_mmT6_P12ihipStream_tbEUlT_E0_NS1_11comp_targetILNS1_3genE10ELNS1_11target_archE1201ELNS1_3gpuE5ELNS1_3repE0EEENS1_30default_config_static_selectorELNS0_4arch9wavefront6targetE0EEEvS11_
		.amdhsa_group_segment_fixed_size 0
		.amdhsa_private_segment_fixed_size 0
		.amdhsa_kernarg_size 128
		.amdhsa_user_sgpr_count 2
		.amdhsa_user_sgpr_dispatch_ptr 0
		.amdhsa_user_sgpr_queue_ptr 0
		.amdhsa_user_sgpr_kernarg_segment_ptr 1
		.amdhsa_user_sgpr_dispatch_id 0
		.amdhsa_user_sgpr_kernarg_preload_length 0
		.amdhsa_user_sgpr_kernarg_preload_offset 0
		.amdhsa_user_sgpr_private_segment_size 0
		.amdhsa_wavefront_size32 1
		.amdhsa_uses_dynamic_stack 0
		.amdhsa_enable_private_segment 0
		.amdhsa_system_sgpr_workgroup_id_x 1
		.amdhsa_system_sgpr_workgroup_id_y 0
		.amdhsa_system_sgpr_workgroup_id_z 0
		.amdhsa_system_sgpr_workgroup_info 0
		.amdhsa_system_vgpr_workitem_id 0
		.amdhsa_next_free_vgpr 1
		.amdhsa_next_free_sgpr 1
		.amdhsa_named_barrier_count 0
		.amdhsa_reserve_vcc 0
		.amdhsa_float_round_mode_32 0
		.amdhsa_float_round_mode_16_64 0
		.amdhsa_float_denorm_mode_32 3
		.amdhsa_float_denorm_mode_16_64 3
		.amdhsa_fp16_overflow 0
		.amdhsa_memory_ordered 1
		.amdhsa_forward_progress 1
		.amdhsa_inst_pref_size 0
		.amdhsa_round_robin_scheduling 0
		.amdhsa_exception_fp_ieee_invalid_op 0
		.amdhsa_exception_fp_denorm_src 0
		.amdhsa_exception_fp_ieee_div_zero 0
		.amdhsa_exception_fp_ieee_overflow 0
		.amdhsa_exception_fp_ieee_underflow 0
		.amdhsa_exception_fp_ieee_inexact 0
		.amdhsa_exception_int_div_zero 0
	.end_amdhsa_kernel
	.section	.text._ZN7rocprim17ROCPRIM_400000_NS6detail17trampoline_kernelINS0_14default_configENS1_21merge_config_selectorINS0_5tupleIJssEEENS0_10empty_typeEEEZNS1_10merge_implIS3_NS0_12zip_iteratorINS5_IJN6thrust23THRUST_200600_302600_NS6detail15normal_iteratorINSC_10device_ptrIKsEEEESI_EEEEESK_NSA_INS5_IJNSC_16discard_iteratorINSC_11use_defaultEEESN_EEEEEPS7_SQ_SQ_NSC_11hip_rocprim7__merge17predicate_wrapperIssNSC_4lessIsEEEEEE10hipError_tPvRmT0_T1_T2_T3_T4_T5_mmT6_P12ihipStream_tbEUlT_E0_NS1_11comp_targetILNS1_3genE10ELNS1_11target_archE1201ELNS1_3gpuE5ELNS1_3repE0EEENS1_30default_config_static_selectorELNS0_4arch9wavefront6targetE0EEEvS11_,"axG",@progbits,_ZN7rocprim17ROCPRIM_400000_NS6detail17trampoline_kernelINS0_14default_configENS1_21merge_config_selectorINS0_5tupleIJssEEENS0_10empty_typeEEEZNS1_10merge_implIS3_NS0_12zip_iteratorINS5_IJN6thrust23THRUST_200600_302600_NS6detail15normal_iteratorINSC_10device_ptrIKsEEEESI_EEEEESK_NSA_INS5_IJNSC_16discard_iteratorINSC_11use_defaultEEESN_EEEEEPS7_SQ_SQ_NSC_11hip_rocprim7__merge17predicate_wrapperIssNSC_4lessIsEEEEEE10hipError_tPvRmT0_T1_T2_T3_T4_T5_mmT6_P12ihipStream_tbEUlT_E0_NS1_11comp_targetILNS1_3genE10ELNS1_11target_archE1201ELNS1_3gpuE5ELNS1_3repE0EEENS1_30default_config_static_selectorELNS0_4arch9wavefront6targetE0EEEvS11_,comdat
.Lfunc_end619:
	.size	_ZN7rocprim17ROCPRIM_400000_NS6detail17trampoline_kernelINS0_14default_configENS1_21merge_config_selectorINS0_5tupleIJssEEENS0_10empty_typeEEEZNS1_10merge_implIS3_NS0_12zip_iteratorINS5_IJN6thrust23THRUST_200600_302600_NS6detail15normal_iteratorINSC_10device_ptrIKsEEEESI_EEEEESK_NSA_INS5_IJNSC_16discard_iteratorINSC_11use_defaultEEESN_EEEEEPS7_SQ_SQ_NSC_11hip_rocprim7__merge17predicate_wrapperIssNSC_4lessIsEEEEEE10hipError_tPvRmT0_T1_T2_T3_T4_T5_mmT6_P12ihipStream_tbEUlT_E0_NS1_11comp_targetILNS1_3genE10ELNS1_11target_archE1201ELNS1_3gpuE5ELNS1_3repE0EEENS1_30default_config_static_selectorELNS0_4arch9wavefront6targetE0EEEvS11_, .Lfunc_end619-_ZN7rocprim17ROCPRIM_400000_NS6detail17trampoline_kernelINS0_14default_configENS1_21merge_config_selectorINS0_5tupleIJssEEENS0_10empty_typeEEEZNS1_10merge_implIS3_NS0_12zip_iteratorINS5_IJN6thrust23THRUST_200600_302600_NS6detail15normal_iteratorINSC_10device_ptrIKsEEEESI_EEEEESK_NSA_INS5_IJNSC_16discard_iteratorINSC_11use_defaultEEESN_EEEEEPS7_SQ_SQ_NSC_11hip_rocprim7__merge17predicate_wrapperIssNSC_4lessIsEEEEEE10hipError_tPvRmT0_T1_T2_T3_T4_T5_mmT6_P12ihipStream_tbEUlT_E0_NS1_11comp_targetILNS1_3genE10ELNS1_11target_archE1201ELNS1_3gpuE5ELNS1_3repE0EEENS1_30default_config_static_selectorELNS0_4arch9wavefront6targetE0EEEvS11_
                                        ; -- End function
	.set _ZN7rocprim17ROCPRIM_400000_NS6detail17trampoline_kernelINS0_14default_configENS1_21merge_config_selectorINS0_5tupleIJssEEENS0_10empty_typeEEEZNS1_10merge_implIS3_NS0_12zip_iteratorINS5_IJN6thrust23THRUST_200600_302600_NS6detail15normal_iteratorINSC_10device_ptrIKsEEEESI_EEEEESK_NSA_INS5_IJNSC_16discard_iteratorINSC_11use_defaultEEESN_EEEEEPS7_SQ_SQ_NSC_11hip_rocprim7__merge17predicate_wrapperIssNSC_4lessIsEEEEEE10hipError_tPvRmT0_T1_T2_T3_T4_T5_mmT6_P12ihipStream_tbEUlT_E0_NS1_11comp_targetILNS1_3genE10ELNS1_11target_archE1201ELNS1_3gpuE5ELNS1_3repE0EEENS1_30default_config_static_selectorELNS0_4arch9wavefront6targetE0EEEvS11_.num_vgpr, 0
	.set _ZN7rocprim17ROCPRIM_400000_NS6detail17trampoline_kernelINS0_14default_configENS1_21merge_config_selectorINS0_5tupleIJssEEENS0_10empty_typeEEEZNS1_10merge_implIS3_NS0_12zip_iteratorINS5_IJN6thrust23THRUST_200600_302600_NS6detail15normal_iteratorINSC_10device_ptrIKsEEEESI_EEEEESK_NSA_INS5_IJNSC_16discard_iteratorINSC_11use_defaultEEESN_EEEEEPS7_SQ_SQ_NSC_11hip_rocprim7__merge17predicate_wrapperIssNSC_4lessIsEEEEEE10hipError_tPvRmT0_T1_T2_T3_T4_T5_mmT6_P12ihipStream_tbEUlT_E0_NS1_11comp_targetILNS1_3genE10ELNS1_11target_archE1201ELNS1_3gpuE5ELNS1_3repE0EEENS1_30default_config_static_selectorELNS0_4arch9wavefront6targetE0EEEvS11_.num_agpr, 0
	.set _ZN7rocprim17ROCPRIM_400000_NS6detail17trampoline_kernelINS0_14default_configENS1_21merge_config_selectorINS0_5tupleIJssEEENS0_10empty_typeEEEZNS1_10merge_implIS3_NS0_12zip_iteratorINS5_IJN6thrust23THRUST_200600_302600_NS6detail15normal_iteratorINSC_10device_ptrIKsEEEESI_EEEEESK_NSA_INS5_IJNSC_16discard_iteratorINSC_11use_defaultEEESN_EEEEEPS7_SQ_SQ_NSC_11hip_rocprim7__merge17predicate_wrapperIssNSC_4lessIsEEEEEE10hipError_tPvRmT0_T1_T2_T3_T4_T5_mmT6_P12ihipStream_tbEUlT_E0_NS1_11comp_targetILNS1_3genE10ELNS1_11target_archE1201ELNS1_3gpuE5ELNS1_3repE0EEENS1_30default_config_static_selectorELNS0_4arch9wavefront6targetE0EEEvS11_.numbered_sgpr, 0
	.set _ZN7rocprim17ROCPRIM_400000_NS6detail17trampoline_kernelINS0_14default_configENS1_21merge_config_selectorINS0_5tupleIJssEEENS0_10empty_typeEEEZNS1_10merge_implIS3_NS0_12zip_iteratorINS5_IJN6thrust23THRUST_200600_302600_NS6detail15normal_iteratorINSC_10device_ptrIKsEEEESI_EEEEESK_NSA_INS5_IJNSC_16discard_iteratorINSC_11use_defaultEEESN_EEEEEPS7_SQ_SQ_NSC_11hip_rocprim7__merge17predicate_wrapperIssNSC_4lessIsEEEEEE10hipError_tPvRmT0_T1_T2_T3_T4_T5_mmT6_P12ihipStream_tbEUlT_E0_NS1_11comp_targetILNS1_3genE10ELNS1_11target_archE1201ELNS1_3gpuE5ELNS1_3repE0EEENS1_30default_config_static_selectorELNS0_4arch9wavefront6targetE0EEEvS11_.num_named_barrier, 0
	.set _ZN7rocprim17ROCPRIM_400000_NS6detail17trampoline_kernelINS0_14default_configENS1_21merge_config_selectorINS0_5tupleIJssEEENS0_10empty_typeEEEZNS1_10merge_implIS3_NS0_12zip_iteratorINS5_IJN6thrust23THRUST_200600_302600_NS6detail15normal_iteratorINSC_10device_ptrIKsEEEESI_EEEEESK_NSA_INS5_IJNSC_16discard_iteratorINSC_11use_defaultEEESN_EEEEEPS7_SQ_SQ_NSC_11hip_rocprim7__merge17predicate_wrapperIssNSC_4lessIsEEEEEE10hipError_tPvRmT0_T1_T2_T3_T4_T5_mmT6_P12ihipStream_tbEUlT_E0_NS1_11comp_targetILNS1_3genE10ELNS1_11target_archE1201ELNS1_3gpuE5ELNS1_3repE0EEENS1_30default_config_static_selectorELNS0_4arch9wavefront6targetE0EEEvS11_.private_seg_size, 0
	.set _ZN7rocprim17ROCPRIM_400000_NS6detail17trampoline_kernelINS0_14default_configENS1_21merge_config_selectorINS0_5tupleIJssEEENS0_10empty_typeEEEZNS1_10merge_implIS3_NS0_12zip_iteratorINS5_IJN6thrust23THRUST_200600_302600_NS6detail15normal_iteratorINSC_10device_ptrIKsEEEESI_EEEEESK_NSA_INS5_IJNSC_16discard_iteratorINSC_11use_defaultEEESN_EEEEEPS7_SQ_SQ_NSC_11hip_rocprim7__merge17predicate_wrapperIssNSC_4lessIsEEEEEE10hipError_tPvRmT0_T1_T2_T3_T4_T5_mmT6_P12ihipStream_tbEUlT_E0_NS1_11comp_targetILNS1_3genE10ELNS1_11target_archE1201ELNS1_3gpuE5ELNS1_3repE0EEENS1_30default_config_static_selectorELNS0_4arch9wavefront6targetE0EEEvS11_.uses_vcc, 0
	.set _ZN7rocprim17ROCPRIM_400000_NS6detail17trampoline_kernelINS0_14default_configENS1_21merge_config_selectorINS0_5tupleIJssEEENS0_10empty_typeEEEZNS1_10merge_implIS3_NS0_12zip_iteratorINS5_IJN6thrust23THRUST_200600_302600_NS6detail15normal_iteratorINSC_10device_ptrIKsEEEESI_EEEEESK_NSA_INS5_IJNSC_16discard_iteratorINSC_11use_defaultEEESN_EEEEEPS7_SQ_SQ_NSC_11hip_rocprim7__merge17predicate_wrapperIssNSC_4lessIsEEEEEE10hipError_tPvRmT0_T1_T2_T3_T4_T5_mmT6_P12ihipStream_tbEUlT_E0_NS1_11comp_targetILNS1_3genE10ELNS1_11target_archE1201ELNS1_3gpuE5ELNS1_3repE0EEENS1_30default_config_static_selectorELNS0_4arch9wavefront6targetE0EEEvS11_.uses_flat_scratch, 0
	.set _ZN7rocprim17ROCPRIM_400000_NS6detail17trampoline_kernelINS0_14default_configENS1_21merge_config_selectorINS0_5tupleIJssEEENS0_10empty_typeEEEZNS1_10merge_implIS3_NS0_12zip_iteratorINS5_IJN6thrust23THRUST_200600_302600_NS6detail15normal_iteratorINSC_10device_ptrIKsEEEESI_EEEEESK_NSA_INS5_IJNSC_16discard_iteratorINSC_11use_defaultEEESN_EEEEEPS7_SQ_SQ_NSC_11hip_rocprim7__merge17predicate_wrapperIssNSC_4lessIsEEEEEE10hipError_tPvRmT0_T1_T2_T3_T4_T5_mmT6_P12ihipStream_tbEUlT_E0_NS1_11comp_targetILNS1_3genE10ELNS1_11target_archE1201ELNS1_3gpuE5ELNS1_3repE0EEENS1_30default_config_static_selectorELNS0_4arch9wavefront6targetE0EEEvS11_.has_dyn_sized_stack, 0
	.set _ZN7rocprim17ROCPRIM_400000_NS6detail17trampoline_kernelINS0_14default_configENS1_21merge_config_selectorINS0_5tupleIJssEEENS0_10empty_typeEEEZNS1_10merge_implIS3_NS0_12zip_iteratorINS5_IJN6thrust23THRUST_200600_302600_NS6detail15normal_iteratorINSC_10device_ptrIKsEEEESI_EEEEESK_NSA_INS5_IJNSC_16discard_iteratorINSC_11use_defaultEEESN_EEEEEPS7_SQ_SQ_NSC_11hip_rocprim7__merge17predicate_wrapperIssNSC_4lessIsEEEEEE10hipError_tPvRmT0_T1_T2_T3_T4_T5_mmT6_P12ihipStream_tbEUlT_E0_NS1_11comp_targetILNS1_3genE10ELNS1_11target_archE1201ELNS1_3gpuE5ELNS1_3repE0EEENS1_30default_config_static_selectorELNS0_4arch9wavefront6targetE0EEEvS11_.has_recursion, 0
	.set _ZN7rocprim17ROCPRIM_400000_NS6detail17trampoline_kernelINS0_14default_configENS1_21merge_config_selectorINS0_5tupleIJssEEENS0_10empty_typeEEEZNS1_10merge_implIS3_NS0_12zip_iteratorINS5_IJN6thrust23THRUST_200600_302600_NS6detail15normal_iteratorINSC_10device_ptrIKsEEEESI_EEEEESK_NSA_INS5_IJNSC_16discard_iteratorINSC_11use_defaultEEESN_EEEEEPS7_SQ_SQ_NSC_11hip_rocprim7__merge17predicate_wrapperIssNSC_4lessIsEEEEEE10hipError_tPvRmT0_T1_T2_T3_T4_T5_mmT6_P12ihipStream_tbEUlT_E0_NS1_11comp_targetILNS1_3genE10ELNS1_11target_archE1201ELNS1_3gpuE5ELNS1_3repE0EEENS1_30default_config_static_selectorELNS0_4arch9wavefront6targetE0EEEvS11_.has_indirect_call, 0
	.section	.AMDGPU.csdata,"",@progbits
; Kernel info:
; codeLenInByte = 0
; TotalNumSgprs: 0
; NumVgprs: 0
; ScratchSize: 0
; MemoryBound: 0
; FloatMode: 240
; IeeeMode: 1
; LDSByteSize: 0 bytes/workgroup (compile time only)
; SGPRBlocks: 0
; VGPRBlocks: 0
; NumSGPRsForWavesPerEU: 1
; NumVGPRsForWavesPerEU: 1
; NamedBarCnt: 0
; Occupancy: 16
; WaveLimiterHint : 0
; COMPUTE_PGM_RSRC2:SCRATCH_EN: 0
; COMPUTE_PGM_RSRC2:USER_SGPR: 2
; COMPUTE_PGM_RSRC2:TRAP_HANDLER: 0
; COMPUTE_PGM_RSRC2:TGID_X_EN: 1
; COMPUTE_PGM_RSRC2:TGID_Y_EN: 0
; COMPUTE_PGM_RSRC2:TGID_Z_EN: 0
; COMPUTE_PGM_RSRC2:TIDIG_COMP_CNT: 0
	.section	.text._ZN7rocprim17ROCPRIM_400000_NS6detail17trampoline_kernelINS0_14default_configENS1_21merge_config_selectorINS0_5tupleIJssEEENS0_10empty_typeEEEZNS1_10merge_implIS3_NS0_12zip_iteratorINS5_IJN6thrust23THRUST_200600_302600_NS6detail15normal_iteratorINSC_10device_ptrIKsEEEESI_EEEEESK_NSA_INS5_IJNSC_16discard_iteratorINSC_11use_defaultEEESN_EEEEEPS7_SQ_SQ_NSC_11hip_rocprim7__merge17predicate_wrapperIssNSC_4lessIsEEEEEE10hipError_tPvRmT0_T1_T2_T3_T4_T5_mmT6_P12ihipStream_tbEUlT_E0_NS1_11comp_targetILNS1_3genE10ELNS1_11target_archE1200ELNS1_3gpuE4ELNS1_3repE0EEENS1_30default_config_static_selectorELNS0_4arch9wavefront6targetE0EEEvS11_,"axG",@progbits,_ZN7rocprim17ROCPRIM_400000_NS6detail17trampoline_kernelINS0_14default_configENS1_21merge_config_selectorINS0_5tupleIJssEEENS0_10empty_typeEEEZNS1_10merge_implIS3_NS0_12zip_iteratorINS5_IJN6thrust23THRUST_200600_302600_NS6detail15normal_iteratorINSC_10device_ptrIKsEEEESI_EEEEESK_NSA_INS5_IJNSC_16discard_iteratorINSC_11use_defaultEEESN_EEEEEPS7_SQ_SQ_NSC_11hip_rocprim7__merge17predicate_wrapperIssNSC_4lessIsEEEEEE10hipError_tPvRmT0_T1_T2_T3_T4_T5_mmT6_P12ihipStream_tbEUlT_E0_NS1_11comp_targetILNS1_3genE10ELNS1_11target_archE1200ELNS1_3gpuE4ELNS1_3repE0EEENS1_30default_config_static_selectorELNS0_4arch9wavefront6targetE0EEEvS11_,comdat
	.protected	_ZN7rocprim17ROCPRIM_400000_NS6detail17trampoline_kernelINS0_14default_configENS1_21merge_config_selectorINS0_5tupleIJssEEENS0_10empty_typeEEEZNS1_10merge_implIS3_NS0_12zip_iteratorINS5_IJN6thrust23THRUST_200600_302600_NS6detail15normal_iteratorINSC_10device_ptrIKsEEEESI_EEEEESK_NSA_INS5_IJNSC_16discard_iteratorINSC_11use_defaultEEESN_EEEEEPS7_SQ_SQ_NSC_11hip_rocprim7__merge17predicate_wrapperIssNSC_4lessIsEEEEEE10hipError_tPvRmT0_T1_T2_T3_T4_T5_mmT6_P12ihipStream_tbEUlT_E0_NS1_11comp_targetILNS1_3genE10ELNS1_11target_archE1200ELNS1_3gpuE4ELNS1_3repE0EEENS1_30default_config_static_selectorELNS0_4arch9wavefront6targetE0EEEvS11_ ; -- Begin function _ZN7rocprim17ROCPRIM_400000_NS6detail17trampoline_kernelINS0_14default_configENS1_21merge_config_selectorINS0_5tupleIJssEEENS0_10empty_typeEEEZNS1_10merge_implIS3_NS0_12zip_iteratorINS5_IJN6thrust23THRUST_200600_302600_NS6detail15normal_iteratorINSC_10device_ptrIKsEEEESI_EEEEESK_NSA_INS5_IJNSC_16discard_iteratorINSC_11use_defaultEEESN_EEEEEPS7_SQ_SQ_NSC_11hip_rocprim7__merge17predicate_wrapperIssNSC_4lessIsEEEEEE10hipError_tPvRmT0_T1_T2_T3_T4_T5_mmT6_P12ihipStream_tbEUlT_E0_NS1_11comp_targetILNS1_3genE10ELNS1_11target_archE1200ELNS1_3gpuE4ELNS1_3repE0EEENS1_30default_config_static_selectorELNS0_4arch9wavefront6targetE0EEEvS11_
	.globl	_ZN7rocprim17ROCPRIM_400000_NS6detail17trampoline_kernelINS0_14default_configENS1_21merge_config_selectorINS0_5tupleIJssEEENS0_10empty_typeEEEZNS1_10merge_implIS3_NS0_12zip_iteratorINS5_IJN6thrust23THRUST_200600_302600_NS6detail15normal_iteratorINSC_10device_ptrIKsEEEESI_EEEEESK_NSA_INS5_IJNSC_16discard_iteratorINSC_11use_defaultEEESN_EEEEEPS7_SQ_SQ_NSC_11hip_rocprim7__merge17predicate_wrapperIssNSC_4lessIsEEEEEE10hipError_tPvRmT0_T1_T2_T3_T4_T5_mmT6_P12ihipStream_tbEUlT_E0_NS1_11comp_targetILNS1_3genE10ELNS1_11target_archE1200ELNS1_3gpuE4ELNS1_3repE0EEENS1_30default_config_static_selectorELNS0_4arch9wavefront6targetE0EEEvS11_
	.p2align	8
	.type	_ZN7rocprim17ROCPRIM_400000_NS6detail17trampoline_kernelINS0_14default_configENS1_21merge_config_selectorINS0_5tupleIJssEEENS0_10empty_typeEEEZNS1_10merge_implIS3_NS0_12zip_iteratorINS5_IJN6thrust23THRUST_200600_302600_NS6detail15normal_iteratorINSC_10device_ptrIKsEEEESI_EEEEESK_NSA_INS5_IJNSC_16discard_iteratorINSC_11use_defaultEEESN_EEEEEPS7_SQ_SQ_NSC_11hip_rocprim7__merge17predicate_wrapperIssNSC_4lessIsEEEEEE10hipError_tPvRmT0_T1_T2_T3_T4_T5_mmT6_P12ihipStream_tbEUlT_E0_NS1_11comp_targetILNS1_3genE10ELNS1_11target_archE1200ELNS1_3gpuE4ELNS1_3repE0EEENS1_30default_config_static_selectorELNS0_4arch9wavefront6targetE0EEEvS11_,@function
_ZN7rocprim17ROCPRIM_400000_NS6detail17trampoline_kernelINS0_14default_configENS1_21merge_config_selectorINS0_5tupleIJssEEENS0_10empty_typeEEEZNS1_10merge_implIS3_NS0_12zip_iteratorINS5_IJN6thrust23THRUST_200600_302600_NS6detail15normal_iteratorINSC_10device_ptrIKsEEEESI_EEEEESK_NSA_INS5_IJNSC_16discard_iteratorINSC_11use_defaultEEESN_EEEEEPS7_SQ_SQ_NSC_11hip_rocprim7__merge17predicate_wrapperIssNSC_4lessIsEEEEEE10hipError_tPvRmT0_T1_T2_T3_T4_T5_mmT6_P12ihipStream_tbEUlT_E0_NS1_11comp_targetILNS1_3genE10ELNS1_11target_archE1200ELNS1_3gpuE4ELNS1_3repE0EEENS1_30default_config_static_selectorELNS0_4arch9wavefront6targetE0EEEvS11_: ; @_ZN7rocprim17ROCPRIM_400000_NS6detail17trampoline_kernelINS0_14default_configENS1_21merge_config_selectorINS0_5tupleIJssEEENS0_10empty_typeEEEZNS1_10merge_implIS3_NS0_12zip_iteratorINS5_IJN6thrust23THRUST_200600_302600_NS6detail15normal_iteratorINSC_10device_ptrIKsEEEESI_EEEEESK_NSA_INS5_IJNSC_16discard_iteratorINSC_11use_defaultEEESN_EEEEEPS7_SQ_SQ_NSC_11hip_rocprim7__merge17predicate_wrapperIssNSC_4lessIsEEEEEE10hipError_tPvRmT0_T1_T2_T3_T4_T5_mmT6_P12ihipStream_tbEUlT_E0_NS1_11comp_targetILNS1_3genE10ELNS1_11target_archE1200ELNS1_3gpuE4ELNS1_3repE0EEENS1_30default_config_static_selectorELNS0_4arch9wavefront6targetE0EEEvS11_
; %bb.0:
	.section	.rodata,"a",@progbits
	.p2align	6, 0x0
	.amdhsa_kernel _ZN7rocprim17ROCPRIM_400000_NS6detail17trampoline_kernelINS0_14default_configENS1_21merge_config_selectorINS0_5tupleIJssEEENS0_10empty_typeEEEZNS1_10merge_implIS3_NS0_12zip_iteratorINS5_IJN6thrust23THRUST_200600_302600_NS6detail15normal_iteratorINSC_10device_ptrIKsEEEESI_EEEEESK_NSA_INS5_IJNSC_16discard_iteratorINSC_11use_defaultEEESN_EEEEEPS7_SQ_SQ_NSC_11hip_rocprim7__merge17predicate_wrapperIssNSC_4lessIsEEEEEE10hipError_tPvRmT0_T1_T2_T3_T4_T5_mmT6_P12ihipStream_tbEUlT_E0_NS1_11comp_targetILNS1_3genE10ELNS1_11target_archE1200ELNS1_3gpuE4ELNS1_3repE0EEENS1_30default_config_static_selectorELNS0_4arch9wavefront6targetE0EEEvS11_
		.amdhsa_group_segment_fixed_size 0
		.amdhsa_private_segment_fixed_size 0
		.amdhsa_kernarg_size 128
		.amdhsa_user_sgpr_count 2
		.amdhsa_user_sgpr_dispatch_ptr 0
		.amdhsa_user_sgpr_queue_ptr 0
		.amdhsa_user_sgpr_kernarg_segment_ptr 1
		.amdhsa_user_sgpr_dispatch_id 0
		.amdhsa_user_sgpr_kernarg_preload_length 0
		.amdhsa_user_sgpr_kernarg_preload_offset 0
		.amdhsa_user_sgpr_private_segment_size 0
		.amdhsa_wavefront_size32 1
		.amdhsa_uses_dynamic_stack 0
		.amdhsa_enable_private_segment 0
		.amdhsa_system_sgpr_workgroup_id_x 1
		.amdhsa_system_sgpr_workgroup_id_y 0
		.amdhsa_system_sgpr_workgroup_id_z 0
		.amdhsa_system_sgpr_workgroup_info 0
		.amdhsa_system_vgpr_workitem_id 0
		.amdhsa_next_free_vgpr 1
		.amdhsa_next_free_sgpr 1
		.amdhsa_named_barrier_count 0
		.amdhsa_reserve_vcc 0
		.amdhsa_float_round_mode_32 0
		.amdhsa_float_round_mode_16_64 0
		.amdhsa_float_denorm_mode_32 3
		.amdhsa_float_denorm_mode_16_64 3
		.amdhsa_fp16_overflow 0
		.amdhsa_memory_ordered 1
		.amdhsa_forward_progress 1
		.amdhsa_inst_pref_size 0
		.amdhsa_round_robin_scheduling 0
		.amdhsa_exception_fp_ieee_invalid_op 0
		.amdhsa_exception_fp_denorm_src 0
		.amdhsa_exception_fp_ieee_div_zero 0
		.amdhsa_exception_fp_ieee_overflow 0
		.amdhsa_exception_fp_ieee_underflow 0
		.amdhsa_exception_fp_ieee_inexact 0
		.amdhsa_exception_int_div_zero 0
	.end_amdhsa_kernel
	.section	.text._ZN7rocprim17ROCPRIM_400000_NS6detail17trampoline_kernelINS0_14default_configENS1_21merge_config_selectorINS0_5tupleIJssEEENS0_10empty_typeEEEZNS1_10merge_implIS3_NS0_12zip_iteratorINS5_IJN6thrust23THRUST_200600_302600_NS6detail15normal_iteratorINSC_10device_ptrIKsEEEESI_EEEEESK_NSA_INS5_IJNSC_16discard_iteratorINSC_11use_defaultEEESN_EEEEEPS7_SQ_SQ_NSC_11hip_rocprim7__merge17predicate_wrapperIssNSC_4lessIsEEEEEE10hipError_tPvRmT0_T1_T2_T3_T4_T5_mmT6_P12ihipStream_tbEUlT_E0_NS1_11comp_targetILNS1_3genE10ELNS1_11target_archE1200ELNS1_3gpuE4ELNS1_3repE0EEENS1_30default_config_static_selectorELNS0_4arch9wavefront6targetE0EEEvS11_,"axG",@progbits,_ZN7rocprim17ROCPRIM_400000_NS6detail17trampoline_kernelINS0_14default_configENS1_21merge_config_selectorINS0_5tupleIJssEEENS0_10empty_typeEEEZNS1_10merge_implIS3_NS0_12zip_iteratorINS5_IJN6thrust23THRUST_200600_302600_NS6detail15normal_iteratorINSC_10device_ptrIKsEEEESI_EEEEESK_NSA_INS5_IJNSC_16discard_iteratorINSC_11use_defaultEEESN_EEEEEPS7_SQ_SQ_NSC_11hip_rocprim7__merge17predicate_wrapperIssNSC_4lessIsEEEEEE10hipError_tPvRmT0_T1_T2_T3_T4_T5_mmT6_P12ihipStream_tbEUlT_E0_NS1_11comp_targetILNS1_3genE10ELNS1_11target_archE1200ELNS1_3gpuE4ELNS1_3repE0EEENS1_30default_config_static_selectorELNS0_4arch9wavefront6targetE0EEEvS11_,comdat
.Lfunc_end620:
	.size	_ZN7rocprim17ROCPRIM_400000_NS6detail17trampoline_kernelINS0_14default_configENS1_21merge_config_selectorINS0_5tupleIJssEEENS0_10empty_typeEEEZNS1_10merge_implIS3_NS0_12zip_iteratorINS5_IJN6thrust23THRUST_200600_302600_NS6detail15normal_iteratorINSC_10device_ptrIKsEEEESI_EEEEESK_NSA_INS5_IJNSC_16discard_iteratorINSC_11use_defaultEEESN_EEEEEPS7_SQ_SQ_NSC_11hip_rocprim7__merge17predicate_wrapperIssNSC_4lessIsEEEEEE10hipError_tPvRmT0_T1_T2_T3_T4_T5_mmT6_P12ihipStream_tbEUlT_E0_NS1_11comp_targetILNS1_3genE10ELNS1_11target_archE1200ELNS1_3gpuE4ELNS1_3repE0EEENS1_30default_config_static_selectorELNS0_4arch9wavefront6targetE0EEEvS11_, .Lfunc_end620-_ZN7rocprim17ROCPRIM_400000_NS6detail17trampoline_kernelINS0_14default_configENS1_21merge_config_selectorINS0_5tupleIJssEEENS0_10empty_typeEEEZNS1_10merge_implIS3_NS0_12zip_iteratorINS5_IJN6thrust23THRUST_200600_302600_NS6detail15normal_iteratorINSC_10device_ptrIKsEEEESI_EEEEESK_NSA_INS5_IJNSC_16discard_iteratorINSC_11use_defaultEEESN_EEEEEPS7_SQ_SQ_NSC_11hip_rocprim7__merge17predicate_wrapperIssNSC_4lessIsEEEEEE10hipError_tPvRmT0_T1_T2_T3_T4_T5_mmT6_P12ihipStream_tbEUlT_E0_NS1_11comp_targetILNS1_3genE10ELNS1_11target_archE1200ELNS1_3gpuE4ELNS1_3repE0EEENS1_30default_config_static_selectorELNS0_4arch9wavefront6targetE0EEEvS11_
                                        ; -- End function
	.set _ZN7rocprim17ROCPRIM_400000_NS6detail17trampoline_kernelINS0_14default_configENS1_21merge_config_selectorINS0_5tupleIJssEEENS0_10empty_typeEEEZNS1_10merge_implIS3_NS0_12zip_iteratorINS5_IJN6thrust23THRUST_200600_302600_NS6detail15normal_iteratorINSC_10device_ptrIKsEEEESI_EEEEESK_NSA_INS5_IJNSC_16discard_iteratorINSC_11use_defaultEEESN_EEEEEPS7_SQ_SQ_NSC_11hip_rocprim7__merge17predicate_wrapperIssNSC_4lessIsEEEEEE10hipError_tPvRmT0_T1_T2_T3_T4_T5_mmT6_P12ihipStream_tbEUlT_E0_NS1_11comp_targetILNS1_3genE10ELNS1_11target_archE1200ELNS1_3gpuE4ELNS1_3repE0EEENS1_30default_config_static_selectorELNS0_4arch9wavefront6targetE0EEEvS11_.num_vgpr, 0
	.set _ZN7rocprim17ROCPRIM_400000_NS6detail17trampoline_kernelINS0_14default_configENS1_21merge_config_selectorINS0_5tupleIJssEEENS0_10empty_typeEEEZNS1_10merge_implIS3_NS0_12zip_iteratorINS5_IJN6thrust23THRUST_200600_302600_NS6detail15normal_iteratorINSC_10device_ptrIKsEEEESI_EEEEESK_NSA_INS5_IJNSC_16discard_iteratorINSC_11use_defaultEEESN_EEEEEPS7_SQ_SQ_NSC_11hip_rocprim7__merge17predicate_wrapperIssNSC_4lessIsEEEEEE10hipError_tPvRmT0_T1_T2_T3_T4_T5_mmT6_P12ihipStream_tbEUlT_E0_NS1_11comp_targetILNS1_3genE10ELNS1_11target_archE1200ELNS1_3gpuE4ELNS1_3repE0EEENS1_30default_config_static_selectorELNS0_4arch9wavefront6targetE0EEEvS11_.num_agpr, 0
	.set _ZN7rocprim17ROCPRIM_400000_NS6detail17trampoline_kernelINS0_14default_configENS1_21merge_config_selectorINS0_5tupleIJssEEENS0_10empty_typeEEEZNS1_10merge_implIS3_NS0_12zip_iteratorINS5_IJN6thrust23THRUST_200600_302600_NS6detail15normal_iteratorINSC_10device_ptrIKsEEEESI_EEEEESK_NSA_INS5_IJNSC_16discard_iteratorINSC_11use_defaultEEESN_EEEEEPS7_SQ_SQ_NSC_11hip_rocprim7__merge17predicate_wrapperIssNSC_4lessIsEEEEEE10hipError_tPvRmT0_T1_T2_T3_T4_T5_mmT6_P12ihipStream_tbEUlT_E0_NS1_11comp_targetILNS1_3genE10ELNS1_11target_archE1200ELNS1_3gpuE4ELNS1_3repE0EEENS1_30default_config_static_selectorELNS0_4arch9wavefront6targetE0EEEvS11_.numbered_sgpr, 0
	.set _ZN7rocprim17ROCPRIM_400000_NS6detail17trampoline_kernelINS0_14default_configENS1_21merge_config_selectorINS0_5tupleIJssEEENS0_10empty_typeEEEZNS1_10merge_implIS3_NS0_12zip_iteratorINS5_IJN6thrust23THRUST_200600_302600_NS6detail15normal_iteratorINSC_10device_ptrIKsEEEESI_EEEEESK_NSA_INS5_IJNSC_16discard_iteratorINSC_11use_defaultEEESN_EEEEEPS7_SQ_SQ_NSC_11hip_rocprim7__merge17predicate_wrapperIssNSC_4lessIsEEEEEE10hipError_tPvRmT0_T1_T2_T3_T4_T5_mmT6_P12ihipStream_tbEUlT_E0_NS1_11comp_targetILNS1_3genE10ELNS1_11target_archE1200ELNS1_3gpuE4ELNS1_3repE0EEENS1_30default_config_static_selectorELNS0_4arch9wavefront6targetE0EEEvS11_.num_named_barrier, 0
	.set _ZN7rocprim17ROCPRIM_400000_NS6detail17trampoline_kernelINS0_14default_configENS1_21merge_config_selectorINS0_5tupleIJssEEENS0_10empty_typeEEEZNS1_10merge_implIS3_NS0_12zip_iteratorINS5_IJN6thrust23THRUST_200600_302600_NS6detail15normal_iteratorINSC_10device_ptrIKsEEEESI_EEEEESK_NSA_INS5_IJNSC_16discard_iteratorINSC_11use_defaultEEESN_EEEEEPS7_SQ_SQ_NSC_11hip_rocprim7__merge17predicate_wrapperIssNSC_4lessIsEEEEEE10hipError_tPvRmT0_T1_T2_T3_T4_T5_mmT6_P12ihipStream_tbEUlT_E0_NS1_11comp_targetILNS1_3genE10ELNS1_11target_archE1200ELNS1_3gpuE4ELNS1_3repE0EEENS1_30default_config_static_selectorELNS0_4arch9wavefront6targetE0EEEvS11_.private_seg_size, 0
	.set _ZN7rocprim17ROCPRIM_400000_NS6detail17trampoline_kernelINS0_14default_configENS1_21merge_config_selectorINS0_5tupleIJssEEENS0_10empty_typeEEEZNS1_10merge_implIS3_NS0_12zip_iteratorINS5_IJN6thrust23THRUST_200600_302600_NS6detail15normal_iteratorINSC_10device_ptrIKsEEEESI_EEEEESK_NSA_INS5_IJNSC_16discard_iteratorINSC_11use_defaultEEESN_EEEEEPS7_SQ_SQ_NSC_11hip_rocprim7__merge17predicate_wrapperIssNSC_4lessIsEEEEEE10hipError_tPvRmT0_T1_T2_T3_T4_T5_mmT6_P12ihipStream_tbEUlT_E0_NS1_11comp_targetILNS1_3genE10ELNS1_11target_archE1200ELNS1_3gpuE4ELNS1_3repE0EEENS1_30default_config_static_selectorELNS0_4arch9wavefront6targetE0EEEvS11_.uses_vcc, 0
	.set _ZN7rocprim17ROCPRIM_400000_NS6detail17trampoline_kernelINS0_14default_configENS1_21merge_config_selectorINS0_5tupleIJssEEENS0_10empty_typeEEEZNS1_10merge_implIS3_NS0_12zip_iteratorINS5_IJN6thrust23THRUST_200600_302600_NS6detail15normal_iteratorINSC_10device_ptrIKsEEEESI_EEEEESK_NSA_INS5_IJNSC_16discard_iteratorINSC_11use_defaultEEESN_EEEEEPS7_SQ_SQ_NSC_11hip_rocprim7__merge17predicate_wrapperIssNSC_4lessIsEEEEEE10hipError_tPvRmT0_T1_T2_T3_T4_T5_mmT6_P12ihipStream_tbEUlT_E0_NS1_11comp_targetILNS1_3genE10ELNS1_11target_archE1200ELNS1_3gpuE4ELNS1_3repE0EEENS1_30default_config_static_selectorELNS0_4arch9wavefront6targetE0EEEvS11_.uses_flat_scratch, 0
	.set _ZN7rocprim17ROCPRIM_400000_NS6detail17trampoline_kernelINS0_14default_configENS1_21merge_config_selectorINS0_5tupleIJssEEENS0_10empty_typeEEEZNS1_10merge_implIS3_NS0_12zip_iteratorINS5_IJN6thrust23THRUST_200600_302600_NS6detail15normal_iteratorINSC_10device_ptrIKsEEEESI_EEEEESK_NSA_INS5_IJNSC_16discard_iteratorINSC_11use_defaultEEESN_EEEEEPS7_SQ_SQ_NSC_11hip_rocprim7__merge17predicate_wrapperIssNSC_4lessIsEEEEEE10hipError_tPvRmT0_T1_T2_T3_T4_T5_mmT6_P12ihipStream_tbEUlT_E0_NS1_11comp_targetILNS1_3genE10ELNS1_11target_archE1200ELNS1_3gpuE4ELNS1_3repE0EEENS1_30default_config_static_selectorELNS0_4arch9wavefront6targetE0EEEvS11_.has_dyn_sized_stack, 0
	.set _ZN7rocprim17ROCPRIM_400000_NS6detail17trampoline_kernelINS0_14default_configENS1_21merge_config_selectorINS0_5tupleIJssEEENS0_10empty_typeEEEZNS1_10merge_implIS3_NS0_12zip_iteratorINS5_IJN6thrust23THRUST_200600_302600_NS6detail15normal_iteratorINSC_10device_ptrIKsEEEESI_EEEEESK_NSA_INS5_IJNSC_16discard_iteratorINSC_11use_defaultEEESN_EEEEEPS7_SQ_SQ_NSC_11hip_rocprim7__merge17predicate_wrapperIssNSC_4lessIsEEEEEE10hipError_tPvRmT0_T1_T2_T3_T4_T5_mmT6_P12ihipStream_tbEUlT_E0_NS1_11comp_targetILNS1_3genE10ELNS1_11target_archE1200ELNS1_3gpuE4ELNS1_3repE0EEENS1_30default_config_static_selectorELNS0_4arch9wavefront6targetE0EEEvS11_.has_recursion, 0
	.set _ZN7rocprim17ROCPRIM_400000_NS6detail17trampoline_kernelINS0_14default_configENS1_21merge_config_selectorINS0_5tupleIJssEEENS0_10empty_typeEEEZNS1_10merge_implIS3_NS0_12zip_iteratorINS5_IJN6thrust23THRUST_200600_302600_NS6detail15normal_iteratorINSC_10device_ptrIKsEEEESI_EEEEESK_NSA_INS5_IJNSC_16discard_iteratorINSC_11use_defaultEEESN_EEEEEPS7_SQ_SQ_NSC_11hip_rocprim7__merge17predicate_wrapperIssNSC_4lessIsEEEEEE10hipError_tPvRmT0_T1_T2_T3_T4_T5_mmT6_P12ihipStream_tbEUlT_E0_NS1_11comp_targetILNS1_3genE10ELNS1_11target_archE1200ELNS1_3gpuE4ELNS1_3repE0EEENS1_30default_config_static_selectorELNS0_4arch9wavefront6targetE0EEEvS11_.has_indirect_call, 0
	.section	.AMDGPU.csdata,"",@progbits
; Kernel info:
; codeLenInByte = 0
; TotalNumSgprs: 0
; NumVgprs: 0
; ScratchSize: 0
; MemoryBound: 0
; FloatMode: 240
; IeeeMode: 1
; LDSByteSize: 0 bytes/workgroup (compile time only)
; SGPRBlocks: 0
; VGPRBlocks: 0
; NumSGPRsForWavesPerEU: 1
; NumVGPRsForWavesPerEU: 1
; NamedBarCnt: 0
; Occupancy: 16
; WaveLimiterHint : 0
; COMPUTE_PGM_RSRC2:SCRATCH_EN: 0
; COMPUTE_PGM_RSRC2:USER_SGPR: 2
; COMPUTE_PGM_RSRC2:TRAP_HANDLER: 0
; COMPUTE_PGM_RSRC2:TGID_X_EN: 1
; COMPUTE_PGM_RSRC2:TGID_Y_EN: 0
; COMPUTE_PGM_RSRC2:TGID_Z_EN: 0
; COMPUTE_PGM_RSRC2:TIDIG_COMP_CNT: 0
	.section	.text._ZN7rocprim17ROCPRIM_400000_NS6detail17trampoline_kernelINS0_14default_configENS1_21merge_config_selectorINS0_5tupleIJssEEENS0_10empty_typeEEEZNS1_10merge_implIS3_NS0_12zip_iteratorINS5_IJN6thrust23THRUST_200600_302600_NS6detail15normal_iteratorINSC_10device_ptrIKsEEEESI_EEEEESK_NSA_INS5_IJNSC_16discard_iteratorINSC_11use_defaultEEESN_EEEEEPS7_SQ_SQ_NSC_11hip_rocprim7__merge17predicate_wrapperIssNSC_4lessIsEEEEEE10hipError_tPvRmT0_T1_T2_T3_T4_T5_mmT6_P12ihipStream_tbEUlT_E0_NS1_11comp_targetILNS1_3genE9ELNS1_11target_archE1100ELNS1_3gpuE3ELNS1_3repE0EEENS1_30default_config_static_selectorELNS0_4arch9wavefront6targetE0EEEvS11_,"axG",@progbits,_ZN7rocprim17ROCPRIM_400000_NS6detail17trampoline_kernelINS0_14default_configENS1_21merge_config_selectorINS0_5tupleIJssEEENS0_10empty_typeEEEZNS1_10merge_implIS3_NS0_12zip_iteratorINS5_IJN6thrust23THRUST_200600_302600_NS6detail15normal_iteratorINSC_10device_ptrIKsEEEESI_EEEEESK_NSA_INS5_IJNSC_16discard_iteratorINSC_11use_defaultEEESN_EEEEEPS7_SQ_SQ_NSC_11hip_rocprim7__merge17predicate_wrapperIssNSC_4lessIsEEEEEE10hipError_tPvRmT0_T1_T2_T3_T4_T5_mmT6_P12ihipStream_tbEUlT_E0_NS1_11comp_targetILNS1_3genE9ELNS1_11target_archE1100ELNS1_3gpuE3ELNS1_3repE0EEENS1_30default_config_static_selectorELNS0_4arch9wavefront6targetE0EEEvS11_,comdat
	.protected	_ZN7rocprim17ROCPRIM_400000_NS6detail17trampoline_kernelINS0_14default_configENS1_21merge_config_selectorINS0_5tupleIJssEEENS0_10empty_typeEEEZNS1_10merge_implIS3_NS0_12zip_iteratorINS5_IJN6thrust23THRUST_200600_302600_NS6detail15normal_iteratorINSC_10device_ptrIKsEEEESI_EEEEESK_NSA_INS5_IJNSC_16discard_iteratorINSC_11use_defaultEEESN_EEEEEPS7_SQ_SQ_NSC_11hip_rocprim7__merge17predicate_wrapperIssNSC_4lessIsEEEEEE10hipError_tPvRmT0_T1_T2_T3_T4_T5_mmT6_P12ihipStream_tbEUlT_E0_NS1_11comp_targetILNS1_3genE9ELNS1_11target_archE1100ELNS1_3gpuE3ELNS1_3repE0EEENS1_30default_config_static_selectorELNS0_4arch9wavefront6targetE0EEEvS11_ ; -- Begin function _ZN7rocprim17ROCPRIM_400000_NS6detail17trampoline_kernelINS0_14default_configENS1_21merge_config_selectorINS0_5tupleIJssEEENS0_10empty_typeEEEZNS1_10merge_implIS3_NS0_12zip_iteratorINS5_IJN6thrust23THRUST_200600_302600_NS6detail15normal_iteratorINSC_10device_ptrIKsEEEESI_EEEEESK_NSA_INS5_IJNSC_16discard_iteratorINSC_11use_defaultEEESN_EEEEEPS7_SQ_SQ_NSC_11hip_rocprim7__merge17predicate_wrapperIssNSC_4lessIsEEEEEE10hipError_tPvRmT0_T1_T2_T3_T4_T5_mmT6_P12ihipStream_tbEUlT_E0_NS1_11comp_targetILNS1_3genE9ELNS1_11target_archE1100ELNS1_3gpuE3ELNS1_3repE0EEENS1_30default_config_static_selectorELNS0_4arch9wavefront6targetE0EEEvS11_
	.globl	_ZN7rocprim17ROCPRIM_400000_NS6detail17trampoline_kernelINS0_14default_configENS1_21merge_config_selectorINS0_5tupleIJssEEENS0_10empty_typeEEEZNS1_10merge_implIS3_NS0_12zip_iteratorINS5_IJN6thrust23THRUST_200600_302600_NS6detail15normal_iteratorINSC_10device_ptrIKsEEEESI_EEEEESK_NSA_INS5_IJNSC_16discard_iteratorINSC_11use_defaultEEESN_EEEEEPS7_SQ_SQ_NSC_11hip_rocprim7__merge17predicate_wrapperIssNSC_4lessIsEEEEEE10hipError_tPvRmT0_T1_T2_T3_T4_T5_mmT6_P12ihipStream_tbEUlT_E0_NS1_11comp_targetILNS1_3genE9ELNS1_11target_archE1100ELNS1_3gpuE3ELNS1_3repE0EEENS1_30default_config_static_selectorELNS0_4arch9wavefront6targetE0EEEvS11_
	.p2align	8
	.type	_ZN7rocprim17ROCPRIM_400000_NS6detail17trampoline_kernelINS0_14default_configENS1_21merge_config_selectorINS0_5tupleIJssEEENS0_10empty_typeEEEZNS1_10merge_implIS3_NS0_12zip_iteratorINS5_IJN6thrust23THRUST_200600_302600_NS6detail15normal_iteratorINSC_10device_ptrIKsEEEESI_EEEEESK_NSA_INS5_IJNSC_16discard_iteratorINSC_11use_defaultEEESN_EEEEEPS7_SQ_SQ_NSC_11hip_rocprim7__merge17predicate_wrapperIssNSC_4lessIsEEEEEE10hipError_tPvRmT0_T1_T2_T3_T4_T5_mmT6_P12ihipStream_tbEUlT_E0_NS1_11comp_targetILNS1_3genE9ELNS1_11target_archE1100ELNS1_3gpuE3ELNS1_3repE0EEENS1_30default_config_static_selectorELNS0_4arch9wavefront6targetE0EEEvS11_,@function
_ZN7rocprim17ROCPRIM_400000_NS6detail17trampoline_kernelINS0_14default_configENS1_21merge_config_selectorINS0_5tupleIJssEEENS0_10empty_typeEEEZNS1_10merge_implIS3_NS0_12zip_iteratorINS5_IJN6thrust23THRUST_200600_302600_NS6detail15normal_iteratorINSC_10device_ptrIKsEEEESI_EEEEESK_NSA_INS5_IJNSC_16discard_iteratorINSC_11use_defaultEEESN_EEEEEPS7_SQ_SQ_NSC_11hip_rocprim7__merge17predicate_wrapperIssNSC_4lessIsEEEEEE10hipError_tPvRmT0_T1_T2_T3_T4_T5_mmT6_P12ihipStream_tbEUlT_E0_NS1_11comp_targetILNS1_3genE9ELNS1_11target_archE1100ELNS1_3gpuE3ELNS1_3repE0EEENS1_30default_config_static_selectorELNS0_4arch9wavefront6targetE0EEEvS11_: ; @_ZN7rocprim17ROCPRIM_400000_NS6detail17trampoline_kernelINS0_14default_configENS1_21merge_config_selectorINS0_5tupleIJssEEENS0_10empty_typeEEEZNS1_10merge_implIS3_NS0_12zip_iteratorINS5_IJN6thrust23THRUST_200600_302600_NS6detail15normal_iteratorINSC_10device_ptrIKsEEEESI_EEEEESK_NSA_INS5_IJNSC_16discard_iteratorINSC_11use_defaultEEESN_EEEEEPS7_SQ_SQ_NSC_11hip_rocprim7__merge17predicate_wrapperIssNSC_4lessIsEEEEEE10hipError_tPvRmT0_T1_T2_T3_T4_T5_mmT6_P12ihipStream_tbEUlT_E0_NS1_11comp_targetILNS1_3genE9ELNS1_11target_archE1100ELNS1_3gpuE3ELNS1_3repE0EEENS1_30default_config_static_selectorELNS0_4arch9wavefront6targetE0EEEvS11_
; %bb.0:
	.section	.rodata,"a",@progbits
	.p2align	6, 0x0
	.amdhsa_kernel _ZN7rocprim17ROCPRIM_400000_NS6detail17trampoline_kernelINS0_14default_configENS1_21merge_config_selectorINS0_5tupleIJssEEENS0_10empty_typeEEEZNS1_10merge_implIS3_NS0_12zip_iteratorINS5_IJN6thrust23THRUST_200600_302600_NS6detail15normal_iteratorINSC_10device_ptrIKsEEEESI_EEEEESK_NSA_INS5_IJNSC_16discard_iteratorINSC_11use_defaultEEESN_EEEEEPS7_SQ_SQ_NSC_11hip_rocprim7__merge17predicate_wrapperIssNSC_4lessIsEEEEEE10hipError_tPvRmT0_T1_T2_T3_T4_T5_mmT6_P12ihipStream_tbEUlT_E0_NS1_11comp_targetILNS1_3genE9ELNS1_11target_archE1100ELNS1_3gpuE3ELNS1_3repE0EEENS1_30default_config_static_selectorELNS0_4arch9wavefront6targetE0EEEvS11_
		.amdhsa_group_segment_fixed_size 0
		.amdhsa_private_segment_fixed_size 0
		.amdhsa_kernarg_size 128
		.amdhsa_user_sgpr_count 2
		.amdhsa_user_sgpr_dispatch_ptr 0
		.amdhsa_user_sgpr_queue_ptr 0
		.amdhsa_user_sgpr_kernarg_segment_ptr 1
		.amdhsa_user_sgpr_dispatch_id 0
		.amdhsa_user_sgpr_kernarg_preload_length 0
		.amdhsa_user_sgpr_kernarg_preload_offset 0
		.amdhsa_user_sgpr_private_segment_size 0
		.amdhsa_wavefront_size32 1
		.amdhsa_uses_dynamic_stack 0
		.amdhsa_enable_private_segment 0
		.amdhsa_system_sgpr_workgroup_id_x 1
		.amdhsa_system_sgpr_workgroup_id_y 0
		.amdhsa_system_sgpr_workgroup_id_z 0
		.amdhsa_system_sgpr_workgroup_info 0
		.amdhsa_system_vgpr_workitem_id 0
		.amdhsa_next_free_vgpr 1
		.amdhsa_next_free_sgpr 1
		.amdhsa_named_barrier_count 0
		.amdhsa_reserve_vcc 0
		.amdhsa_float_round_mode_32 0
		.amdhsa_float_round_mode_16_64 0
		.amdhsa_float_denorm_mode_32 3
		.amdhsa_float_denorm_mode_16_64 3
		.amdhsa_fp16_overflow 0
		.amdhsa_memory_ordered 1
		.amdhsa_forward_progress 1
		.amdhsa_inst_pref_size 0
		.amdhsa_round_robin_scheduling 0
		.amdhsa_exception_fp_ieee_invalid_op 0
		.amdhsa_exception_fp_denorm_src 0
		.amdhsa_exception_fp_ieee_div_zero 0
		.amdhsa_exception_fp_ieee_overflow 0
		.amdhsa_exception_fp_ieee_underflow 0
		.amdhsa_exception_fp_ieee_inexact 0
		.amdhsa_exception_int_div_zero 0
	.end_amdhsa_kernel
	.section	.text._ZN7rocprim17ROCPRIM_400000_NS6detail17trampoline_kernelINS0_14default_configENS1_21merge_config_selectorINS0_5tupleIJssEEENS0_10empty_typeEEEZNS1_10merge_implIS3_NS0_12zip_iteratorINS5_IJN6thrust23THRUST_200600_302600_NS6detail15normal_iteratorINSC_10device_ptrIKsEEEESI_EEEEESK_NSA_INS5_IJNSC_16discard_iteratorINSC_11use_defaultEEESN_EEEEEPS7_SQ_SQ_NSC_11hip_rocprim7__merge17predicate_wrapperIssNSC_4lessIsEEEEEE10hipError_tPvRmT0_T1_T2_T3_T4_T5_mmT6_P12ihipStream_tbEUlT_E0_NS1_11comp_targetILNS1_3genE9ELNS1_11target_archE1100ELNS1_3gpuE3ELNS1_3repE0EEENS1_30default_config_static_selectorELNS0_4arch9wavefront6targetE0EEEvS11_,"axG",@progbits,_ZN7rocprim17ROCPRIM_400000_NS6detail17trampoline_kernelINS0_14default_configENS1_21merge_config_selectorINS0_5tupleIJssEEENS0_10empty_typeEEEZNS1_10merge_implIS3_NS0_12zip_iteratorINS5_IJN6thrust23THRUST_200600_302600_NS6detail15normal_iteratorINSC_10device_ptrIKsEEEESI_EEEEESK_NSA_INS5_IJNSC_16discard_iteratorINSC_11use_defaultEEESN_EEEEEPS7_SQ_SQ_NSC_11hip_rocprim7__merge17predicate_wrapperIssNSC_4lessIsEEEEEE10hipError_tPvRmT0_T1_T2_T3_T4_T5_mmT6_P12ihipStream_tbEUlT_E0_NS1_11comp_targetILNS1_3genE9ELNS1_11target_archE1100ELNS1_3gpuE3ELNS1_3repE0EEENS1_30default_config_static_selectorELNS0_4arch9wavefront6targetE0EEEvS11_,comdat
.Lfunc_end621:
	.size	_ZN7rocprim17ROCPRIM_400000_NS6detail17trampoline_kernelINS0_14default_configENS1_21merge_config_selectorINS0_5tupleIJssEEENS0_10empty_typeEEEZNS1_10merge_implIS3_NS0_12zip_iteratorINS5_IJN6thrust23THRUST_200600_302600_NS6detail15normal_iteratorINSC_10device_ptrIKsEEEESI_EEEEESK_NSA_INS5_IJNSC_16discard_iteratorINSC_11use_defaultEEESN_EEEEEPS7_SQ_SQ_NSC_11hip_rocprim7__merge17predicate_wrapperIssNSC_4lessIsEEEEEE10hipError_tPvRmT0_T1_T2_T3_T4_T5_mmT6_P12ihipStream_tbEUlT_E0_NS1_11comp_targetILNS1_3genE9ELNS1_11target_archE1100ELNS1_3gpuE3ELNS1_3repE0EEENS1_30default_config_static_selectorELNS0_4arch9wavefront6targetE0EEEvS11_, .Lfunc_end621-_ZN7rocprim17ROCPRIM_400000_NS6detail17trampoline_kernelINS0_14default_configENS1_21merge_config_selectorINS0_5tupleIJssEEENS0_10empty_typeEEEZNS1_10merge_implIS3_NS0_12zip_iteratorINS5_IJN6thrust23THRUST_200600_302600_NS6detail15normal_iteratorINSC_10device_ptrIKsEEEESI_EEEEESK_NSA_INS5_IJNSC_16discard_iteratorINSC_11use_defaultEEESN_EEEEEPS7_SQ_SQ_NSC_11hip_rocprim7__merge17predicate_wrapperIssNSC_4lessIsEEEEEE10hipError_tPvRmT0_T1_T2_T3_T4_T5_mmT6_P12ihipStream_tbEUlT_E0_NS1_11comp_targetILNS1_3genE9ELNS1_11target_archE1100ELNS1_3gpuE3ELNS1_3repE0EEENS1_30default_config_static_selectorELNS0_4arch9wavefront6targetE0EEEvS11_
                                        ; -- End function
	.set _ZN7rocprim17ROCPRIM_400000_NS6detail17trampoline_kernelINS0_14default_configENS1_21merge_config_selectorINS0_5tupleIJssEEENS0_10empty_typeEEEZNS1_10merge_implIS3_NS0_12zip_iteratorINS5_IJN6thrust23THRUST_200600_302600_NS6detail15normal_iteratorINSC_10device_ptrIKsEEEESI_EEEEESK_NSA_INS5_IJNSC_16discard_iteratorINSC_11use_defaultEEESN_EEEEEPS7_SQ_SQ_NSC_11hip_rocprim7__merge17predicate_wrapperIssNSC_4lessIsEEEEEE10hipError_tPvRmT0_T1_T2_T3_T4_T5_mmT6_P12ihipStream_tbEUlT_E0_NS1_11comp_targetILNS1_3genE9ELNS1_11target_archE1100ELNS1_3gpuE3ELNS1_3repE0EEENS1_30default_config_static_selectorELNS0_4arch9wavefront6targetE0EEEvS11_.num_vgpr, 0
	.set _ZN7rocprim17ROCPRIM_400000_NS6detail17trampoline_kernelINS0_14default_configENS1_21merge_config_selectorINS0_5tupleIJssEEENS0_10empty_typeEEEZNS1_10merge_implIS3_NS0_12zip_iteratorINS5_IJN6thrust23THRUST_200600_302600_NS6detail15normal_iteratorINSC_10device_ptrIKsEEEESI_EEEEESK_NSA_INS5_IJNSC_16discard_iteratorINSC_11use_defaultEEESN_EEEEEPS7_SQ_SQ_NSC_11hip_rocprim7__merge17predicate_wrapperIssNSC_4lessIsEEEEEE10hipError_tPvRmT0_T1_T2_T3_T4_T5_mmT6_P12ihipStream_tbEUlT_E0_NS1_11comp_targetILNS1_3genE9ELNS1_11target_archE1100ELNS1_3gpuE3ELNS1_3repE0EEENS1_30default_config_static_selectorELNS0_4arch9wavefront6targetE0EEEvS11_.num_agpr, 0
	.set _ZN7rocprim17ROCPRIM_400000_NS6detail17trampoline_kernelINS0_14default_configENS1_21merge_config_selectorINS0_5tupleIJssEEENS0_10empty_typeEEEZNS1_10merge_implIS3_NS0_12zip_iteratorINS5_IJN6thrust23THRUST_200600_302600_NS6detail15normal_iteratorINSC_10device_ptrIKsEEEESI_EEEEESK_NSA_INS5_IJNSC_16discard_iteratorINSC_11use_defaultEEESN_EEEEEPS7_SQ_SQ_NSC_11hip_rocprim7__merge17predicate_wrapperIssNSC_4lessIsEEEEEE10hipError_tPvRmT0_T1_T2_T3_T4_T5_mmT6_P12ihipStream_tbEUlT_E0_NS1_11comp_targetILNS1_3genE9ELNS1_11target_archE1100ELNS1_3gpuE3ELNS1_3repE0EEENS1_30default_config_static_selectorELNS0_4arch9wavefront6targetE0EEEvS11_.numbered_sgpr, 0
	.set _ZN7rocprim17ROCPRIM_400000_NS6detail17trampoline_kernelINS0_14default_configENS1_21merge_config_selectorINS0_5tupleIJssEEENS0_10empty_typeEEEZNS1_10merge_implIS3_NS0_12zip_iteratorINS5_IJN6thrust23THRUST_200600_302600_NS6detail15normal_iteratorINSC_10device_ptrIKsEEEESI_EEEEESK_NSA_INS5_IJNSC_16discard_iteratorINSC_11use_defaultEEESN_EEEEEPS7_SQ_SQ_NSC_11hip_rocprim7__merge17predicate_wrapperIssNSC_4lessIsEEEEEE10hipError_tPvRmT0_T1_T2_T3_T4_T5_mmT6_P12ihipStream_tbEUlT_E0_NS1_11comp_targetILNS1_3genE9ELNS1_11target_archE1100ELNS1_3gpuE3ELNS1_3repE0EEENS1_30default_config_static_selectorELNS0_4arch9wavefront6targetE0EEEvS11_.num_named_barrier, 0
	.set _ZN7rocprim17ROCPRIM_400000_NS6detail17trampoline_kernelINS0_14default_configENS1_21merge_config_selectorINS0_5tupleIJssEEENS0_10empty_typeEEEZNS1_10merge_implIS3_NS0_12zip_iteratorINS5_IJN6thrust23THRUST_200600_302600_NS6detail15normal_iteratorINSC_10device_ptrIKsEEEESI_EEEEESK_NSA_INS5_IJNSC_16discard_iteratorINSC_11use_defaultEEESN_EEEEEPS7_SQ_SQ_NSC_11hip_rocprim7__merge17predicate_wrapperIssNSC_4lessIsEEEEEE10hipError_tPvRmT0_T1_T2_T3_T4_T5_mmT6_P12ihipStream_tbEUlT_E0_NS1_11comp_targetILNS1_3genE9ELNS1_11target_archE1100ELNS1_3gpuE3ELNS1_3repE0EEENS1_30default_config_static_selectorELNS0_4arch9wavefront6targetE0EEEvS11_.private_seg_size, 0
	.set _ZN7rocprim17ROCPRIM_400000_NS6detail17trampoline_kernelINS0_14default_configENS1_21merge_config_selectorINS0_5tupleIJssEEENS0_10empty_typeEEEZNS1_10merge_implIS3_NS0_12zip_iteratorINS5_IJN6thrust23THRUST_200600_302600_NS6detail15normal_iteratorINSC_10device_ptrIKsEEEESI_EEEEESK_NSA_INS5_IJNSC_16discard_iteratorINSC_11use_defaultEEESN_EEEEEPS7_SQ_SQ_NSC_11hip_rocprim7__merge17predicate_wrapperIssNSC_4lessIsEEEEEE10hipError_tPvRmT0_T1_T2_T3_T4_T5_mmT6_P12ihipStream_tbEUlT_E0_NS1_11comp_targetILNS1_3genE9ELNS1_11target_archE1100ELNS1_3gpuE3ELNS1_3repE0EEENS1_30default_config_static_selectorELNS0_4arch9wavefront6targetE0EEEvS11_.uses_vcc, 0
	.set _ZN7rocprim17ROCPRIM_400000_NS6detail17trampoline_kernelINS0_14default_configENS1_21merge_config_selectorINS0_5tupleIJssEEENS0_10empty_typeEEEZNS1_10merge_implIS3_NS0_12zip_iteratorINS5_IJN6thrust23THRUST_200600_302600_NS6detail15normal_iteratorINSC_10device_ptrIKsEEEESI_EEEEESK_NSA_INS5_IJNSC_16discard_iteratorINSC_11use_defaultEEESN_EEEEEPS7_SQ_SQ_NSC_11hip_rocprim7__merge17predicate_wrapperIssNSC_4lessIsEEEEEE10hipError_tPvRmT0_T1_T2_T3_T4_T5_mmT6_P12ihipStream_tbEUlT_E0_NS1_11comp_targetILNS1_3genE9ELNS1_11target_archE1100ELNS1_3gpuE3ELNS1_3repE0EEENS1_30default_config_static_selectorELNS0_4arch9wavefront6targetE0EEEvS11_.uses_flat_scratch, 0
	.set _ZN7rocprim17ROCPRIM_400000_NS6detail17trampoline_kernelINS0_14default_configENS1_21merge_config_selectorINS0_5tupleIJssEEENS0_10empty_typeEEEZNS1_10merge_implIS3_NS0_12zip_iteratorINS5_IJN6thrust23THRUST_200600_302600_NS6detail15normal_iteratorINSC_10device_ptrIKsEEEESI_EEEEESK_NSA_INS5_IJNSC_16discard_iteratorINSC_11use_defaultEEESN_EEEEEPS7_SQ_SQ_NSC_11hip_rocprim7__merge17predicate_wrapperIssNSC_4lessIsEEEEEE10hipError_tPvRmT0_T1_T2_T3_T4_T5_mmT6_P12ihipStream_tbEUlT_E0_NS1_11comp_targetILNS1_3genE9ELNS1_11target_archE1100ELNS1_3gpuE3ELNS1_3repE0EEENS1_30default_config_static_selectorELNS0_4arch9wavefront6targetE0EEEvS11_.has_dyn_sized_stack, 0
	.set _ZN7rocprim17ROCPRIM_400000_NS6detail17trampoline_kernelINS0_14default_configENS1_21merge_config_selectorINS0_5tupleIJssEEENS0_10empty_typeEEEZNS1_10merge_implIS3_NS0_12zip_iteratorINS5_IJN6thrust23THRUST_200600_302600_NS6detail15normal_iteratorINSC_10device_ptrIKsEEEESI_EEEEESK_NSA_INS5_IJNSC_16discard_iteratorINSC_11use_defaultEEESN_EEEEEPS7_SQ_SQ_NSC_11hip_rocprim7__merge17predicate_wrapperIssNSC_4lessIsEEEEEE10hipError_tPvRmT0_T1_T2_T3_T4_T5_mmT6_P12ihipStream_tbEUlT_E0_NS1_11comp_targetILNS1_3genE9ELNS1_11target_archE1100ELNS1_3gpuE3ELNS1_3repE0EEENS1_30default_config_static_selectorELNS0_4arch9wavefront6targetE0EEEvS11_.has_recursion, 0
	.set _ZN7rocprim17ROCPRIM_400000_NS6detail17trampoline_kernelINS0_14default_configENS1_21merge_config_selectorINS0_5tupleIJssEEENS0_10empty_typeEEEZNS1_10merge_implIS3_NS0_12zip_iteratorINS5_IJN6thrust23THRUST_200600_302600_NS6detail15normal_iteratorINSC_10device_ptrIKsEEEESI_EEEEESK_NSA_INS5_IJNSC_16discard_iteratorINSC_11use_defaultEEESN_EEEEEPS7_SQ_SQ_NSC_11hip_rocprim7__merge17predicate_wrapperIssNSC_4lessIsEEEEEE10hipError_tPvRmT0_T1_T2_T3_T4_T5_mmT6_P12ihipStream_tbEUlT_E0_NS1_11comp_targetILNS1_3genE9ELNS1_11target_archE1100ELNS1_3gpuE3ELNS1_3repE0EEENS1_30default_config_static_selectorELNS0_4arch9wavefront6targetE0EEEvS11_.has_indirect_call, 0
	.section	.AMDGPU.csdata,"",@progbits
; Kernel info:
; codeLenInByte = 0
; TotalNumSgprs: 0
; NumVgprs: 0
; ScratchSize: 0
; MemoryBound: 0
; FloatMode: 240
; IeeeMode: 1
; LDSByteSize: 0 bytes/workgroup (compile time only)
; SGPRBlocks: 0
; VGPRBlocks: 0
; NumSGPRsForWavesPerEU: 1
; NumVGPRsForWavesPerEU: 1
; NamedBarCnt: 0
; Occupancy: 16
; WaveLimiterHint : 0
; COMPUTE_PGM_RSRC2:SCRATCH_EN: 0
; COMPUTE_PGM_RSRC2:USER_SGPR: 2
; COMPUTE_PGM_RSRC2:TRAP_HANDLER: 0
; COMPUTE_PGM_RSRC2:TGID_X_EN: 1
; COMPUTE_PGM_RSRC2:TGID_Y_EN: 0
; COMPUTE_PGM_RSRC2:TGID_Z_EN: 0
; COMPUTE_PGM_RSRC2:TIDIG_COMP_CNT: 0
	.section	.text._ZN7rocprim17ROCPRIM_400000_NS6detail17trampoline_kernelINS0_14default_configENS1_21merge_config_selectorINS0_5tupleIJssEEENS0_10empty_typeEEEZNS1_10merge_implIS3_NS0_12zip_iteratorINS5_IJN6thrust23THRUST_200600_302600_NS6detail15normal_iteratorINSC_10device_ptrIKsEEEESI_EEEEESK_NSA_INS5_IJNSC_16discard_iteratorINSC_11use_defaultEEESN_EEEEEPS7_SQ_SQ_NSC_11hip_rocprim7__merge17predicate_wrapperIssNSC_4lessIsEEEEEE10hipError_tPvRmT0_T1_T2_T3_T4_T5_mmT6_P12ihipStream_tbEUlT_E0_NS1_11comp_targetILNS1_3genE8ELNS1_11target_archE1030ELNS1_3gpuE2ELNS1_3repE0EEENS1_30default_config_static_selectorELNS0_4arch9wavefront6targetE0EEEvS11_,"axG",@progbits,_ZN7rocprim17ROCPRIM_400000_NS6detail17trampoline_kernelINS0_14default_configENS1_21merge_config_selectorINS0_5tupleIJssEEENS0_10empty_typeEEEZNS1_10merge_implIS3_NS0_12zip_iteratorINS5_IJN6thrust23THRUST_200600_302600_NS6detail15normal_iteratorINSC_10device_ptrIKsEEEESI_EEEEESK_NSA_INS5_IJNSC_16discard_iteratorINSC_11use_defaultEEESN_EEEEEPS7_SQ_SQ_NSC_11hip_rocprim7__merge17predicate_wrapperIssNSC_4lessIsEEEEEE10hipError_tPvRmT0_T1_T2_T3_T4_T5_mmT6_P12ihipStream_tbEUlT_E0_NS1_11comp_targetILNS1_3genE8ELNS1_11target_archE1030ELNS1_3gpuE2ELNS1_3repE0EEENS1_30default_config_static_selectorELNS0_4arch9wavefront6targetE0EEEvS11_,comdat
	.protected	_ZN7rocprim17ROCPRIM_400000_NS6detail17trampoline_kernelINS0_14default_configENS1_21merge_config_selectorINS0_5tupleIJssEEENS0_10empty_typeEEEZNS1_10merge_implIS3_NS0_12zip_iteratorINS5_IJN6thrust23THRUST_200600_302600_NS6detail15normal_iteratorINSC_10device_ptrIKsEEEESI_EEEEESK_NSA_INS5_IJNSC_16discard_iteratorINSC_11use_defaultEEESN_EEEEEPS7_SQ_SQ_NSC_11hip_rocprim7__merge17predicate_wrapperIssNSC_4lessIsEEEEEE10hipError_tPvRmT0_T1_T2_T3_T4_T5_mmT6_P12ihipStream_tbEUlT_E0_NS1_11comp_targetILNS1_3genE8ELNS1_11target_archE1030ELNS1_3gpuE2ELNS1_3repE0EEENS1_30default_config_static_selectorELNS0_4arch9wavefront6targetE0EEEvS11_ ; -- Begin function _ZN7rocprim17ROCPRIM_400000_NS6detail17trampoline_kernelINS0_14default_configENS1_21merge_config_selectorINS0_5tupleIJssEEENS0_10empty_typeEEEZNS1_10merge_implIS3_NS0_12zip_iteratorINS5_IJN6thrust23THRUST_200600_302600_NS6detail15normal_iteratorINSC_10device_ptrIKsEEEESI_EEEEESK_NSA_INS5_IJNSC_16discard_iteratorINSC_11use_defaultEEESN_EEEEEPS7_SQ_SQ_NSC_11hip_rocprim7__merge17predicate_wrapperIssNSC_4lessIsEEEEEE10hipError_tPvRmT0_T1_T2_T3_T4_T5_mmT6_P12ihipStream_tbEUlT_E0_NS1_11comp_targetILNS1_3genE8ELNS1_11target_archE1030ELNS1_3gpuE2ELNS1_3repE0EEENS1_30default_config_static_selectorELNS0_4arch9wavefront6targetE0EEEvS11_
	.globl	_ZN7rocprim17ROCPRIM_400000_NS6detail17trampoline_kernelINS0_14default_configENS1_21merge_config_selectorINS0_5tupleIJssEEENS0_10empty_typeEEEZNS1_10merge_implIS3_NS0_12zip_iteratorINS5_IJN6thrust23THRUST_200600_302600_NS6detail15normal_iteratorINSC_10device_ptrIKsEEEESI_EEEEESK_NSA_INS5_IJNSC_16discard_iteratorINSC_11use_defaultEEESN_EEEEEPS7_SQ_SQ_NSC_11hip_rocprim7__merge17predicate_wrapperIssNSC_4lessIsEEEEEE10hipError_tPvRmT0_T1_T2_T3_T4_T5_mmT6_P12ihipStream_tbEUlT_E0_NS1_11comp_targetILNS1_3genE8ELNS1_11target_archE1030ELNS1_3gpuE2ELNS1_3repE0EEENS1_30default_config_static_selectorELNS0_4arch9wavefront6targetE0EEEvS11_
	.p2align	8
	.type	_ZN7rocprim17ROCPRIM_400000_NS6detail17trampoline_kernelINS0_14default_configENS1_21merge_config_selectorINS0_5tupleIJssEEENS0_10empty_typeEEEZNS1_10merge_implIS3_NS0_12zip_iteratorINS5_IJN6thrust23THRUST_200600_302600_NS6detail15normal_iteratorINSC_10device_ptrIKsEEEESI_EEEEESK_NSA_INS5_IJNSC_16discard_iteratorINSC_11use_defaultEEESN_EEEEEPS7_SQ_SQ_NSC_11hip_rocprim7__merge17predicate_wrapperIssNSC_4lessIsEEEEEE10hipError_tPvRmT0_T1_T2_T3_T4_T5_mmT6_P12ihipStream_tbEUlT_E0_NS1_11comp_targetILNS1_3genE8ELNS1_11target_archE1030ELNS1_3gpuE2ELNS1_3repE0EEENS1_30default_config_static_selectorELNS0_4arch9wavefront6targetE0EEEvS11_,@function
_ZN7rocprim17ROCPRIM_400000_NS6detail17trampoline_kernelINS0_14default_configENS1_21merge_config_selectorINS0_5tupleIJssEEENS0_10empty_typeEEEZNS1_10merge_implIS3_NS0_12zip_iteratorINS5_IJN6thrust23THRUST_200600_302600_NS6detail15normal_iteratorINSC_10device_ptrIKsEEEESI_EEEEESK_NSA_INS5_IJNSC_16discard_iteratorINSC_11use_defaultEEESN_EEEEEPS7_SQ_SQ_NSC_11hip_rocprim7__merge17predicate_wrapperIssNSC_4lessIsEEEEEE10hipError_tPvRmT0_T1_T2_T3_T4_T5_mmT6_P12ihipStream_tbEUlT_E0_NS1_11comp_targetILNS1_3genE8ELNS1_11target_archE1030ELNS1_3gpuE2ELNS1_3repE0EEENS1_30default_config_static_selectorELNS0_4arch9wavefront6targetE0EEEvS11_: ; @_ZN7rocprim17ROCPRIM_400000_NS6detail17trampoline_kernelINS0_14default_configENS1_21merge_config_selectorINS0_5tupleIJssEEENS0_10empty_typeEEEZNS1_10merge_implIS3_NS0_12zip_iteratorINS5_IJN6thrust23THRUST_200600_302600_NS6detail15normal_iteratorINSC_10device_ptrIKsEEEESI_EEEEESK_NSA_INS5_IJNSC_16discard_iteratorINSC_11use_defaultEEESN_EEEEEPS7_SQ_SQ_NSC_11hip_rocprim7__merge17predicate_wrapperIssNSC_4lessIsEEEEEE10hipError_tPvRmT0_T1_T2_T3_T4_T5_mmT6_P12ihipStream_tbEUlT_E0_NS1_11comp_targetILNS1_3genE8ELNS1_11target_archE1030ELNS1_3gpuE2ELNS1_3repE0EEENS1_30default_config_static_selectorELNS0_4arch9wavefront6targetE0EEEvS11_
; %bb.0:
	.section	.rodata,"a",@progbits
	.p2align	6, 0x0
	.amdhsa_kernel _ZN7rocprim17ROCPRIM_400000_NS6detail17trampoline_kernelINS0_14default_configENS1_21merge_config_selectorINS0_5tupleIJssEEENS0_10empty_typeEEEZNS1_10merge_implIS3_NS0_12zip_iteratorINS5_IJN6thrust23THRUST_200600_302600_NS6detail15normal_iteratorINSC_10device_ptrIKsEEEESI_EEEEESK_NSA_INS5_IJNSC_16discard_iteratorINSC_11use_defaultEEESN_EEEEEPS7_SQ_SQ_NSC_11hip_rocprim7__merge17predicate_wrapperIssNSC_4lessIsEEEEEE10hipError_tPvRmT0_T1_T2_T3_T4_T5_mmT6_P12ihipStream_tbEUlT_E0_NS1_11comp_targetILNS1_3genE8ELNS1_11target_archE1030ELNS1_3gpuE2ELNS1_3repE0EEENS1_30default_config_static_selectorELNS0_4arch9wavefront6targetE0EEEvS11_
		.amdhsa_group_segment_fixed_size 0
		.amdhsa_private_segment_fixed_size 0
		.amdhsa_kernarg_size 128
		.amdhsa_user_sgpr_count 2
		.amdhsa_user_sgpr_dispatch_ptr 0
		.amdhsa_user_sgpr_queue_ptr 0
		.amdhsa_user_sgpr_kernarg_segment_ptr 1
		.amdhsa_user_sgpr_dispatch_id 0
		.amdhsa_user_sgpr_kernarg_preload_length 0
		.amdhsa_user_sgpr_kernarg_preload_offset 0
		.amdhsa_user_sgpr_private_segment_size 0
		.amdhsa_wavefront_size32 1
		.amdhsa_uses_dynamic_stack 0
		.amdhsa_enable_private_segment 0
		.amdhsa_system_sgpr_workgroup_id_x 1
		.amdhsa_system_sgpr_workgroup_id_y 0
		.amdhsa_system_sgpr_workgroup_id_z 0
		.amdhsa_system_sgpr_workgroup_info 0
		.amdhsa_system_vgpr_workitem_id 0
		.amdhsa_next_free_vgpr 1
		.amdhsa_next_free_sgpr 1
		.amdhsa_named_barrier_count 0
		.amdhsa_reserve_vcc 0
		.amdhsa_float_round_mode_32 0
		.amdhsa_float_round_mode_16_64 0
		.amdhsa_float_denorm_mode_32 3
		.amdhsa_float_denorm_mode_16_64 3
		.amdhsa_fp16_overflow 0
		.amdhsa_memory_ordered 1
		.amdhsa_forward_progress 1
		.amdhsa_inst_pref_size 0
		.amdhsa_round_robin_scheduling 0
		.amdhsa_exception_fp_ieee_invalid_op 0
		.amdhsa_exception_fp_denorm_src 0
		.amdhsa_exception_fp_ieee_div_zero 0
		.amdhsa_exception_fp_ieee_overflow 0
		.amdhsa_exception_fp_ieee_underflow 0
		.amdhsa_exception_fp_ieee_inexact 0
		.amdhsa_exception_int_div_zero 0
	.end_amdhsa_kernel
	.section	.text._ZN7rocprim17ROCPRIM_400000_NS6detail17trampoline_kernelINS0_14default_configENS1_21merge_config_selectorINS0_5tupleIJssEEENS0_10empty_typeEEEZNS1_10merge_implIS3_NS0_12zip_iteratorINS5_IJN6thrust23THRUST_200600_302600_NS6detail15normal_iteratorINSC_10device_ptrIKsEEEESI_EEEEESK_NSA_INS5_IJNSC_16discard_iteratorINSC_11use_defaultEEESN_EEEEEPS7_SQ_SQ_NSC_11hip_rocprim7__merge17predicate_wrapperIssNSC_4lessIsEEEEEE10hipError_tPvRmT0_T1_T2_T3_T4_T5_mmT6_P12ihipStream_tbEUlT_E0_NS1_11comp_targetILNS1_3genE8ELNS1_11target_archE1030ELNS1_3gpuE2ELNS1_3repE0EEENS1_30default_config_static_selectorELNS0_4arch9wavefront6targetE0EEEvS11_,"axG",@progbits,_ZN7rocprim17ROCPRIM_400000_NS6detail17trampoline_kernelINS0_14default_configENS1_21merge_config_selectorINS0_5tupleIJssEEENS0_10empty_typeEEEZNS1_10merge_implIS3_NS0_12zip_iteratorINS5_IJN6thrust23THRUST_200600_302600_NS6detail15normal_iteratorINSC_10device_ptrIKsEEEESI_EEEEESK_NSA_INS5_IJNSC_16discard_iteratorINSC_11use_defaultEEESN_EEEEEPS7_SQ_SQ_NSC_11hip_rocprim7__merge17predicate_wrapperIssNSC_4lessIsEEEEEE10hipError_tPvRmT0_T1_T2_T3_T4_T5_mmT6_P12ihipStream_tbEUlT_E0_NS1_11comp_targetILNS1_3genE8ELNS1_11target_archE1030ELNS1_3gpuE2ELNS1_3repE0EEENS1_30default_config_static_selectorELNS0_4arch9wavefront6targetE0EEEvS11_,comdat
.Lfunc_end622:
	.size	_ZN7rocprim17ROCPRIM_400000_NS6detail17trampoline_kernelINS0_14default_configENS1_21merge_config_selectorINS0_5tupleIJssEEENS0_10empty_typeEEEZNS1_10merge_implIS3_NS0_12zip_iteratorINS5_IJN6thrust23THRUST_200600_302600_NS6detail15normal_iteratorINSC_10device_ptrIKsEEEESI_EEEEESK_NSA_INS5_IJNSC_16discard_iteratorINSC_11use_defaultEEESN_EEEEEPS7_SQ_SQ_NSC_11hip_rocprim7__merge17predicate_wrapperIssNSC_4lessIsEEEEEE10hipError_tPvRmT0_T1_T2_T3_T4_T5_mmT6_P12ihipStream_tbEUlT_E0_NS1_11comp_targetILNS1_3genE8ELNS1_11target_archE1030ELNS1_3gpuE2ELNS1_3repE0EEENS1_30default_config_static_selectorELNS0_4arch9wavefront6targetE0EEEvS11_, .Lfunc_end622-_ZN7rocprim17ROCPRIM_400000_NS6detail17trampoline_kernelINS0_14default_configENS1_21merge_config_selectorINS0_5tupleIJssEEENS0_10empty_typeEEEZNS1_10merge_implIS3_NS0_12zip_iteratorINS5_IJN6thrust23THRUST_200600_302600_NS6detail15normal_iteratorINSC_10device_ptrIKsEEEESI_EEEEESK_NSA_INS5_IJNSC_16discard_iteratorINSC_11use_defaultEEESN_EEEEEPS7_SQ_SQ_NSC_11hip_rocprim7__merge17predicate_wrapperIssNSC_4lessIsEEEEEE10hipError_tPvRmT0_T1_T2_T3_T4_T5_mmT6_P12ihipStream_tbEUlT_E0_NS1_11comp_targetILNS1_3genE8ELNS1_11target_archE1030ELNS1_3gpuE2ELNS1_3repE0EEENS1_30default_config_static_selectorELNS0_4arch9wavefront6targetE0EEEvS11_
                                        ; -- End function
	.set _ZN7rocprim17ROCPRIM_400000_NS6detail17trampoline_kernelINS0_14default_configENS1_21merge_config_selectorINS0_5tupleIJssEEENS0_10empty_typeEEEZNS1_10merge_implIS3_NS0_12zip_iteratorINS5_IJN6thrust23THRUST_200600_302600_NS6detail15normal_iteratorINSC_10device_ptrIKsEEEESI_EEEEESK_NSA_INS5_IJNSC_16discard_iteratorINSC_11use_defaultEEESN_EEEEEPS7_SQ_SQ_NSC_11hip_rocprim7__merge17predicate_wrapperIssNSC_4lessIsEEEEEE10hipError_tPvRmT0_T1_T2_T3_T4_T5_mmT6_P12ihipStream_tbEUlT_E0_NS1_11comp_targetILNS1_3genE8ELNS1_11target_archE1030ELNS1_3gpuE2ELNS1_3repE0EEENS1_30default_config_static_selectorELNS0_4arch9wavefront6targetE0EEEvS11_.num_vgpr, 0
	.set _ZN7rocprim17ROCPRIM_400000_NS6detail17trampoline_kernelINS0_14default_configENS1_21merge_config_selectorINS0_5tupleIJssEEENS0_10empty_typeEEEZNS1_10merge_implIS3_NS0_12zip_iteratorINS5_IJN6thrust23THRUST_200600_302600_NS6detail15normal_iteratorINSC_10device_ptrIKsEEEESI_EEEEESK_NSA_INS5_IJNSC_16discard_iteratorINSC_11use_defaultEEESN_EEEEEPS7_SQ_SQ_NSC_11hip_rocprim7__merge17predicate_wrapperIssNSC_4lessIsEEEEEE10hipError_tPvRmT0_T1_T2_T3_T4_T5_mmT6_P12ihipStream_tbEUlT_E0_NS1_11comp_targetILNS1_3genE8ELNS1_11target_archE1030ELNS1_3gpuE2ELNS1_3repE0EEENS1_30default_config_static_selectorELNS0_4arch9wavefront6targetE0EEEvS11_.num_agpr, 0
	.set _ZN7rocprim17ROCPRIM_400000_NS6detail17trampoline_kernelINS0_14default_configENS1_21merge_config_selectorINS0_5tupleIJssEEENS0_10empty_typeEEEZNS1_10merge_implIS3_NS0_12zip_iteratorINS5_IJN6thrust23THRUST_200600_302600_NS6detail15normal_iteratorINSC_10device_ptrIKsEEEESI_EEEEESK_NSA_INS5_IJNSC_16discard_iteratorINSC_11use_defaultEEESN_EEEEEPS7_SQ_SQ_NSC_11hip_rocprim7__merge17predicate_wrapperIssNSC_4lessIsEEEEEE10hipError_tPvRmT0_T1_T2_T3_T4_T5_mmT6_P12ihipStream_tbEUlT_E0_NS1_11comp_targetILNS1_3genE8ELNS1_11target_archE1030ELNS1_3gpuE2ELNS1_3repE0EEENS1_30default_config_static_selectorELNS0_4arch9wavefront6targetE0EEEvS11_.numbered_sgpr, 0
	.set _ZN7rocprim17ROCPRIM_400000_NS6detail17trampoline_kernelINS0_14default_configENS1_21merge_config_selectorINS0_5tupleIJssEEENS0_10empty_typeEEEZNS1_10merge_implIS3_NS0_12zip_iteratorINS5_IJN6thrust23THRUST_200600_302600_NS6detail15normal_iteratorINSC_10device_ptrIKsEEEESI_EEEEESK_NSA_INS5_IJNSC_16discard_iteratorINSC_11use_defaultEEESN_EEEEEPS7_SQ_SQ_NSC_11hip_rocprim7__merge17predicate_wrapperIssNSC_4lessIsEEEEEE10hipError_tPvRmT0_T1_T2_T3_T4_T5_mmT6_P12ihipStream_tbEUlT_E0_NS1_11comp_targetILNS1_3genE8ELNS1_11target_archE1030ELNS1_3gpuE2ELNS1_3repE0EEENS1_30default_config_static_selectorELNS0_4arch9wavefront6targetE0EEEvS11_.num_named_barrier, 0
	.set _ZN7rocprim17ROCPRIM_400000_NS6detail17trampoline_kernelINS0_14default_configENS1_21merge_config_selectorINS0_5tupleIJssEEENS0_10empty_typeEEEZNS1_10merge_implIS3_NS0_12zip_iteratorINS5_IJN6thrust23THRUST_200600_302600_NS6detail15normal_iteratorINSC_10device_ptrIKsEEEESI_EEEEESK_NSA_INS5_IJNSC_16discard_iteratorINSC_11use_defaultEEESN_EEEEEPS7_SQ_SQ_NSC_11hip_rocprim7__merge17predicate_wrapperIssNSC_4lessIsEEEEEE10hipError_tPvRmT0_T1_T2_T3_T4_T5_mmT6_P12ihipStream_tbEUlT_E0_NS1_11comp_targetILNS1_3genE8ELNS1_11target_archE1030ELNS1_3gpuE2ELNS1_3repE0EEENS1_30default_config_static_selectorELNS0_4arch9wavefront6targetE0EEEvS11_.private_seg_size, 0
	.set _ZN7rocprim17ROCPRIM_400000_NS6detail17trampoline_kernelINS0_14default_configENS1_21merge_config_selectorINS0_5tupleIJssEEENS0_10empty_typeEEEZNS1_10merge_implIS3_NS0_12zip_iteratorINS5_IJN6thrust23THRUST_200600_302600_NS6detail15normal_iteratorINSC_10device_ptrIKsEEEESI_EEEEESK_NSA_INS5_IJNSC_16discard_iteratorINSC_11use_defaultEEESN_EEEEEPS7_SQ_SQ_NSC_11hip_rocprim7__merge17predicate_wrapperIssNSC_4lessIsEEEEEE10hipError_tPvRmT0_T1_T2_T3_T4_T5_mmT6_P12ihipStream_tbEUlT_E0_NS1_11comp_targetILNS1_3genE8ELNS1_11target_archE1030ELNS1_3gpuE2ELNS1_3repE0EEENS1_30default_config_static_selectorELNS0_4arch9wavefront6targetE0EEEvS11_.uses_vcc, 0
	.set _ZN7rocprim17ROCPRIM_400000_NS6detail17trampoline_kernelINS0_14default_configENS1_21merge_config_selectorINS0_5tupleIJssEEENS0_10empty_typeEEEZNS1_10merge_implIS3_NS0_12zip_iteratorINS5_IJN6thrust23THRUST_200600_302600_NS6detail15normal_iteratorINSC_10device_ptrIKsEEEESI_EEEEESK_NSA_INS5_IJNSC_16discard_iteratorINSC_11use_defaultEEESN_EEEEEPS7_SQ_SQ_NSC_11hip_rocprim7__merge17predicate_wrapperIssNSC_4lessIsEEEEEE10hipError_tPvRmT0_T1_T2_T3_T4_T5_mmT6_P12ihipStream_tbEUlT_E0_NS1_11comp_targetILNS1_3genE8ELNS1_11target_archE1030ELNS1_3gpuE2ELNS1_3repE0EEENS1_30default_config_static_selectorELNS0_4arch9wavefront6targetE0EEEvS11_.uses_flat_scratch, 0
	.set _ZN7rocprim17ROCPRIM_400000_NS6detail17trampoline_kernelINS0_14default_configENS1_21merge_config_selectorINS0_5tupleIJssEEENS0_10empty_typeEEEZNS1_10merge_implIS3_NS0_12zip_iteratorINS5_IJN6thrust23THRUST_200600_302600_NS6detail15normal_iteratorINSC_10device_ptrIKsEEEESI_EEEEESK_NSA_INS5_IJNSC_16discard_iteratorINSC_11use_defaultEEESN_EEEEEPS7_SQ_SQ_NSC_11hip_rocprim7__merge17predicate_wrapperIssNSC_4lessIsEEEEEE10hipError_tPvRmT0_T1_T2_T3_T4_T5_mmT6_P12ihipStream_tbEUlT_E0_NS1_11comp_targetILNS1_3genE8ELNS1_11target_archE1030ELNS1_3gpuE2ELNS1_3repE0EEENS1_30default_config_static_selectorELNS0_4arch9wavefront6targetE0EEEvS11_.has_dyn_sized_stack, 0
	.set _ZN7rocprim17ROCPRIM_400000_NS6detail17trampoline_kernelINS0_14default_configENS1_21merge_config_selectorINS0_5tupleIJssEEENS0_10empty_typeEEEZNS1_10merge_implIS3_NS0_12zip_iteratorINS5_IJN6thrust23THRUST_200600_302600_NS6detail15normal_iteratorINSC_10device_ptrIKsEEEESI_EEEEESK_NSA_INS5_IJNSC_16discard_iteratorINSC_11use_defaultEEESN_EEEEEPS7_SQ_SQ_NSC_11hip_rocprim7__merge17predicate_wrapperIssNSC_4lessIsEEEEEE10hipError_tPvRmT0_T1_T2_T3_T4_T5_mmT6_P12ihipStream_tbEUlT_E0_NS1_11comp_targetILNS1_3genE8ELNS1_11target_archE1030ELNS1_3gpuE2ELNS1_3repE0EEENS1_30default_config_static_selectorELNS0_4arch9wavefront6targetE0EEEvS11_.has_recursion, 0
	.set _ZN7rocprim17ROCPRIM_400000_NS6detail17trampoline_kernelINS0_14default_configENS1_21merge_config_selectorINS0_5tupleIJssEEENS0_10empty_typeEEEZNS1_10merge_implIS3_NS0_12zip_iteratorINS5_IJN6thrust23THRUST_200600_302600_NS6detail15normal_iteratorINSC_10device_ptrIKsEEEESI_EEEEESK_NSA_INS5_IJNSC_16discard_iteratorINSC_11use_defaultEEESN_EEEEEPS7_SQ_SQ_NSC_11hip_rocprim7__merge17predicate_wrapperIssNSC_4lessIsEEEEEE10hipError_tPvRmT0_T1_T2_T3_T4_T5_mmT6_P12ihipStream_tbEUlT_E0_NS1_11comp_targetILNS1_3genE8ELNS1_11target_archE1030ELNS1_3gpuE2ELNS1_3repE0EEENS1_30default_config_static_selectorELNS0_4arch9wavefront6targetE0EEEvS11_.has_indirect_call, 0
	.section	.AMDGPU.csdata,"",@progbits
; Kernel info:
; codeLenInByte = 0
; TotalNumSgprs: 0
; NumVgprs: 0
; ScratchSize: 0
; MemoryBound: 0
; FloatMode: 240
; IeeeMode: 1
; LDSByteSize: 0 bytes/workgroup (compile time only)
; SGPRBlocks: 0
; VGPRBlocks: 0
; NumSGPRsForWavesPerEU: 1
; NumVGPRsForWavesPerEU: 1
; NamedBarCnt: 0
; Occupancy: 16
; WaveLimiterHint : 0
; COMPUTE_PGM_RSRC2:SCRATCH_EN: 0
; COMPUTE_PGM_RSRC2:USER_SGPR: 2
; COMPUTE_PGM_RSRC2:TRAP_HANDLER: 0
; COMPUTE_PGM_RSRC2:TGID_X_EN: 1
; COMPUTE_PGM_RSRC2:TGID_Y_EN: 0
; COMPUTE_PGM_RSRC2:TGID_Z_EN: 0
; COMPUTE_PGM_RSRC2:TIDIG_COMP_CNT: 0
	.section	.text._Z16MergeByKeyKernelIiEviPT_S1_S1_S1_S1_S1_,"axG",@progbits,_Z16MergeByKeyKernelIiEviPT_S1_S1_S1_S1_S1_,comdat
	.protected	_Z16MergeByKeyKernelIiEviPT_S1_S1_S1_S1_S1_ ; -- Begin function _Z16MergeByKeyKernelIiEviPT_S1_S1_S1_S1_S1_
	.globl	_Z16MergeByKeyKernelIiEviPT_S1_S1_S1_S1_S1_
	.p2align	8
	.type	_Z16MergeByKeyKernelIiEviPT_S1_S1_S1_S1_S1_,@function
_Z16MergeByKeyKernelIiEviPT_S1_S1_S1_S1_S1_: ; @_Z16MergeByKeyKernelIiEviPT_S1_S1_S1_S1_S1_
; %bb.0:
	s_mov_b32 s2, exec_lo
	v_cmpx_eq_u32_e32 0, v0
	s_cbranch_execz .LBB623_16
; %bb.1:
	s_clause 0x2
	s_load_b32 s2, s[0:1], 0x0
	s_load_b256 s[4:11], s[0:1], 0x8
	s_load_b128 s[12:15], s[0:1], 0x28
	s_wait_kmcnt 0x0
	s_ashr_i32 s3, s2, 31
	s_delay_alu instid0(SALU_CYCLE_1)
	s_lshl_b64 s[0:1], s[2:3], 2
	s_cmp_eq_u64 s[2:3], 0
	s_add_nc_u64 s[2:3], s[4:5], s[0:1]
	s_add_nc_u64 s[0:1], s[6:7], s[0:1]
	s_cbranch_scc1 .LBB623_9
; %bb.2:
	v_mov_b32_e32 v0, 0
.LBB623_3:                              ; =>This Inner Loop Header: Depth=1
	s_clause 0x1
	global_load_b32 v1, v0, s[6:7]
	global_load_b32 v2, v0, s[4:5]
	s_wait_loadcnt 0x0
	v_cmp_lt_i32_e32 vcc_lo, v1, v2
	s_cbranch_vccnz .LBB623_5
; %bb.4:                                ;   in Loop: Header=BB623_3 Depth=1
	s_add_nc_u64 s[18:19], s[4:5], 4
	s_add_nc_u64 s[20:21], s[8:9], 4
	s_mov_b64 s[16:17], s[10:11]
	s_cbranch_execnz .LBB623_6
	s_branch .LBB623_7
.LBB623_5:                              ;   in Loop: Header=BB623_3 Depth=1
	s_add_nc_u64 s[16:17], s[10:11], 4
	s_wait_xcnt 0x1
	s_add_nc_u64 s[6:7], s[6:7], 4
                                        ; implicit-def: $sgpr18_sgpr19
                                        ; implicit-def: $sgpr20_sgpr21
	s_branch .LBB623_7
.LBB623_6:                              ;   in Loop: Header=BB623_3 Depth=1
	v_mov_b32_e32 v1, v2
	s_mov_b64 s[10:11], s[8:9]
	s_mov_b64 s[8:9], s[20:21]
	s_wait_xcnt 0x0
	s_mov_b64 s[4:5], s[18:19]
.LBB623_7:                              ;   in Loop: Header=BB623_3 Depth=1
	s_clause 0x1
	global_store_b32 v0, v1, s[12:13]
	global_load_b32 v1, v0, s[10:11]
	s_cmp_lg_u64 s[4:5], s[2:3]
	s_add_nc_u64 s[12:13], s[12:13], 4
	s_wait_xcnt 0x0
	s_cselect_b32 s10, -1, 0
	s_cmp_lg_u64 s[6:7], s[0:1]
	s_cselect_b32 s11, -1, 0
	s_delay_alu instid0(SALU_CYCLE_1) | instskip(NEXT) | instid1(SALU_CYCLE_1)
	s_and_b32 s10, s10, s11
	s_and_not1_b32 vcc_lo, exec_lo, s10
	s_wait_loadcnt 0x0
	global_store_b32 v0, v1, s[14:15]
	s_wait_xcnt 0x0
	s_add_nc_u64 s[14:15], s[14:15], 4
	s_cbranch_vccnz .LBB623_10
; %bb.8:                                ;   in Loop: Header=BB623_3 Depth=1
	s_mov_b64 s[10:11], s[16:17]
	s_branch .LBB623_3
.LBB623_9:
	s_mov_b64 s[16:17], s[10:11]
.LBB623_10:
	s_cmp_eq_u64 s[4:5], s[2:3]
	s_cbranch_scc1 .LBB623_13
; %bb.11:
	v_mov_b32_e32 v0, 0
.LBB623_12:                             ; =>This Inner Loop Header: Depth=1
	global_load_b32 v1, v0, s[4:5]
	s_wait_xcnt 0x0
	s_add_nc_u64 s[4:5], s[4:5], 4
	s_delay_alu instid0(SALU_CYCLE_1)
	s_cmp_eq_u64 s[4:5], s[2:3]
	s_wait_loadcnt 0x0
	s_clause 0x1
	global_store_b32 v0, v1, s[12:13]
	global_load_b32 v1, v0, s[8:9]
	s_add_nc_u64 s[12:13], s[12:13], 4
	s_wait_xcnt 0x0
	s_add_nc_u64 s[8:9], s[8:9], 4
	s_wait_loadcnt 0x0
	global_store_b32 v0, v1, s[14:15]
	s_wait_xcnt 0x0
	s_add_nc_u64 s[14:15], s[14:15], 4
	s_cbranch_scc0 .LBB623_12
.LBB623_13:
	s_cmp_eq_u64 s[6:7], s[0:1]
	s_cbranch_scc1 .LBB623_16
; %bb.14:
	v_mov_b32_e32 v0, 0
.LBB623_15:                             ; =>This Inner Loop Header: Depth=1
	global_load_b32 v1, v0, s[6:7]
	s_wait_xcnt 0x0
	s_add_nc_u64 s[6:7], s[6:7], 4
	s_delay_alu instid0(SALU_CYCLE_1)
	s_cmp_lg_u64 s[6:7], s[0:1]
	s_wait_loadcnt 0x0
	s_clause 0x1
	global_store_b32 v0, v1, s[12:13]
	global_load_b32 v1, v0, s[16:17]
	s_add_nc_u64 s[12:13], s[12:13], 4
	s_wait_xcnt 0x0
	s_add_nc_u64 s[16:17], s[16:17], 4
	s_wait_loadcnt 0x0
	global_store_b32 v0, v1, s[14:15]
	s_wait_xcnt 0x0
	s_add_nc_u64 s[14:15], s[14:15], 4
	s_cbranch_scc1 .LBB623_15
.LBB623_16:
	s_endpgm
	.section	.rodata,"a",@progbits
	.p2align	6, 0x0
	.amdhsa_kernel _Z16MergeByKeyKernelIiEviPT_S1_S1_S1_S1_S1_
		.amdhsa_group_segment_fixed_size 0
		.amdhsa_private_segment_fixed_size 0
		.amdhsa_kernarg_size 56
		.amdhsa_user_sgpr_count 2
		.amdhsa_user_sgpr_dispatch_ptr 0
		.amdhsa_user_sgpr_queue_ptr 0
		.amdhsa_user_sgpr_kernarg_segment_ptr 1
		.amdhsa_user_sgpr_dispatch_id 0
		.amdhsa_user_sgpr_kernarg_preload_length 0
		.amdhsa_user_sgpr_kernarg_preload_offset 0
		.amdhsa_user_sgpr_private_segment_size 0
		.amdhsa_wavefront_size32 1
		.amdhsa_uses_dynamic_stack 0
		.amdhsa_enable_private_segment 0
		.amdhsa_system_sgpr_workgroup_id_x 1
		.amdhsa_system_sgpr_workgroup_id_y 0
		.amdhsa_system_sgpr_workgroup_id_z 0
		.amdhsa_system_sgpr_workgroup_info 0
		.amdhsa_system_vgpr_workitem_id 0
		.amdhsa_next_free_vgpr 3
		.amdhsa_next_free_sgpr 22
		.amdhsa_named_barrier_count 0
		.amdhsa_reserve_vcc 1
		.amdhsa_float_round_mode_32 0
		.amdhsa_float_round_mode_16_64 0
		.amdhsa_float_denorm_mode_32 3
		.amdhsa_float_denorm_mode_16_64 3
		.amdhsa_fp16_overflow 0
		.amdhsa_memory_ordered 1
		.amdhsa_forward_progress 1
		.amdhsa_inst_pref_size 4
		.amdhsa_round_robin_scheduling 0
		.amdhsa_exception_fp_ieee_invalid_op 0
		.amdhsa_exception_fp_denorm_src 0
		.amdhsa_exception_fp_ieee_div_zero 0
		.amdhsa_exception_fp_ieee_overflow 0
		.amdhsa_exception_fp_ieee_underflow 0
		.amdhsa_exception_fp_ieee_inexact 0
		.amdhsa_exception_int_div_zero 0
	.end_amdhsa_kernel
	.section	.text._Z16MergeByKeyKernelIiEviPT_S1_S1_S1_S1_S1_,"axG",@progbits,_Z16MergeByKeyKernelIiEviPT_S1_S1_S1_S1_S1_,comdat
.Lfunc_end623:
	.size	_Z16MergeByKeyKernelIiEviPT_S1_S1_S1_S1_S1_, .Lfunc_end623-_Z16MergeByKeyKernelIiEviPT_S1_S1_S1_S1_S1_
                                        ; -- End function
	.set _Z16MergeByKeyKernelIiEviPT_S1_S1_S1_S1_S1_.num_vgpr, 3
	.set _Z16MergeByKeyKernelIiEviPT_S1_S1_S1_S1_S1_.num_agpr, 0
	.set _Z16MergeByKeyKernelIiEviPT_S1_S1_S1_S1_S1_.numbered_sgpr, 22
	.set _Z16MergeByKeyKernelIiEviPT_S1_S1_S1_S1_S1_.num_named_barrier, 0
	.set _Z16MergeByKeyKernelIiEviPT_S1_S1_S1_S1_S1_.private_seg_size, 0
	.set _Z16MergeByKeyKernelIiEviPT_S1_S1_S1_S1_S1_.uses_vcc, 1
	.set _Z16MergeByKeyKernelIiEviPT_S1_S1_S1_S1_S1_.uses_flat_scratch, 0
	.set _Z16MergeByKeyKernelIiEviPT_S1_S1_S1_S1_S1_.has_dyn_sized_stack, 0
	.set _Z16MergeByKeyKernelIiEviPT_S1_S1_S1_S1_S1_.has_recursion, 0
	.set _Z16MergeByKeyKernelIiEviPT_S1_S1_S1_S1_S1_.has_indirect_call, 0
	.section	.AMDGPU.csdata,"",@progbits
; Kernel info:
; codeLenInByte = 504
; TotalNumSgprs: 24
; NumVgprs: 3
; ScratchSize: 0
; MemoryBound: 0
; FloatMode: 240
; IeeeMode: 1
; LDSByteSize: 0 bytes/workgroup (compile time only)
; SGPRBlocks: 0
; VGPRBlocks: 0
; NumSGPRsForWavesPerEU: 24
; NumVGPRsForWavesPerEU: 3
; NamedBarCnt: 0
; Occupancy: 16
; WaveLimiterHint : 0
; COMPUTE_PGM_RSRC2:SCRATCH_EN: 0
; COMPUTE_PGM_RSRC2:USER_SGPR: 2
; COMPUTE_PGM_RSRC2:TRAP_HANDLER: 0
; COMPUTE_PGM_RSRC2:TGID_X_EN: 1
; COMPUTE_PGM_RSRC2:TGID_Y_EN: 0
; COMPUTE_PGM_RSRC2:TGID_Z_EN: 0
; COMPUTE_PGM_RSRC2:TIDIG_COMP_CNT: 0
	.section	.text._ZN7rocprim17ROCPRIM_400000_NS6detail17trampoline_kernelINS0_14default_configENS1_21merge_config_selectorINS0_5tupleIJiiEEENS0_10empty_typeEEEZNS1_10merge_implIS3_NS0_12zip_iteratorINS5_IJN6thrust23THRUST_200600_302600_NS10device_ptrIiEESE_EEEEESG_SG_PS7_SH_SH_NSC_11hip_rocprim7__merge17predicate_wrapperIiiNSC_4lessIiEEEEEE10hipError_tPvRmT0_T1_T2_T3_T4_T5_mmT6_P12ihipStream_tbEUlT_E_NS1_11comp_targetILNS1_3genE0ELNS1_11target_archE4294967295ELNS1_3gpuE0ELNS1_3repE0EEENS1_30default_config_static_selectorELNS0_4arch9wavefront6targetE0EEEvSS_,"axG",@progbits,_ZN7rocprim17ROCPRIM_400000_NS6detail17trampoline_kernelINS0_14default_configENS1_21merge_config_selectorINS0_5tupleIJiiEEENS0_10empty_typeEEEZNS1_10merge_implIS3_NS0_12zip_iteratorINS5_IJN6thrust23THRUST_200600_302600_NS10device_ptrIiEESE_EEEEESG_SG_PS7_SH_SH_NSC_11hip_rocprim7__merge17predicate_wrapperIiiNSC_4lessIiEEEEEE10hipError_tPvRmT0_T1_T2_T3_T4_T5_mmT6_P12ihipStream_tbEUlT_E_NS1_11comp_targetILNS1_3genE0ELNS1_11target_archE4294967295ELNS1_3gpuE0ELNS1_3repE0EEENS1_30default_config_static_selectorELNS0_4arch9wavefront6targetE0EEEvSS_,comdat
	.protected	_ZN7rocprim17ROCPRIM_400000_NS6detail17trampoline_kernelINS0_14default_configENS1_21merge_config_selectorINS0_5tupleIJiiEEENS0_10empty_typeEEEZNS1_10merge_implIS3_NS0_12zip_iteratorINS5_IJN6thrust23THRUST_200600_302600_NS10device_ptrIiEESE_EEEEESG_SG_PS7_SH_SH_NSC_11hip_rocprim7__merge17predicate_wrapperIiiNSC_4lessIiEEEEEE10hipError_tPvRmT0_T1_T2_T3_T4_T5_mmT6_P12ihipStream_tbEUlT_E_NS1_11comp_targetILNS1_3genE0ELNS1_11target_archE4294967295ELNS1_3gpuE0ELNS1_3repE0EEENS1_30default_config_static_selectorELNS0_4arch9wavefront6targetE0EEEvSS_ ; -- Begin function _ZN7rocprim17ROCPRIM_400000_NS6detail17trampoline_kernelINS0_14default_configENS1_21merge_config_selectorINS0_5tupleIJiiEEENS0_10empty_typeEEEZNS1_10merge_implIS3_NS0_12zip_iteratorINS5_IJN6thrust23THRUST_200600_302600_NS10device_ptrIiEESE_EEEEESG_SG_PS7_SH_SH_NSC_11hip_rocprim7__merge17predicate_wrapperIiiNSC_4lessIiEEEEEE10hipError_tPvRmT0_T1_T2_T3_T4_T5_mmT6_P12ihipStream_tbEUlT_E_NS1_11comp_targetILNS1_3genE0ELNS1_11target_archE4294967295ELNS1_3gpuE0ELNS1_3repE0EEENS1_30default_config_static_selectorELNS0_4arch9wavefront6targetE0EEEvSS_
	.globl	_ZN7rocprim17ROCPRIM_400000_NS6detail17trampoline_kernelINS0_14default_configENS1_21merge_config_selectorINS0_5tupleIJiiEEENS0_10empty_typeEEEZNS1_10merge_implIS3_NS0_12zip_iteratorINS5_IJN6thrust23THRUST_200600_302600_NS10device_ptrIiEESE_EEEEESG_SG_PS7_SH_SH_NSC_11hip_rocprim7__merge17predicate_wrapperIiiNSC_4lessIiEEEEEE10hipError_tPvRmT0_T1_T2_T3_T4_T5_mmT6_P12ihipStream_tbEUlT_E_NS1_11comp_targetILNS1_3genE0ELNS1_11target_archE4294967295ELNS1_3gpuE0ELNS1_3repE0EEENS1_30default_config_static_selectorELNS0_4arch9wavefront6targetE0EEEvSS_
	.p2align	8
	.type	_ZN7rocprim17ROCPRIM_400000_NS6detail17trampoline_kernelINS0_14default_configENS1_21merge_config_selectorINS0_5tupleIJiiEEENS0_10empty_typeEEEZNS1_10merge_implIS3_NS0_12zip_iteratorINS5_IJN6thrust23THRUST_200600_302600_NS10device_ptrIiEESE_EEEEESG_SG_PS7_SH_SH_NSC_11hip_rocprim7__merge17predicate_wrapperIiiNSC_4lessIiEEEEEE10hipError_tPvRmT0_T1_T2_T3_T4_T5_mmT6_P12ihipStream_tbEUlT_E_NS1_11comp_targetILNS1_3genE0ELNS1_11target_archE4294967295ELNS1_3gpuE0ELNS1_3repE0EEENS1_30default_config_static_selectorELNS0_4arch9wavefront6targetE0EEEvSS_,@function
_ZN7rocprim17ROCPRIM_400000_NS6detail17trampoline_kernelINS0_14default_configENS1_21merge_config_selectorINS0_5tupleIJiiEEENS0_10empty_typeEEEZNS1_10merge_implIS3_NS0_12zip_iteratorINS5_IJN6thrust23THRUST_200600_302600_NS10device_ptrIiEESE_EEEEESG_SG_PS7_SH_SH_NSC_11hip_rocprim7__merge17predicate_wrapperIiiNSC_4lessIiEEEEEE10hipError_tPvRmT0_T1_T2_T3_T4_T5_mmT6_P12ihipStream_tbEUlT_E_NS1_11comp_targetILNS1_3genE0ELNS1_11target_archE4294967295ELNS1_3gpuE0ELNS1_3repE0EEENS1_30default_config_static_selectorELNS0_4arch9wavefront6targetE0EEEvSS_: ; @_ZN7rocprim17ROCPRIM_400000_NS6detail17trampoline_kernelINS0_14default_configENS1_21merge_config_selectorINS0_5tupleIJiiEEENS0_10empty_typeEEEZNS1_10merge_implIS3_NS0_12zip_iteratorINS5_IJN6thrust23THRUST_200600_302600_NS10device_ptrIiEESE_EEEEESG_SG_PS7_SH_SH_NSC_11hip_rocprim7__merge17predicate_wrapperIiiNSC_4lessIiEEEEEE10hipError_tPvRmT0_T1_T2_T3_T4_T5_mmT6_P12ihipStream_tbEUlT_E_NS1_11comp_targetILNS1_3genE0ELNS1_11target_archE4294967295ELNS1_3gpuE0ELNS1_3repE0EEENS1_30default_config_static_selectorELNS0_4arch9wavefront6targetE0EEEvSS_
; %bb.0:
	s_clause 0x2
	s_load_b32 s4, s[0:1], 0x38
	s_load_b32 s2, s[0:1], 0x4c
	s_load_b128 s[8:11], s[0:1], 0x28
	s_getreg_b32 s7, hwreg(HW_REG_IB_STS2, 6, 4)
	s_wait_kmcnt 0x0
	s_cvt_f32_u32 s3, s4
	s_and_b32 s6, s2, 0xffff
	s_and_b32 s2, ttmp6, 15
	s_delay_alu instid0(SALU_CYCLE_1) | instskip(SKIP_1) | instid1(SALU_CYCLE_1)
	v_rcp_iflag_f32_e32 v1, s3
	s_bfe_u32 s3, ttmp6, 0x4000c
	s_add_co_i32 s3, s3, 1
	s_delay_alu instid0(SALU_CYCLE_1) | instskip(NEXT) | instid1(SALU_CYCLE_1)
	s_mul_i32 s3, ttmp9, s3
	s_add_co_i32 s2, s2, s3
	v_nop
	s_delay_alu instid0(TRANS32_DEP_1)
	v_readfirstlane_b32 s5, v1
	s_cmp_eq_u32 s7, 0
	s_cselect_b32 s7, ttmp9, s2
	s_sub_co_i32 s12, 0, s4
	s_mul_f32 s5, s5, 0x4f7ffffe
	s_add_nc_u64 s[2:3], s[10:11], s[8:9]
	v_mad_u32 v6, s7, s6, v0
	s_add_co_i32 s13, s4, s2
	s_cvt_u32_f32 s5, s5
	s_add_co_i32 s13, s13, -1
	s_delay_alu instid0(SALU_CYCLE_2) | instskip(NEXT) | instid1(SALU_CYCLE_1)
	s_mul_i32 s12, s12, s5
	s_mul_hi_u32 s12, s5, s12
	s_delay_alu instid0(SALU_CYCLE_1) | instskip(NEXT) | instid1(SALU_CYCLE_1)
	s_add_co_i32 s5, s5, s12
	s_mul_hi_u32 s5, s13, s5
	s_delay_alu instid0(SALU_CYCLE_1) | instskip(SKIP_2) | instid1(SALU_CYCLE_1)
	s_mul_i32 s12, s5, s4
	s_add_co_i32 s7, s5, 1
	s_sub_co_i32 s6, s13, s12
	s_sub_co_i32 s12, s6, s4
	s_cmp_ge_u32 s6, s4
	s_cselect_b32 s5, s7, s5
	s_cselect_b32 s6, s12, s6
	s_add_co_i32 s7, s5, 1
	s_cmp_ge_u32 s6, s4
	s_cselect_b32 s5, s7, s5
	s_delay_alu instid0(SALU_CYCLE_1)
	v_cmp_ge_u32_e32 vcc_lo, s5, v6
	s_and_saveexec_b32 s5, vcc_lo
	s_cbranch_execz .LBB624_6
; %bb.1:
	v_mul_lo_u32 v0, v6, s4
	v_mov_b32_e32 v1, 0
	s_load_b128 s[4:7], s[0:1], 0x0
	s_delay_alu instid0(VALU_DEP_1) | instskip(SKIP_1) | instid1(VALU_DEP_1)
	v_min_u64 v[4:5], v[0:1], s[2:3]
	s_mov_b32 s2, exec_lo
	v_max_u64 v[0:1], v[4:5], s[10:11]
	v_min_u64 v[2:3], v[4:5], s[8:9]
	s_delay_alu instid0(VALU_DEP_2) | instskip(NEXT) | instid1(VALU_DEP_1)
	v_sub_nc_u64_e64 v[0:1], v[0:1], s[10:11]
	v_cmpx_lt_u64_e64 v[0:1], v[2:3]
	s_cbranch_execz .LBB624_5
; %bb.2:
	s_wait_xcnt 0x0
	s_load_b64 s[0:1], s[0:1], 0x18
	s_wait_kmcnt 0x0
	v_lshl_add_u64 v[4:5], v[4:5], 2, s[0:1]
	s_mov_b32 s0, 0
.LBB624_3:                              ; =>This Inner Loop Header: Depth=1
	v_add_nc_u64_e32 v[8:9], v[2:3], v[0:1]
	s_delay_alu instid0(VALU_DEP_1) | instskip(NEXT) | instid1(VALU_DEP_1)
	v_lshrrev_b64 v[8:9], 1, v[8:9]
	v_lshlrev_b64_e32 v[10:11], 2, v[8:9]
	s_delay_alu instid0(VALU_DEP_1) | instskip(NEXT) | instid1(VALU_DEP_2)
	v_xor_b32_e32 v13, -1, v11
	v_xor_b32_e32 v12, -4, v10
	v_add_nc_u64_e32 v[10:11], s[6:7], v[10:11]
	s_delay_alu instid0(VALU_DEP_2)
	v_add_nc_u64_e32 v[12:13], v[4:5], v[12:13]
	global_load_b32 v7, v[10:11], off
	global_load_b32 v14, v[12:13], off
	s_wait_xcnt 0x1
	v_add_nc_u64_e32 v[10:11], 1, v[8:9]
	s_wait_loadcnt 0x0
	v_cmp_lt_i32_e32 vcc_lo, v14, v7
	v_dual_cndmask_b32 v3, v3, v9 :: v_dual_cndmask_b32 v2, v2, v8
	s_delay_alu instid0(VALU_DEP_3) | instskip(NEXT) | instid1(VALU_DEP_1)
	v_dual_cndmask_b32 v1, v11, v1 :: v_dual_cndmask_b32 v0, v10, v0
	v_cmp_ge_u64_e32 vcc_lo, v[0:1], v[2:3]
	s_or_b32 s0, vcc_lo, s0
	s_delay_alu instid0(SALU_CYCLE_1)
	s_and_not1_b32 exec_lo, exec_lo, s0
	s_cbranch_execnz .LBB624_3
; %bb.4:
	s_or_b32 exec_lo, exec_lo, s0
.LBB624_5:
	s_delay_alu instid0(SALU_CYCLE_1)
	s_or_b32 exec_lo, exec_lo, s2
	s_wait_kmcnt 0x0
	global_store_b32 v6, v0, s[4:5] scale_offset
.LBB624_6:
	s_endpgm
	.section	.rodata,"a",@progbits
	.p2align	6, 0x0
	.amdhsa_kernel _ZN7rocprim17ROCPRIM_400000_NS6detail17trampoline_kernelINS0_14default_configENS1_21merge_config_selectorINS0_5tupleIJiiEEENS0_10empty_typeEEEZNS1_10merge_implIS3_NS0_12zip_iteratorINS5_IJN6thrust23THRUST_200600_302600_NS10device_ptrIiEESE_EEEEESG_SG_PS7_SH_SH_NSC_11hip_rocprim7__merge17predicate_wrapperIiiNSC_4lessIiEEEEEE10hipError_tPvRmT0_T1_T2_T3_T4_T5_mmT6_P12ihipStream_tbEUlT_E_NS1_11comp_targetILNS1_3genE0ELNS1_11target_archE4294967295ELNS1_3gpuE0ELNS1_3repE0EEENS1_30default_config_static_selectorELNS0_4arch9wavefront6targetE0EEEvSS_
		.amdhsa_group_segment_fixed_size 0
		.amdhsa_private_segment_fixed_size 0
		.amdhsa_kernarg_size 320
		.amdhsa_user_sgpr_count 2
		.amdhsa_user_sgpr_dispatch_ptr 0
		.amdhsa_user_sgpr_queue_ptr 0
		.amdhsa_user_sgpr_kernarg_segment_ptr 1
		.amdhsa_user_sgpr_dispatch_id 0
		.amdhsa_user_sgpr_kernarg_preload_length 0
		.amdhsa_user_sgpr_kernarg_preload_offset 0
		.amdhsa_user_sgpr_private_segment_size 0
		.amdhsa_wavefront_size32 1
		.amdhsa_uses_dynamic_stack 0
		.amdhsa_enable_private_segment 0
		.amdhsa_system_sgpr_workgroup_id_x 1
		.amdhsa_system_sgpr_workgroup_id_y 0
		.amdhsa_system_sgpr_workgroup_id_z 0
		.amdhsa_system_sgpr_workgroup_info 0
		.amdhsa_system_vgpr_workitem_id 0
		.amdhsa_next_free_vgpr 15
		.amdhsa_next_free_sgpr 14
		.amdhsa_named_barrier_count 0
		.amdhsa_reserve_vcc 1
		.amdhsa_float_round_mode_32 0
		.amdhsa_float_round_mode_16_64 0
		.amdhsa_float_denorm_mode_32 3
		.amdhsa_float_denorm_mode_16_64 3
		.amdhsa_fp16_overflow 0
		.amdhsa_memory_ordered 1
		.amdhsa_forward_progress 1
		.amdhsa_inst_pref_size 4
		.amdhsa_round_robin_scheduling 0
		.amdhsa_exception_fp_ieee_invalid_op 0
		.amdhsa_exception_fp_denorm_src 0
		.amdhsa_exception_fp_ieee_div_zero 0
		.amdhsa_exception_fp_ieee_overflow 0
		.amdhsa_exception_fp_ieee_underflow 0
		.amdhsa_exception_fp_ieee_inexact 0
		.amdhsa_exception_int_div_zero 0
	.end_amdhsa_kernel
	.section	.text._ZN7rocprim17ROCPRIM_400000_NS6detail17trampoline_kernelINS0_14default_configENS1_21merge_config_selectorINS0_5tupleIJiiEEENS0_10empty_typeEEEZNS1_10merge_implIS3_NS0_12zip_iteratorINS5_IJN6thrust23THRUST_200600_302600_NS10device_ptrIiEESE_EEEEESG_SG_PS7_SH_SH_NSC_11hip_rocprim7__merge17predicate_wrapperIiiNSC_4lessIiEEEEEE10hipError_tPvRmT0_T1_T2_T3_T4_T5_mmT6_P12ihipStream_tbEUlT_E_NS1_11comp_targetILNS1_3genE0ELNS1_11target_archE4294967295ELNS1_3gpuE0ELNS1_3repE0EEENS1_30default_config_static_selectorELNS0_4arch9wavefront6targetE0EEEvSS_,"axG",@progbits,_ZN7rocprim17ROCPRIM_400000_NS6detail17trampoline_kernelINS0_14default_configENS1_21merge_config_selectorINS0_5tupleIJiiEEENS0_10empty_typeEEEZNS1_10merge_implIS3_NS0_12zip_iteratorINS5_IJN6thrust23THRUST_200600_302600_NS10device_ptrIiEESE_EEEEESG_SG_PS7_SH_SH_NSC_11hip_rocprim7__merge17predicate_wrapperIiiNSC_4lessIiEEEEEE10hipError_tPvRmT0_T1_T2_T3_T4_T5_mmT6_P12ihipStream_tbEUlT_E_NS1_11comp_targetILNS1_3genE0ELNS1_11target_archE4294967295ELNS1_3gpuE0ELNS1_3repE0EEENS1_30default_config_static_selectorELNS0_4arch9wavefront6targetE0EEEvSS_,comdat
.Lfunc_end624:
	.size	_ZN7rocprim17ROCPRIM_400000_NS6detail17trampoline_kernelINS0_14default_configENS1_21merge_config_selectorINS0_5tupleIJiiEEENS0_10empty_typeEEEZNS1_10merge_implIS3_NS0_12zip_iteratorINS5_IJN6thrust23THRUST_200600_302600_NS10device_ptrIiEESE_EEEEESG_SG_PS7_SH_SH_NSC_11hip_rocprim7__merge17predicate_wrapperIiiNSC_4lessIiEEEEEE10hipError_tPvRmT0_T1_T2_T3_T4_T5_mmT6_P12ihipStream_tbEUlT_E_NS1_11comp_targetILNS1_3genE0ELNS1_11target_archE4294967295ELNS1_3gpuE0ELNS1_3repE0EEENS1_30default_config_static_selectorELNS0_4arch9wavefront6targetE0EEEvSS_, .Lfunc_end624-_ZN7rocprim17ROCPRIM_400000_NS6detail17trampoline_kernelINS0_14default_configENS1_21merge_config_selectorINS0_5tupleIJiiEEENS0_10empty_typeEEEZNS1_10merge_implIS3_NS0_12zip_iteratorINS5_IJN6thrust23THRUST_200600_302600_NS10device_ptrIiEESE_EEEEESG_SG_PS7_SH_SH_NSC_11hip_rocprim7__merge17predicate_wrapperIiiNSC_4lessIiEEEEEE10hipError_tPvRmT0_T1_T2_T3_T4_T5_mmT6_P12ihipStream_tbEUlT_E_NS1_11comp_targetILNS1_3genE0ELNS1_11target_archE4294967295ELNS1_3gpuE0ELNS1_3repE0EEENS1_30default_config_static_selectorELNS0_4arch9wavefront6targetE0EEEvSS_
                                        ; -- End function
	.set _ZN7rocprim17ROCPRIM_400000_NS6detail17trampoline_kernelINS0_14default_configENS1_21merge_config_selectorINS0_5tupleIJiiEEENS0_10empty_typeEEEZNS1_10merge_implIS3_NS0_12zip_iteratorINS5_IJN6thrust23THRUST_200600_302600_NS10device_ptrIiEESE_EEEEESG_SG_PS7_SH_SH_NSC_11hip_rocprim7__merge17predicate_wrapperIiiNSC_4lessIiEEEEEE10hipError_tPvRmT0_T1_T2_T3_T4_T5_mmT6_P12ihipStream_tbEUlT_E_NS1_11comp_targetILNS1_3genE0ELNS1_11target_archE4294967295ELNS1_3gpuE0ELNS1_3repE0EEENS1_30default_config_static_selectorELNS0_4arch9wavefront6targetE0EEEvSS_.num_vgpr, 15
	.set _ZN7rocprim17ROCPRIM_400000_NS6detail17trampoline_kernelINS0_14default_configENS1_21merge_config_selectorINS0_5tupleIJiiEEENS0_10empty_typeEEEZNS1_10merge_implIS3_NS0_12zip_iteratorINS5_IJN6thrust23THRUST_200600_302600_NS10device_ptrIiEESE_EEEEESG_SG_PS7_SH_SH_NSC_11hip_rocprim7__merge17predicate_wrapperIiiNSC_4lessIiEEEEEE10hipError_tPvRmT0_T1_T2_T3_T4_T5_mmT6_P12ihipStream_tbEUlT_E_NS1_11comp_targetILNS1_3genE0ELNS1_11target_archE4294967295ELNS1_3gpuE0ELNS1_3repE0EEENS1_30default_config_static_selectorELNS0_4arch9wavefront6targetE0EEEvSS_.num_agpr, 0
	.set _ZN7rocprim17ROCPRIM_400000_NS6detail17trampoline_kernelINS0_14default_configENS1_21merge_config_selectorINS0_5tupleIJiiEEENS0_10empty_typeEEEZNS1_10merge_implIS3_NS0_12zip_iteratorINS5_IJN6thrust23THRUST_200600_302600_NS10device_ptrIiEESE_EEEEESG_SG_PS7_SH_SH_NSC_11hip_rocprim7__merge17predicate_wrapperIiiNSC_4lessIiEEEEEE10hipError_tPvRmT0_T1_T2_T3_T4_T5_mmT6_P12ihipStream_tbEUlT_E_NS1_11comp_targetILNS1_3genE0ELNS1_11target_archE4294967295ELNS1_3gpuE0ELNS1_3repE0EEENS1_30default_config_static_selectorELNS0_4arch9wavefront6targetE0EEEvSS_.numbered_sgpr, 14
	.set _ZN7rocprim17ROCPRIM_400000_NS6detail17trampoline_kernelINS0_14default_configENS1_21merge_config_selectorINS0_5tupleIJiiEEENS0_10empty_typeEEEZNS1_10merge_implIS3_NS0_12zip_iteratorINS5_IJN6thrust23THRUST_200600_302600_NS10device_ptrIiEESE_EEEEESG_SG_PS7_SH_SH_NSC_11hip_rocprim7__merge17predicate_wrapperIiiNSC_4lessIiEEEEEE10hipError_tPvRmT0_T1_T2_T3_T4_T5_mmT6_P12ihipStream_tbEUlT_E_NS1_11comp_targetILNS1_3genE0ELNS1_11target_archE4294967295ELNS1_3gpuE0ELNS1_3repE0EEENS1_30default_config_static_selectorELNS0_4arch9wavefront6targetE0EEEvSS_.num_named_barrier, 0
	.set _ZN7rocprim17ROCPRIM_400000_NS6detail17trampoline_kernelINS0_14default_configENS1_21merge_config_selectorINS0_5tupleIJiiEEENS0_10empty_typeEEEZNS1_10merge_implIS3_NS0_12zip_iteratorINS5_IJN6thrust23THRUST_200600_302600_NS10device_ptrIiEESE_EEEEESG_SG_PS7_SH_SH_NSC_11hip_rocprim7__merge17predicate_wrapperIiiNSC_4lessIiEEEEEE10hipError_tPvRmT0_T1_T2_T3_T4_T5_mmT6_P12ihipStream_tbEUlT_E_NS1_11comp_targetILNS1_3genE0ELNS1_11target_archE4294967295ELNS1_3gpuE0ELNS1_3repE0EEENS1_30default_config_static_selectorELNS0_4arch9wavefront6targetE0EEEvSS_.private_seg_size, 0
	.set _ZN7rocprim17ROCPRIM_400000_NS6detail17trampoline_kernelINS0_14default_configENS1_21merge_config_selectorINS0_5tupleIJiiEEENS0_10empty_typeEEEZNS1_10merge_implIS3_NS0_12zip_iteratorINS5_IJN6thrust23THRUST_200600_302600_NS10device_ptrIiEESE_EEEEESG_SG_PS7_SH_SH_NSC_11hip_rocprim7__merge17predicate_wrapperIiiNSC_4lessIiEEEEEE10hipError_tPvRmT0_T1_T2_T3_T4_T5_mmT6_P12ihipStream_tbEUlT_E_NS1_11comp_targetILNS1_3genE0ELNS1_11target_archE4294967295ELNS1_3gpuE0ELNS1_3repE0EEENS1_30default_config_static_selectorELNS0_4arch9wavefront6targetE0EEEvSS_.uses_vcc, 1
	.set _ZN7rocprim17ROCPRIM_400000_NS6detail17trampoline_kernelINS0_14default_configENS1_21merge_config_selectorINS0_5tupleIJiiEEENS0_10empty_typeEEEZNS1_10merge_implIS3_NS0_12zip_iteratorINS5_IJN6thrust23THRUST_200600_302600_NS10device_ptrIiEESE_EEEEESG_SG_PS7_SH_SH_NSC_11hip_rocprim7__merge17predicate_wrapperIiiNSC_4lessIiEEEEEE10hipError_tPvRmT0_T1_T2_T3_T4_T5_mmT6_P12ihipStream_tbEUlT_E_NS1_11comp_targetILNS1_3genE0ELNS1_11target_archE4294967295ELNS1_3gpuE0ELNS1_3repE0EEENS1_30default_config_static_selectorELNS0_4arch9wavefront6targetE0EEEvSS_.uses_flat_scratch, 0
	.set _ZN7rocprim17ROCPRIM_400000_NS6detail17trampoline_kernelINS0_14default_configENS1_21merge_config_selectorINS0_5tupleIJiiEEENS0_10empty_typeEEEZNS1_10merge_implIS3_NS0_12zip_iteratorINS5_IJN6thrust23THRUST_200600_302600_NS10device_ptrIiEESE_EEEEESG_SG_PS7_SH_SH_NSC_11hip_rocprim7__merge17predicate_wrapperIiiNSC_4lessIiEEEEEE10hipError_tPvRmT0_T1_T2_T3_T4_T5_mmT6_P12ihipStream_tbEUlT_E_NS1_11comp_targetILNS1_3genE0ELNS1_11target_archE4294967295ELNS1_3gpuE0ELNS1_3repE0EEENS1_30default_config_static_selectorELNS0_4arch9wavefront6targetE0EEEvSS_.has_dyn_sized_stack, 0
	.set _ZN7rocprim17ROCPRIM_400000_NS6detail17trampoline_kernelINS0_14default_configENS1_21merge_config_selectorINS0_5tupleIJiiEEENS0_10empty_typeEEEZNS1_10merge_implIS3_NS0_12zip_iteratorINS5_IJN6thrust23THRUST_200600_302600_NS10device_ptrIiEESE_EEEEESG_SG_PS7_SH_SH_NSC_11hip_rocprim7__merge17predicate_wrapperIiiNSC_4lessIiEEEEEE10hipError_tPvRmT0_T1_T2_T3_T4_T5_mmT6_P12ihipStream_tbEUlT_E_NS1_11comp_targetILNS1_3genE0ELNS1_11target_archE4294967295ELNS1_3gpuE0ELNS1_3repE0EEENS1_30default_config_static_selectorELNS0_4arch9wavefront6targetE0EEEvSS_.has_recursion, 0
	.set _ZN7rocprim17ROCPRIM_400000_NS6detail17trampoline_kernelINS0_14default_configENS1_21merge_config_selectorINS0_5tupleIJiiEEENS0_10empty_typeEEEZNS1_10merge_implIS3_NS0_12zip_iteratorINS5_IJN6thrust23THRUST_200600_302600_NS10device_ptrIiEESE_EEEEESG_SG_PS7_SH_SH_NSC_11hip_rocprim7__merge17predicate_wrapperIiiNSC_4lessIiEEEEEE10hipError_tPvRmT0_T1_T2_T3_T4_T5_mmT6_P12ihipStream_tbEUlT_E_NS1_11comp_targetILNS1_3genE0ELNS1_11target_archE4294967295ELNS1_3gpuE0ELNS1_3repE0EEENS1_30default_config_static_selectorELNS0_4arch9wavefront6targetE0EEEvSS_.has_indirect_call, 0
	.section	.AMDGPU.csdata,"",@progbits
; Kernel info:
; codeLenInByte = 484
; TotalNumSgprs: 16
; NumVgprs: 15
; ScratchSize: 0
; MemoryBound: 0
; FloatMode: 240
; IeeeMode: 1
; LDSByteSize: 0 bytes/workgroup (compile time only)
; SGPRBlocks: 0
; VGPRBlocks: 0
; NumSGPRsForWavesPerEU: 16
; NumVGPRsForWavesPerEU: 15
; NamedBarCnt: 0
; Occupancy: 16
; WaveLimiterHint : 0
; COMPUTE_PGM_RSRC2:SCRATCH_EN: 0
; COMPUTE_PGM_RSRC2:USER_SGPR: 2
; COMPUTE_PGM_RSRC2:TRAP_HANDLER: 0
; COMPUTE_PGM_RSRC2:TGID_X_EN: 1
; COMPUTE_PGM_RSRC2:TGID_Y_EN: 0
; COMPUTE_PGM_RSRC2:TGID_Z_EN: 0
; COMPUTE_PGM_RSRC2:TIDIG_COMP_CNT: 0
	.section	.text._ZN7rocprim17ROCPRIM_400000_NS6detail17trampoline_kernelINS0_14default_configENS1_21merge_config_selectorINS0_5tupleIJiiEEENS0_10empty_typeEEEZNS1_10merge_implIS3_NS0_12zip_iteratorINS5_IJN6thrust23THRUST_200600_302600_NS10device_ptrIiEESE_EEEEESG_SG_PS7_SH_SH_NSC_11hip_rocprim7__merge17predicate_wrapperIiiNSC_4lessIiEEEEEE10hipError_tPvRmT0_T1_T2_T3_T4_T5_mmT6_P12ihipStream_tbEUlT_E_NS1_11comp_targetILNS1_3genE5ELNS1_11target_archE942ELNS1_3gpuE9ELNS1_3repE0EEENS1_30default_config_static_selectorELNS0_4arch9wavefront6targetE0EEEvSS_,"axG",@progbits,_ZN7rocprim17ROCPRIM_400000_NS6detail17trampoline_kernelINS0_14default_configENS1_21merge_config_selectorINS0_5tupleIJiiEEENS0_10empty_typeEEEZNS1_10merge_implIS3_NS0_12zip_iteratorINS5_IJN6thrust23THRUST_200600_302600_NS10device_ptrIiEESE_EEEEESG_SG_PS7_SH_SH_NSC_11hip_rocprim7__merge17predicate_wrapperIiiNSC_4lessIiEEEEEE10hipError_tPvRmT0_T1_T2_T3_T4_T5_mmT6_P12ihipStream_tbEUlT_E_NS1_11comp_targetILNS1_3genE5ELNS1_11target_archE942ELNS1_3gpuE9ELNS1_3repE0EEENS1_30default_config_static_selectorELNS0_4arch9wavefront6targetE0EEEvSS_,comdat
	.protected	_ZN7rocprim17ROCPRIM_400000_NS6detail17trampoline_kernelINS0_14default_configENS1_21merge_config_selectorINS0_5tupleIJiiEEENS0_10empty_typeEEEZNS1_10merge_implIS3_NS0_12zip_iteratorINS5_IJN6thrust23THRUST_200600_302600_NS10device_ptrIiEESE_EEEEESG_SG_PS7_SH_SH_NSC_11hip_rocprim7__merge17predicate_wrapperIiiNSC_4lessIiEEEEEE10hipError_tPvRmT0_T1_T2_T3_T4_T5_mmT6_P12ihipStream_tbEUlT_E_NS1_11comp_targetILNS1_3genE5ELNS1_11target_archE942ELNS1_3gpuE9ELNS1_3repE0EEENS1_30default_config_static_selectorELNS0_4arch9wavefront6targetE0EEEvSS_ ; -- Begin function _ZN7rocprim17ROCPRIM_400000_NS6detail17trampoline_kernelINS0_14default_configENS1_21merge_config_selectorINS0_5tupleIJiiEEENS0_10empty_typeEEEZNS1_10merge_implIS3_NS0_12zip_iteratorINS5_IJN6thrust23THRUST_200600_302600_NS10device_ptrIiEESE_EEEEESG_SG_PS7_SH_SH_NSC_11hip_rocprim7__merge17predicate_wrapperIiiNSC_4lessIiEEEEEE10hipError_tPvRmT0_T1_T2_T3_T4_T5_mmT6_P12ihipStream_tbEUlT_E_NS1_11comp_targetILNS1_3genE5ELNS1_11target_archE942ELNS1_3gpuE9ELNS1_3repE0EEENS1_30default_config_static_selectorELNS0_4arch9wavefront6targetE0EEEvSS_
	.globl	_ZN7rocprim17ROCPRIM_400000_NS6detail17trampoline_kernelINS0_14default_configENS1_21merge_config_selectorINS0_5tupleIJiiEEENS0_10empty_typeEEEZNS1_10merge_implIS3_NS0_12zip_iteratorINS5_IJN6thrust23THRUST_200600_302600_NS10device_ptrIiEESE_EEEEESG_SG_PS7_SH_SH_NSC_11hip_rocprim7__merge17predicate_wrapperIiiNSC_4lessIiEEEEEE10hipError_tPvRmT0_T1_T2_T3_T4_T5_mmT6_P12ihipStream_tbEUlT_E_NS1_11comp_targetILNS1_3genE5ELNS1_11target_archE942ELNS1_3gpuE9ELNS1_3repE0EEENS1_30default_config_static_selectorELNS0_4arch9wavefront6targetE0EEEvSS_
	.p2align	8
	.type	_ZN7rocprim17ROCPRIM_400000_NS6detail17trampoline_kernelINS0_14default_configENS1_21merge_config_selectorINS0_5tupleIJiiEEENS0_10empty_typeEEEZNS1_10merge_implIS3_NS0_12zip_iteratorINS5_IJN6thrust23THRUST_200600_302600_NS10device_ptrIiEESE_EEEEESG_SG_PS7_SH_SH_NSC_11hip_rocprim7__merge17predicate_wrapperIiiNSC_4lessIiEEEEEE10hipError_tPvRmT0_T1_T2_T3_T4_T5_mmT6_P12ihipStream_tbEUlT_E_NS1_11comp_targetILNS1_3genE5ELNS1_11target_archE942ELNS1_3gpuE9ELNS1_3repE0EEENS1_30default_config_static_selectorELNS0_4arch9wavefront6targetE0EEEvSS_,@function
_ZN7rocprim17ROCPRIM_400000_NS6detail17trampoline_kernelINS0_14default_configENS1_21merge_config_selectorINS0_5tupleIJiiEEENS0_10empty_typeEEEZNS1_10merge_implIS3_NS0_12zip_iteratorINS5_IJN6thrust23THRUST_200600_302600_NS10device_ptrIiEESE_EEEEESG_SG_PS7_SH_SH_NSC_11hip_rocprim7__merge17predicate_wrapperIiiNSC_4lessIiEEEEEE10hipError_tPvRmT0_T1_T2_T3_T4_T5_mmT6_P12ihipStream_tbEUlT_E_NS1_11comp_targetILNS1_3genE5ELNS1_11target_archE942ELNS1_3gpuE9ELNS1_3repE0EEENS1_30default_config_static_selectorELNS0_4arch9wavefront6targetE0EEEvSS_: ; @_ZN7rocprim17ROCPRIM_400000_NS6detail17trampoline_kernelINS0_14default_configENS1_21merge_config_selectorINS0_5tupleIJiiEEENS0_10empty_typeEEEZNS1_10merge_implIS3_NS0_12zip_iteratorINS5_IJN6thrust23THRUST_200600_302600_NS10device_ptrIiEESE_EEEEESG_SG_PS7_SH_SH_NSC_11hip_rocprim7__merge17predicate_wrapperIiiNSC_4lessIiEEEEEE10hipError_tPvRmT0_T1_T2_T3_T4_T5_mmT6_P12ihipStream_tbEUlT_E_NS1_11comp_targetILNS1_3genE5ELNS1_11target_archE942ELNS1_3gpuE9ELNS1_3repE0EEENS1_30default_config_static_selectorELNS0_4arch9wavefront6targetE0EEEvSS_
; %bb.0:
	.section	.rodata,"a",@progbits
	.p2align	6, 0x0
	.amdhsa_kernel _ZN7rocprim17ROCPRIM_400000_NS6detail17trampoline_kernelINS0_14default_configENS1_21merge_config_selectorINS0_5tupleIJiiEEENS0_10empty_typeEEEZNS1_10merge_implIS3_NS0_12zip_iteratorINS5_IJN6thrust23THRUST_200600_302600_NS10device_ptrIiEESE_EEEEESG_SG_PS7_SH_SH_NSC_11hip_rocprim7__merge17predicate_wrapperIiiNSC_4lessIiEEEEEE10hipError_tPvRmT0_T1_T2_T3_T4_T5_mmT6_P12ihipStream_tbEUlT_E_NS1_11comp_targetILNS1_3genE5ELNS1_11target_archE942ELNS1_3gpuE9ELNS1_3repE0EEENS1_30default_config_static_selectorELNS0_4arch9wavefront6targetE0EEEvSS_
		.amdhsa_group_segment_fixed_size 0
		.amdhsa_private_segment_fixed_size 0
		.amdhsa_kernarg_size 64
		.amdhsa_user_sgpr_count 2
		.amdhsa_user_sgpr_dispatch_ptr 0
		.amdhsa_user_sgpr_queue_ptr 0
		.amdhsa_user_sgpr_kernarg_segment_ptr 1
		.amdhsa_user_sgpr_dispatch_id 0
		.amdhsa_user_sgpr_kernarg_preload_length 0
		.amdhsa_user_sgpr_kernarg_preload_offset 0
		.amdhsa_user_sgpr_private_segment_size 0
		.amdhsa_wavefront_size32 1
		.amdhsa_uses_dynamic_stack 0
		.amdhsa_enable_private_segment 0
		.amdhsa_system_sgpr_workgroup_id_x 1
		.amdhsa_system_sgpr_workgroup_id_y 0
		.amdhsa_system_sgpr_workgroup_id_z 0
		.amdhsa_system_sgpr_workgroup_info 0
		.amdhsa_system_vgpr_workitem_id 0
		.amdhsa_next_free_vgpr 1
		.amdhsa_next_free_sgpr 1
		.amdhsa_named_barrier_count 0
		.amdhsa_reserve_vcc 0
		.amdhsa_float_round_mode_32 0
		.amdhsa_float_round_mode_16_64 0
		.amdhsa_float_denorm_mode_32 3
		.amdhsa_float_denorm_mode_16_64 3
		.amdhsa_fp16_overflow 0
		.amdhsa_memory_ordered 1
		.amdhsa_forward_progress 1
		.amdhsa_inst_pref_size 0
		.amdhsa_round_robin_scheduling 0
		.amdhsa_exception_fp_ieee_invalid_op 0
		.amdhsa_exception_fp_denorm_src 0
		.amdhsa_exception_fp_ieee_div_zero 0
		.amdhsa_exception_fp_ieee_overflow 0
		.amdhsa_exception_fp_ieee_underflow 0
		.amdhsa_exception_fp_ieee_inexact 0
		.amdhsa_exception_int_div_zero 0
	.end_amdhsa_kernel
	.section	.text._ZN7rocprim17ROCPRIM_400000_NS6detail17trampoline_kernelINS0_14default_configENS1_21merge_config_selectorINS0_5tupleIJiiEEENS0_10empty_typeEEEZNS1_10merge_implIS3_NS0_12zip_iteratorINS5_IJN6thrust23THRUST_200600_302600_NS10device_ptrIiEESE_EEEEESG_SG_PS7_SH_SH_NSC_11hip_rocprim7__merge17predicate_wrapperIiiNSC_4lessIiEEEEEE10hipError_tPvRmT0_T1_T2_T3_T4_T5_mmT6_P12ihipStream_tbEUlT_E_NS1_11comp_targetILNS1_3genE5ELNS1_11target_archE942ELNS1_3gpuE9ELNS1_3repE0EEENS1_30default_config_static_selectorELNS0_4arch9wavefront6targetE0EEEvSS_,"axG",@progbits,_ZN7rocprim17ROCPRIM_400000_NS6detail17trampoline_kernelINS0_14default_configENS1_21merge_config_selectorINS0_5tupleIJiiEEENS0_10empty_typeEEEZNS1_10merge_implIS3_NS0_12zip_iteratorINS5_IJN6thrust23THRUST_200600_302600_NS10device_ptrIiEESE_EEEEESG_SG_PS7_SH_SH_NSC_11hip_rocprim7__merge17predicate_wrapperIiiNSC_4lessIiEEEEEE10hipError_tPvRmT0_T1_T2_T3_T4_T5_mmT6_P12ihipStream_tbEUlT_E_NS1_11comp_targetILNS1_3genE5ELNS1_11target_archE942ELNS1_3gpuE9ELNS1_3repE0EEENS1_30default_config_static_selectorELNS0_4arch9wavefront6targetE0EEEvSS_,comdat
.Lfunc_end625:
	.size	_ZN7rocprim17ROCPRIM_400000_NS6detail17trampoline_kernelINS0_14default_configENS1_21merge_config_selectorINS0_5tupleIJiiEEENS0_10empty_typeEEEZNS1_10merge_implIS3_NS0_12zip_iteratorINS5_IJN6thrust23THRUST_200600_302600_NS10device_ptrIiEESE_EEEEESG_SG_PS7_SH_SH_NSC_11hip_rocprim7__merge17predicate_wrapperIiiNSC_4lessIiEEEEEE10hipError_tPvRmT0_T1_T2_T3_T4_T5_mmT6_P12ihipStream_tbEUlT_E_NS1_11comp_targetILNS1_3genE5ELNS1_11target_archE942ELNS1_3gpuE9ELNS1_3repE0EEENS1_30default_config_static_selectorELNS0_4arch9wavefront6targetE0EEEvSS_, .Lfunc_end625-_ZN7rocprim17ROCPRIM_400000_NS6detail17trampoline_kernelINS0_14default_configENS1_21merge_config_selectorINS0_5tupleIJiiEEENS0_10empty_typeEEEZNS1_10merge_implIS3_NS0_12zip_iteratorINS5_IJN6thrust23THRUST_200600_302600_NS10device_ptrIiEESE_EEEEESG_SG_PS7_SH_SH_NSC_11hip_rocprim7__merge17predicate_wrapperIiiNSC_4lessIiEEEEEE10hipError_tPvRmT0_T1_T2_T3_T4_T5_mmT6_P12ihipStream_tbEUlT_E_NS1_11comp_targetILNS1_3genE5ELNS1_11target_archE942ELNS1_3gpuE9ELNS1_3repE0EEENS1_30default_config_static_selectorELNS0_4arch9wavefront6targetE0EEEvSS_
                                        ; -- End function
	.set _ZN7rocprim17ROCPRIM_400000_NS6detail17trampoline_kernelINS0_14default_configENS1_21merge_config_selectorINS0_5tupleIJiiEEENS0_10empty_typeEEEZNS1_10merge_implIS3_NS0_12zip_iteratorINS5_IJN6thrust23THRUST_200600_302600_NS10device_ptrIiEESE_EEEEESG_SG_PS7_SH_SH_NSC_11hip_rocprim7__merge17predicate_wrapperIiiNSC_4lessIiEEEEEE10hipError_tPvRmT0_T1_T2_T3_T4_T5_mmT6_P12ihipStream_tbEUlT_E_NS1_11comp_targetILNS1_3genE5ELNS1_11target_archE942ELNS1_3gpuE9ELNS1_3repE0EEENS1_30default_config_static_selectorELNS0_4arch9wavefront6targetE0EEEvSS_.num_vgpr, 0
	.set _ZN7rocprim17ROCPRIM_400000_NS6detail17trampoline_kernelINS0_14default_configENS1_21merge_config_selectorINS0_5tupleIJiiEEENS0_10empty_typeEEEZNS1_10merge_implIS3_NS0_12zip_iteratorINS5_IJN6thrust23THRUST_200600_302600_NS10device_ptrIiEESE_EEEEESG_SG_PS7_SH_SH_NSC_11hip_rocprim7__merge17predicate_wrapperIiiNSC_4lessIiEEEEEE10hipError_tPvRmT0_T1_T2_T3_T4_T5_mmT6_P12ihipStream_tbEUlT_E_NS1_11comp_targetILNS1_3genE5ELNS1_11target_archE942ELNS1_3gpuE9ELNS1_3repE0EEENS1_30default_config_static_selectorELNS0_4arch9wavefront6targetE0EEEvSS_.num_agpr, 0
	.set _ZN7rocprim17ROCPRIM_400000_NS6detail17trampoline_kernelINS0_14default_configENS1_21merge_config_selectorINS0_5tupleIJiiEEENS0_10empty_typeEEEZNS1_10merge_implIS3_NS0_12zip_iteratorINS5_IJN6thrust23THRUST_200600_302600_NS10device_ptrIiEESE_EEEEESG_SG_PS7_SH_SH_NSC_11hip_rocprim7__merge17predicate_wrapperIiiNSC_4lessIiEEEEEE10hipError_tPvRmT0_T1_T2_T3_T4_T5_mmT6_P12ihipStream_tbEUlT_E_NS1_11comp_targetILNS1_3genE5ELNS1_11target_archE942ELNS1_3gpuE9ELNS1_3repE0EEENS1_30default_config_static_selectorELNS0_4arch9wavefront6targetE0EEEvSS_.numbered_sgpr, 0
	.set _ZN7rocprim17ROCPRIM_400000_NS6detail17trampoline_kernelINS0_14default_configENS1_21merge_config_selectorINS0_5tupleIJiiEEENS0_10empty_typeEEEZNS1_10merge_implIS3_NS0_12zip_iteratorINS5_IJN6thrust23THRUST_200600_302600_NS10device_ptrIiEESE_EEEEESG_SG_PS7_SH_SH_NSC_11hip_rocprim7__merge17predicate_wrapperIiiNSC_4lessIiEEEEEE10hipError_tPvRmT0_T1_T2_T3_T4_T5_mmT6_P12ihipStream_tbEUlT_E_NS1_11comp_targetILNS1_3genE5ELNS1_11target_archE942ELNS1_3gpuE9ELNS1_3repE0EEENS1_30default_config_static_selectorELNS0_4arch9wavefront6targetE0EEEvSS_.num_named_barrier, 0
	.set _ZN7rocprim17ROCPRIM_400000_NS6detail17trampoline_kernelINS0_14default_configENS1_21merge_config_selectorINS0_5tupleIJiiEEENS0_10empty_typeEEEZNS1_10merge_implIS3_NS0_12zip_iteratorINS5_IJN6thrust23THRUST_200600_302600_NS10device_ptrIiEESE_EEEEESG_SG_PS7_SH_SH_NSC_11hip_rocprim7__merge17predicate_wrapperIiiNSC_4lessIiEEEEEE10hipError_tPvRmT0_T1_T2_T3_T4_T5_mmT6_P12ihipStream_tbEUlT_E_NS1_11comp_targetILNS1_3genE5ELNS1_11target_archE942ELNS1_3gpuE9ELNS1_3repE0EEENS1_30default_config_static_selectorELNS0_4arch9wavefront6targetE0EEEvSS_.private_seg_size, 0
	.set _ZN7rocprim17ROCPRIM_400000_NS6detail17trampoline_kernelINS0_14default_configENS1_21merge_config_selectorINS0_5tupleIJiiEEENS0_10empty_typeEEEZNS1_10merge_implIS3_NS0_12zip_iteratorINS5_IJN6thrust23THRUST_200600_302600_NS10device_ptrIiEESE_EEEEESG_SG_PS7_SH_SH_NSC_11hip_rocprim7__merge17predicate_wrapperIiiNSC_4lessIiEEEEEE10hipError_tPvRmT0_T1_T2_T3_T4_T5_mmT6_P12ihipStream_tbEUlT_E_NS1_11comp_targetILNS1_3genE5ELNS1_11target_archE942ELNS1_3gpuE9ELNS1_3repE0EEENS1_30default_config_static_selectorELNS0_4arch9wavefront6targetE0EEEvSS_.uses_vcc, 0
	.set _ZN7rocprim17ROCPRIM_400000_NS6detail17trampoline_kernelINS0_14default_configENS1_21merge_config_selectorINS0_5tupleIJiiEEENS0_10empty_typeEEEZNS1_10merge_implIS3_NS0_12zip_iteratorINS5_IJN6thrust23THRUST_200600_302600_NS10device_ptrIiEESE_EEEEESG_SG_PS7_SH_SH_NSC_11hip_rocprim7__merge17predicate_wrapperIiiNSC_4lessIiEEEEEE10hipError_tPvRmT0_T1_T2_T3_T4_T5_mmT6_P12ihipStream_tbEUlT_E_NS1_11comp_targetILNS1_3genE5ELNS1_11target_archE942ELNS1_3gpuE9ELNS1_3repE0EEENS1_30default_config_static_selectorELNS0_4arch9wavefront6targetE0EEEvSS_.uses_flat_scratch, 0
	.set _ZN7rocprim17ROCPRIM_400000_NS6detail17trampoline_kernelINS0_14default_configENS1_21merge_config_selectorINS0_5tupleIJiiEEENS0_10empty_typeEEEZNS1_10merge_implIS3_NS0_12zip_iteratorINS5_IJN6thrust23THRUST_200600_302600_NS10device_ptrIiEESE_EEEEESG_SG_PS7_SH_SH_NSC_11hip_rocprim7__merge17predicate_wrapperIiiNSC_4lessIiEEEEEE10hipError_tPvRmT0_T1_T2_T3_T4_T5_mmT6_P12ihipStream_tbEUlT_E_NS1_11comp_targetILNS1_3genE5ELNS1_11target_archE942ELNS1_3gpuE9ELNS1_3repE0EEENS1_30default_config_static_selectorELNS0_4arch9wavefront6targetE0EEEvSS_.has_dyn_sized_stack, 0
	.set _ZN7rocprim17ROCPRIM_400000_NS6detail17trampoline_kernelINS0_14default_configENS1_21merge_config_selectorINS0_5tupleIJiiEEENS0_10empty_typeEEEZNS1_10merge_implIS3_NS0_12zip_iteratorINS5_IJN6thrust23THRUST_200600_302600_NS10device_ptrIiEESE_EEEEESG_SG_PS7_SH_SH_NSC_11hip_rocprim7__merge17predicate_wrapperIiiNSC_4lessIiEEEEEE10hipError_tPvRmT0_T1_T2_T3_T4_T5_mmT6_P12ihipStream_tbEUlT_E_NS1_11comp_targetILNS1_3genE5ELNS1_11target_archE942ELNS1_3gpuE9ELNS1_3repE0EEENS1_30default_config_static_selectorELNS0_4arch9wavefront6targetE0EEEvSS_.has_recursion, 0
	.set _ZN7rocprim17ROCPRIM_400000_NS6detail17trampoline_kernelINS0_14default_configENS1_21merge_config_selectorINS0_5tupleIJiiEEENS0_10empty_typeEEEZNS1_10merge_implIS3_NS0_12zip_iteratorINS5_IJN6thrust23THRUST_200600_302600_NS10device_ptrIiEESE_EEEEESG_SG_PS7_SH_SH_NSC_11hip_rocprim7__merge17predicate_wrapperIiiNSC_4lessIiEEEEEE10hipError_tPvRmT0_T1_T2_T3_T4_T5_mmT6_P12ihipStream_tbEUlT_E_NS1_11comp_targetILNS1_3genE5ELNS1_11target_archE942ELNS1_3gpuE9ELNS1_3repE0EEENS1_30default_config_static_selectorELNS0_4arch9wavefront6targetE0EEEvSS_.has_indirect_call, 0
	.section	.AMDGPU.csdata,"",@progbits
; Kernel info:
; codeLenInByte = 0
; TotalNumSgprs: 0
; NumVgprs: 0
; ScratchSize: 0
; MemoryBound: 0
; FloatMode: 240
; IeeeMode: 1
; LDSByteSize: 0 bytes/workgroup (compile time only)
; SGPRBlocks: 0
; VGPRBlocks: 0
; NumSGPRsForWavesPerEU: 1
; NumVGPRsForWavesPerEU: 1
; NamedBarCnt: 0
; Occupancy: 16
; WaveLimiterHint : 0
; COMPUTE_PGM_RSRC2:SCRATCH_EN: 0
; COMPUTE_PGM_RSRC2:USER_SGPR: 2
; COMPUTE_PGM_RSRC2:TRAP_HANDLER: 0
; COMPUTE_PGM_RSRC2:TGID_X_EN: 1
; COMPUTE_PGM_RSRC2:TGID_Y_EN: 0
; COMPUTE_PGM_RSRC2:TGID_Z_EN: 0
; COMPUTE_PGM_RSRC2:TIDIG_COMP_CNT: 0
	.section	.text._ZN7rocprim17ROCPRIM_400000_NS6detail17trampoline_kernelINS0_14default_configENS1_21merge_config_selectorINS0_5tupleIJiiEEENS0_10empty_typeEEEZNS1_10merge_implIS3_NS0_12zip_iteratorINS5_IJN6thrust23THRUST_200600_302600_NS10device_ptrIiEESE_EEEEESG_SG_PS7_SH_SH_NSC_11hip_rocprim7__merge17predicate_wrapperIiiNSC_4lessIiEEEEEE10hipError_tPvRmT0_T1_T2_T3_T4_T5_mmT6_P12ihipStream_tbEUlT_E_NS1_11comp_targetILNS1_3genE4ELNS1_11target_archE910ELNS1_3gpuE8ELNS1_3repE0EEENS1_30default_config_static_selectorELNS0_4arch9wavefront6targetE0EEEvSS_,"axG",@progbits,_ZN7rocprim17ROCPRIM_400000_NS6detail17trampoline_kernelINS0_14default_configENS1_21merge_config_selectorINS0_5tupleIJiiEEENS0_10empty_typeEEEZNS1_10merge_implIS3_NS0_12zip_iteratorINS5_IJN6thrust23THRUST_200600_302600_NS10device_ptrIiEESE_EEEEESG_SG_PS7_SH_SH_NSC_11hip_rocprim7__merge17predicate_wrapperIiiNSC_4lessIiEEEEEE10hipError_tPvRmT0_T1_T2_T3_T4_T5_mmT6_P12ihipStream_tbEUlT_E_NS1_11comp_targetILNS1_3genE4ELNS1_11target_archE910ELNS1_3gpuE8ELNS1_3repE0EEENS1_30default_config_static_selectorELNS0_4arch9wavefront6targetE0EEEvSS_,comdat
	.protected	_ZN7rocprim17ROCPRIM_400000_NS6detail17trampoline_kernelINS0_14default_configENS1_21merge_config_selectorINS0_5tupleIJiiEEENS0_10empty_typeEEEZNS1_10merge_implIS3_NS0_12zip_iteratorINS5_IJN6thrust23THRUST_200600_302600_NS10device_ptrIiEESE_EEEEESG_SG_PS7_SH_SH_NSC_11hip_rocprim7__merge17predicate_wrapperIiiNSC_4lessIiEEEEEE10hipError_tPvRmT0_T1_T2_T3_T4_T5_mmT6_P12ihipStream_tbEUlT_E_NS1_11comp_targetILNS1_3genE4ELNS1_11target_archE910ELNS1_3gpuE8ELNS1_3repE0EEENS1_30default_config_static_selectorELNS0_4arch9wavefront6targetE0EEEvSS_ ; -- Begin function _ZN7rocprim17ROCPRIM_400000_NS6detail17trampoline_kernelINS0_14default_configENS1_21merge_config_selectorINS0_5tupleIJiiEEENS0_10empty_typeEEEZNS1_10merge_implIS3_NS0_12zip_iteratorINS5_IJN6thrust23THRUST_200600_302600_NS10device_ptrIiEESE_EEEEESG_SG_PS7_SH_SH_NSC_11hip_rocprim7__merge17predicate_wrapperIiiNSC_4lessIiEEEEEE10hipError_tPvRmT0_T1_T2_T3_T4_T5_mmT6_P12ihipStream_tbEUlT_E_NS1_11comp_targetILNS1_3genE4ELNS1_11target_archE910ELNS1_3gpuE8ELNS1_3repE0EEENS1_30default_config_static_selectorELNS0_4arch9wavefront6targetE0EEEvSS_
	.globl	_ZN7rocprim17ROCPRIM_400000_NS6detail17trampoline_kernelINS0_14default_configENS1_21merge_config_selectorINS0_5tupleIJiiEEENS0_10empty_typeEEEZNS1_10merge_implIS3_NS0_12zip_iteratorINS5_IJN6thrust23THRUST_200600_302600_NS10device_ptrIiEESE_EEEEESG_SG_PS7_SH_SH_NSC_11hip_rocprim7__merge17predicate_wrapperIiiNSC_4lessIiEEEEEE10hipError_tPvRmT0_T1_T2_T3_T4_T5_mmT6_P12ihipStream_tbEUlT_E_NS1_11comp_targetILNS1_3genE4ELNS1_11target_archE910ELNS1_3gpuE8ELNS1_3repE0EEENS1_30default_config_static_selectorELNS0_4arch9wavefront6targetE0EEEvSS_
	.p2align	8
	.type	_ZN7rocprim17ROCPRIM_400000_NS6detail17trampoline_kernelINS0_14default_configENS1_21merge_config_selectorINS0_5tupleIJiiEEENS0_10empty_typeEEEZNS1_10merge_implIS3_NS0_12zip_iteratorINS5_IJN6thrust23THRUST_200600_302600_NS10device_ptrIiEESE_EEEEESG_SG_PS7_SH_SH_NSC_11hip_rocprim7__merge17predicate_wrapperIiiNSC_4lessIiEEEEEE10hipError_tPvRmT0_T1_T2_T3_T4_T5_mmT6_P12ihipStream_tbEUlT_E_NS1_11comp_targetILNS1_3genE4ELNS1_11target_archE910ELNS1_3gpuE8ELNS1_3repE0EEENS1_30default_config_static_selectorELNS0_4arch9wavefront6targetE0EEEvSS_,@function
_ZN7rocprim17ROCPRIM_400000_NS6detail17trampoline_kernelINS0_14default_configENS1_21merge_config_selectorINS0_5tupleIJiiEEENS0_10empty_typeEEEZNS1_10merge_implIS3_NS0_12zip_iteratorINS5_IJN6thrust23THRUST_200600_302600_NS10device_ptrIiEESE_EEEEESG_SG_PS7_SH_SH_NSC_11hip_rocprim7__merge17predicate_wrapperIiiNSC_4lessIiEEEEEE10hipError_tPvRmT0_T1_T2_T3_T4_T5_mmT6_P12ihipStream_tbEUlT_E_NS1_11comp_targetILNS1_3genE4ELNS1_11target_archE910ELNS1_3gpuE8ELNS1_3repE0EEENS1_30default_config_static_selectorELNS0_4arch9wavefront6targetE0EEEvSS_: ; @_ZN7rocprim17ROCPRIM_400000_NS6detail17trampoline_kernelINS0_14default_configENS1_21merge_config_selectorINS0_5tupleIJiiEEENS0_10empty_typeEEEZNS1_10merge_implIS3_NS0_12zip_iteratorINS5_IJN6thrust23THRUST_200600_302600_NS10device_ptrIiEESE_EEEEESG_SG_PS7_SH_SH_NSC_11hip_rocprim7__merge17predicate_wrapperIiiNSC_4lessIiEEEEEE10hipError_tPvRmT0_T1_T2_T3_T4_T5_mmT6_P12ihipStream_tbEUlT_E_NS1_11comp_targetILNS1_3genE4ELNS1_11target_archE910ELNS1_3gpuE8ELNS1_3repE0EEENS1_30default_config_static_selectorELNS0_4arch9wavefront6targetE0EEEvSS_
; %bb.0:
	.section	.rodata,"a",@progbits
	.p2align	6, 0x0
	.amdhsa_kernel _ZN7rocprim17ROCPRIM_400000_NS6detail17trampoline_kernelINS0_14default_configENS1_21merge_config_selectorINS0_5tupleIJiiEEENS0_10empty_typeEEEZNS1_10merge_implIS3_NS0_12zip_iteratorINS5_IJN6thrust23THRUST_200600_302600_NS10device_ptrIiEESE_EEEEESG_SG_PS7_SH_SH_NSC_11hip_rocprim7__merge17predicate_wrapperIiiNSC_4lessIiEEEEEE10hipError_tPvRmT0_T1_T2_T3_T4_T5_mmT6_P12ihipStream_tbEUlT_E_NS1_11comp_targetILNS1_3genE4ELNS1_11target_archE910ELNS1_3gpuE8ELNS1_3repE0EEENS1_30default_config_static_selectorELNS0_4arch9wavefront6targetE0EEEvSS_
		.amdhsa_group_segment_fixed_size 0
		.amdhsa_private_segment_fixed_size 0
		.amdhsa_kernarg_size 64
		.amdhsa_user_sgpr_count 2
		.amdhsa_user_sgpr_dispatch_ptr 0
		.amdhsa_user_sgpr_queue_ptr 0
		.amdhsa_user_sgpr_kernarg_segment_ptr 1
		.amdhsa_user_sgpr_dispatch_id 0
		.amdhsa_user_sgpr_kernarg_preload_length 0
		.amdhsa_user_sgpr_kernarg_preload_offset 0
		.amdhsa_user_sgpr_private_segment_size 0
		.amdhsa_wavefront_size32 1
		.amdhsa_uses_dynamic_stack 0
		.amdhsa_enable_private_segment 0
		.amdhsa_system_sgpr_workgroup_id_x 1
		.amdhsa_system_sgpr_workgroup_id_y 0
		.amdhsa_system_sgpr_workgroup_id_z 0
		.amdhsa_system_sgpr_workgroup_info 0
		.amdhsa_system_vgpr_workitem_id 0
		.amdhsa_next_free_vgpr 1
		.amdhsa_next_free_sgpr 1
		.amdhsa_named_barrier_count 0
		.amdhsa_reserve_vcc 0
		.amdhsa_float_round_mode_32 0
		.amdhsa_float_round_mode_16_64 0
		.amdhsa_float_denorm_mode_32 3
		.amdhsa_float_denorm_mode_16_64 3
		.amdhsa_fp16_overflow 0
		.amdhsa_memory_ordered 1
		.amdhsa_forward_progress 1
		.amdhsa_inst_pref_size 0
		.amdhsa_round_robin_scheduling 0
		.amdhsa_exception_fp_ieee_invalid_op 0
		.amdhsa_exception_fp_denorm_src 0
		.amdhsa_exception_fp_ieee_div_zero 0
		.amdhsa_exception_fp_ieee_overflow 0
		.amdhsa_exception_fp_ieee_underflow 0
		.amdhsa_exception_fp_ieee_inexact 0
		.amdhsa_exception_int_div_zero 0
	.end_amdhsa_kernel
	.section	.text._ZN7rocprim17ROCPRIM_400000_NS6detail17trampoline_kernelINS0_14default_configENS1_21merge_config_selectorINS0_5tupleIJiiEEENS0_10empty_typeEEEZNS1_10merge_implIS3_NS0_12zip_iteratorINS5_IJN6thrust23THRUST_200600_302600_NS10device_ptrIiEESE_EEEEESG_SG_PS7_SH_SH_NSC_11hip_rocprim7__merge17predicate_wrapperIiiNSC_4lessIiEEEEEE10hipError_tPvRmT0_T1_T2_T3_T4_T5_mmT6_P12ihipStream_tbEUlT_E_NS1_11comp_targetILNS1_3genE4ELNS1_11target_archE910ELNS1_3gpuE8ELNS1_3repE0EEENS1_30default_config_static_selectorELNS0_4arch9wavefront6targetE0EEEvSS_,"axG",@progbits,_ZN7rocprim17ROCPRIM_400000_NS6detail17trampoline_kernelINS0_14default_configENS1_21merge_config_selectorINS0_5tupleIJiiEEENS0_10empty_typeEEEZNS1_10merge_implIS3_NS0_12zip_iteratorINS5_IJN6thrust23THRUST_200600_302600_NS10device_ptrIiEESE_EEEEESG_SG_PS7_SH_SH_NSC_11hip_rocprim7__merge17predicate_wrapperIiiNSC_4lessIiEEEEEE10hipError_tPvRmT0_T1_T2_T3_T4_T5_mmT6_P12ihipStream_tbEUlT_E_NS1_11comp_targetILNS1_3genE4ELNS1_11target_archE910ELNS1_3gpuE8ELNS1_3repE0EEENS1_30default_config_static_selectorELNS0_4arch9wavefront6targetE0EEEvSS_,comdat
.Lfunc_end626:
	.size	_ZN7rocprim17ROCPRIM_400000_NS6detail17trampoline_kernelINS0_14default_configENS1_21merge_config_selectorINS0_5tupleIJiiEEENS0_10empty_typeEEEZNS1_10merge_implIS3_NS0_12zip_iteratorINS5_IJN6thrust23THRUST_200600_302600_NS10device_ptrIiEESE_EEEEESG_SG_PS7_SH_SH_NSC_11hip_rocprim7__merge17predicate_wrapperIiiNSC_4lessIiEEEEEE10hipError_tPvRmT0_T1_T2_T3_T4_T5_mmT6_P12ihipStream_tbEUlT_E_NS1_11comp_targetILNS1_3genE4ELNS1_11target_archE910ELNS1_3gpuE8ELNS1_3repE0EEENS1_30default_config_static_selectorELNS0_4arch9wavefront6targetE0EEEvSS_, .Lfunc_end626-_ZN7rocprim17ROCPRIM_400000_NS6detail17trampoline_kernelINS0_14default_configENS1_21merge_config_selectorINS0_5tupleIJiiEEENS0_10empty_typeEEEZNS1_10merge_implIS3_NS0_12zip_iteratorINS5_IJN6thrust23THRUST_200600_302600_NS10device_ptrIiEESE_EEEEESG_SG_PS7_SH_SH_NSC_11hip_rocprim7__merge17predicate_wrapperIiiNSC_4lessIiEEEEEE10hipError_tPvRmT0_T1_T2_T3_T4_T5_mmT6_P12ihipStream_tbEUlT_E_NS1_11comp_targetILNS1_3genE4ELNS1_11target_archE910ELNS1_3gpuE8ELNS1_3repE0EEENS1_30default_config_static_selectorELNS0_4arch9wavefront6targetE0EEEvSS_
                                        ; -- End function
	.set _ZN7rocprim17ROCPRIM_400000_NS6detail17trampoline_kernelINS0_14default_configENS1_21merge_config_selectorINS0_5tupleIJiiEEENS0_10empty_typeEEEZNS1_10merge_implIS3_NS0_12zip_iteratorINS5_IJN6thrust23THRUST_200600_302600_NS10device_ptrIiEESE_EEEEESG_SG_PS7_SH_SH_NSC_11hip_rocprim7__merge17predicate_wrapperIiiNSC_4lessIiEEEEEE10hipError_tPvRmT0_T1_T2_T3_T4_T5_mmT6_P12ihipStream_tbEUlT_E_NS1_11comp_targetILNS1_3genE4ELNS1_11target_archE910ELNS1_3gpuE8ELNS1_3repE0EEENS1_30default_config_static_selectorELNS0_4arch9wavefront6targetE0EEEvSS_.num_vgpr, 0
	.set _ZN7rocprim17ROCPRIM_400000_NS6detail17trampoline_kernelINS0_14default_configENS1_21merge_config_selectorINS0_5tupleIJiiEEENS0_10empty_typeEEEZNS1_10merge_implIS3_NS0_12zip_iteratorINS5_IJN6thrust23THRUST_200600_302600_NS10device_ptrIiEESE_EEEEESG_SG_PS7_SH_SH_NSC_11hip_rocprim7__merge17predicate_wrapperIiiNSC_4lessIiEEEEEE10hipError_tPvRmT0_T1_T2_T3_T4_T5_mmT6_P12ihipStream_tbEUlT_E_NS1_11comp_targetILNS1_3genE4ELNS1_11target_archE910ELNS1_3gpuE8ELNS1_3repE0EEENS1_30default_config_static_selectorELNS0_4arch9wavefront6targetE0EEEvSS_.num_agpr, 0
	.set _ZN7rocprim17ROCPRIM_400000_NS6detail17trampoline_kernelINS0_14default_configENS1_21merge_config_selectorINS0_5tupleIJiiEEENS0_10empty_typeEEEZNS1_10merge_implIS3_NS0_12zip_iteratorINS5_IJN6thrust23THRUST_200600_302600_NS10device_ptrIiEESE_EEEEESG_SG_PS7_SH_SH_NSC_11hip_rocprim7__merge17predicate_wrapperIiiNSC_4lessIiEEEEEE10hipError_tPvRmT0_T1_T2_T3_T4_T5_mmT6_P12ihipStream_tbEUlT_E_NS1_11comp_targetILNS1_3genE4ELNS1_11target_archE910ELNS1_3gpuE8ELNS1_3repE0EEENS1_30default_config_static_selectorELNS0_4arch9wavefront6targetE0EEEvSS_.numbered_sgpr, 0
	.set _ZN7rocprim17ROCPRIM_400000_NS6detail17trampoline_kernelINS0_14default_configENS1_21merge_config_selectorINS0_5tupleIJiiEEENS0_10empty_typeEEEZNS1_10merge_implIS3_NS0_12zip_iteratorINS5_IJN6thrust23THRUST_200600_302600_NS10device_ptrIiEESE_EEEEESG_SG_PS7_SH_SH_NSC_11hip_rocprim7__merge17predicate_wrapperIiiNSC_4lessIiEEEEEE10hipError_tPvRmT0_T1_T2_T3_T4_T5_mmT6_P12ihipStream_tbEUlT_E_NS1_11comp_targetILNS1_3genE4ELNS1_11target_archE910ELNS1_3gpuE8ELNS1_3repE0EEENS1_30default_config_static_selectorELNS0_4arch9wavefront6targetE0EEEvSS_.num_named_barrier, 0
	.set _ZN7rocprim17ROCPRIM_400000_NS6detail17trampoline_kernelINS0_14default_configENS1_21merge_config_selectorINS0_5tupleIJiiEEENS0_10empty_typeEEEZNS1_10merge_implIS3_NS0_12zip_iteratorINS5_IJN6thrust23THRUST_200600_302600_NS10device_ptrIiEESE_EEEEESG_SG_PS7_SH_SH_NSC_11hip_rocprim7__merge17predicate_wrapperIiiNSC_4lessIiEEEEEE10hipError_tPvRmT0_T1_T2_T3_T4_T5_mmT6_P12ihipStream_tbEUlT_E_NS1_11comp_targetILNS1_3genE4ELNS1_11target_archE910ELNS1_3gpuE8ELNS1_3repE0EEENS1_30default_config_static_selectorELNS0_4arch9wavefront6targetE0EEEvSS_.private_seg_size, 0
	.set _ZN7rocprim17ROCPRIM_400000_NS6detail17trampoline_kernelINS0_14default_configENS1_21merge_config_selectorINS0_5tupleIJiiEEENS0_10empty_typeEEEZNS1_10merge_implIS3_NS0_12zip_iteratorINS5_IJN6thrust23THRUST_200600_302600_NS10device_ptrIiEESE_EEEEESG_SG_PS7_SH_SH_NSC_11hip_rocprim7__merge17predicate_wrapperIiiNSC_4lessIiEEEEEE10hipError_tPvRmT0_T1_T2_T3_T4_T5_mmT6_P12ihipStream_tbEUlT_E_NS1_11comp_targetILNS1_3genE4ELNS1_11target_archE910ELNS1_3gpuE8ELNS1_3repE0EEENS1_30default_config_static_selectorELNS0_4arch9wavefront6targetE0EEEvSS_.uses_vcc, 0
	.set _ZN7rocprim17ROCPRIM_400000_NS6detail17trampoline_kernelINS0_14default_configENS1_21merge_config_selectorINS0_5tupleIJiiEEENS0_10empty_typeEEEZNS1_10merge_implIS3_NS0_12zip_iteratorINS5_IJN6thrust23THRUST_200600_302600_NS10device_ptrIiEESE_EEEEESG_SG_PS7_SH_SH_NSC_11hip_rocprim7__merge17predicate_wrapperIiiNSC_4lessIiEEEEEE10hipError_tPvRmT0_T1_T2_T3_T4_T5_mmT6_P12ihipStream_tbEUlT_E_NS1_11comp_targetILNS1_3genE4ELNS1_11target_archE910ELNS1_3gpuE8ELNS1_3repE0EEENS1_30default_config_static_selectorELNS0_4arch9wavefront6targetE0EEEvSS_.uses_flat_scratch, 0
	.set _ZN7rocprim17ROCPRIM_400000_NS6detail17trampoline_kernelINS0_14default_configENS1_21merge_config_selectorINS0_5tupleIJiiEEENS0_10empty_typeEEEZNS1_10merge_implIS3_NS0_12zip_iteratorINS5_IJN6thrust23THRUST_200600_302600_NS10device_ptrIiEESE_EEEEESG_SG_PS7_SH_SH_NSC_11hip_rocprim7__merge17predicate_wrapperIiiNSC_4lessIiEEEEEE10hipError_tPvRmT0_T1_T2_T3_T4_T5_mmT6_P12ihipStream_tbEUlT_E_NS1_11comp_targetILNS1_3genE4ELNS1_11target_archE910ELNS1_3gpuE8ELNS1_3repE0EEENS1_30default_config_static_selectorELNS0_4arch9wavefront6targetE0EEEvSS_.has_dyn_sized_stack, 0
	.set _ZN7rocprim17ROCPRIM_400000_NS6detail17trampoline_kernelINS0_14default_configENS1_21merge_config_selectorINS0_5tupleIJiiEEENS0_10empty_typeEEEZNS1_10merge_implIS3_NS0_12zip_iteratorINS5_IJN6thrust23THRUST_200600_302600_NS10device_ptrIiEESE_EEEEESG_SG_PS7_SH_SH_NSC_11hip_rocprim7__merge17predicate_wrapperIiiNSC_4lessIiEEEEEE10hipError_tPvRmT0_T1_T2_T3_T4_T5_mmT6_P12ihipStream_tbEUlT_E_NS1_11comp_targetILNS1_3genE4ELNS1_11target_archE910ELNS1_3gpuE8ELNS1_3repE0EEENS1_30default_config_static_selectorELNS0_4arch9wavefront6targetE0EEEvSS_.has_recursion, 0
	.set _ZN7rocprim17ROCPRIM_400000_NS6detail17trampoline_kernelINS0_14default_configENS1_21merge_config_selectorINS0_5tupleIJiiEEENS0_10empty_typeEEEZNS1_10merge_implIS3_NS0_12zip_iteratorINS5_IJN6thrust23THRUST_200600_302600_NS10device_ptrIiEESE_EEEEESG_SG_PS7_SH_SH_NSC_11hip_rocprim7__merge17predicate_wrapperIiiNSC_4lessIiEEEEEE10hipError_tPvRmT0_T1_T2_T3_T4_T5_mmT6_P12ihipStream_tbEUlT_E_NS1_11comp_targetILNS1_3genE4ELNS1_11target_archE910ELNS1_3gpuE8ELNS1_3repE0EEENS1_30default_config_static_selectorELNS0_4arch9wavefront6targetE0EEEvSS_.has_indirect_call, 0
	.section	.AMDGPU.csdata,"",@progbits
; Kernel info:
; codeLenInByte = 0
; TotalNumSgprs: 0
; NumVgprs: 0
; ScratchSize: 0
; MemoryBound: 0
; FloatMode: 240
; IeeeMode: 1
; LDSByteSize: 0 bytes/workgroup (compile time only)
; SGPRBlocks: 0
; VGPRBlocks: 0
; NumSGPRsForWavesPerEU: 1
; NumVGPRsForWavesPerEU: 1
; NamedBarCnt: 0
; Occupancy: 16
; WaveLimiterHint : 0
; COMPUTE_PGM_RSRC2:SCRATCH_EN: 0
; COMPUTE_PGM_RSRC2:USER_SGPR: 2
; COMPUTE_PGM_RSRC2:TRAP_HANDLER: 0
; COMPUTE_PGM_RSRC2:TGID_X_EN: 1
; COMPUTE_PGM_RSRC2:TGID_Y_EN: 0
; COMPUTE_PGM_RSRC2:TGID_Z_EN: 0
; COMPUTE_PGM_RSRC2:TIDIG_COMP_CNT: 0
	.section	.text._ZN7rocprim17ROCPRIM_400000_NS6detail17trampoline_kernelINS0_14default_configENS1_21merge_config_selectorINS0_5tupleIJiiEEENS0_10empty_typeEEEZNS1_10merge_implIS3_NS0_12zip_iteratorINS5_IJN6thrust23THRUST_200600_302600_NS10device_ptrIiEESE_EEEEESG_SG_PS7_SH_SH_NSC_11hip_rocprim7__merge17predicate_wrapperIiiNSC_4lessIiEEEEEE10hipError_tPvRmT0_T1_T2_T3_T4_T5_mmT6_P12ihipStream_tbEUlT_E_NS1_11comp_targetILNS1_3genE3ELNS1_11target_archE908ELNS1_3gpuE7ELNS1_3repE0EEENS1_30default_config_static_selectorELNS0_4arch9wavefront6targetE0EEEvSS_,"axG",@progbits,_ZN7rocprim17ROCPRIM_400000_NS6detail17trampoline_kernelINS0_14default_configENS1_21merge_config_selectorINS0_5tupleIJiiEEENS0_10empty_typeEEEZNS1_10merge_implIS3_NS0_12zip_iteratorINS5_IJN6thrust23THRUST_200600_302600_NS10device_ptrIiEESE_EEEEESG_SG_PS7_SH_SH_NSC_11hip_rocprim7__merge17predicate_wrapperIiiNSC_4lessIiEEEEEE10hipError_tPvRmT0_T1_T2_T3_T4_T5_mmT6_P12ihipStream_tbEUlT_E_NS1_11comp_targetILNS1_3genE3ELNS1_11target_archE908ELNS1_3gpuE7ELNS1_3repE0EEENS1_30default_config_static_selectorELNS0_4arch9wavefront6targetE0EEEvSS_,comdat
	.protected	_ZN7rocprim17ROCPRIM_400000_NS6detail17trampoline_kernelINS0_14default_configENS1_21merge_config_selectorINS0_5tupleIJiiEEENS0_10empty_typeEEEZNS1_10merge_implIS3_NS0_12zip_iteratorINS5_IJN6thrust23THRUST_200600_302600_NS10device_ptrIiEESE_EEEEESG_SG_PS7_SH_SH_NSC_11hip_rocprim7__merge17predicate_wrapperIiiNSC_4lessIiEEEEEE10hipError_tPvRmT0_T1_T2_T3_T4_T5_mmT6_P12ihipStream_tbEUlT_E_NS1_11comp_targetILNS1_3genE3ELNS1_11target_archE908ELNS1_3gpuE7ELNS1_3repE0EEENS1_30default_config_static_selectorELNS0_4arch9wavefront6targetE0EEEvSS_ ; -- Begin function _ZN7rocprim17ROCPRIM_400000_NS6detail17trampoline_kernelINS0_14default_configENS1_21merge_config_selectorINS0_5tupleIJiiEEENS0_10empty_typeEEEZNS1_10merge_implIS3_NS0_12zip_iteratorINS5_IJN6thrust23THRUST_200600_302600_NS10device_ptrIiEESE_EEEEESG_SG_PS7_SH_SH_NSC_11hip_rocprim7__merge17predicate_wrapperIiiNSC_4lessIiEEEEEE10hipError_tPvRmT0_T1_T2_T3_T4_T5_mmT6_P12ihipStream_tbEUlT_E_NS1_11comp_targetILNS1_3genE3ELNS1_11target_archE908ELNS1_3gpuE7ELNS1_3repE0EEENS1_30default_config_static_selectorELNS0_4arch9wavefront6targetE0EEEvSS_
	.globl	_ZN7rocprim17ROCPRIM_400000_NS6detail17trampoline_kernelINS0_14default_configENS1_21merge_config_selectorINS0_5tupleIJiiEEENS0_10empty_typeEEEZNS1_10merge_implIS3_NS0_12zip_iteratorINS5_IJN6thrust23THRUST_200600_302600_NS10device_ptrIiEESE_EEEEESG_SG_PS7_SH_SH_NSC_11hip_rocprim7__merge17predicate_wrapperIiiNSC_4lessIiEEEEEE10hipError_tPvRmT0_T1_T2_T3_T4_T5_mmT6_P12ihipStream_tbEUlT_E_NS1_11comp_targetILNS1_3genE3ELNS1_11target_archE908ELNS1_3gpuE7ELNS1_3repE0EEENS1_30default_config_static_selectorELNS0_4arch9wavefront6targetE0EEEvSS_
	.p2align	8
	.type	_ZN7rocprim17ROCPRIM_400000_NS6detail17trampoline_kernelINS0_14default_configENS1_21merge_config_selectorINS0_5tupleIJiiEEENS0_10empty_typeEEEZNS1_10merge_implIS3_NS0_12zip_iteratorINS5_IJN6thrust23THRUST_200600_302600_NS10device_ptrIiEESE_EEEEESG_SG_PS7_SH_SH_NSC_11hip_rocprim7__merge17predicate_wrapperIiiNSC_4lessIiEEEEEE10hipError_tPvRmT0_T1_T2_T3_T4_T5_mmT6_P12ihipStream_tbEUlT_E_NS1_11comp_targetILNS1_3genE3ELNS1_11target_archE908ELNS1_3gpuE7ELNS1_3repE0EEENS1_30default_config_static_selectorELNS0_4arch9wavefront6targetE0EEEvSS_,@function
_ZN7rocprim17ROCPRIM_400000_NS6detail17trampoline_kernelINS0_14default_configENS1_21merge_config_selectorINS0_5tupleIJiiEEENS0_10empty_typeEEEZNS1_10merge_implIS3_NS0_12zip_iteratorINS5_IJN6thrust23THRUST_200600_302600_NS10device_ptrIiEESE_EEEEESG_SG_PS7_SH_SH_NSC_11hip_rocprim7__merge17predicate_wrapperIiiNSC_4lessIiEEEEEE10hipError_tPvRmT0_T1_T2_T3_T4_T5_mmT6_P12ihipStream_tbEUlT_E_NS1_11comp_targetILNS1_3genE3ELNS1_11target_archE908ELNS1_3gpuE7ELNS1_3repE0EEENS1_30default_config_static_selectorELNS0_4arch9wavefront6targetE0EEEvSS_: ; @_ZN7rocprim17ROCPRIM_400000_NS6detail17trampoline_kernelINS0_14default_configENS1_21merge_config_selectorINS0_5tupleIJiiEEENS0_10empty_typeEEEZNS1_10merge_implIS3_NS0_12zip_iteratorINS5_IJN6thrust23THRUST_200600_302600_NS10device_ptrIiEESE_EEEEESG_SG_PS7_SH_SH_NSC_11hip_rocprim7__merge17predicate_wrapperIiiNSC_4lessIiEEEEEE10hipError_tPvRmT0_T1_T2_T3_T4_T5_mmT6_P12ihipStream_tbEUlT_E_NS1_11comp_targetILNS1_3genE3ELNS1_11target_archE908ELNS1_3gpuE7ELNS1_3repE0EEENS1_30default_config_static_selectorELNS0_4arch9wavefront6targetE0EEEvSS_
; %bb.0:
	.section	.rodata,"a",@progbits
	.p2align	6, 0x0
	.amdhsa_kernel _ZN7rocprim17ROCPRIM_400000_NS6detail17trampoline_kernelINS0_14default_configENS1_21merge_config_selectorINS0_5tupleIJiiEEENS0_10empty_typeEEEZNS1_10merge_implIS3_NS0_12zip_iteratorINS5_IJN6thrust23THRUST_200600_302600_NS10device_ptrIiEESE_EEEEESG_SG_PS7_SH_SH_NSC_11hip_rocprim7__merge17predicate_wrapperIiiNSC_4lessIiEEEEEE10hipError_tPvRmT0_T1_T2_T3_T4_T5_mmT6_P12ihipStream_tbEUlT_E_NS1_11comp_targetILNS1_3genE3ELNS1_11target_archE908ELNS1_3gpuE7ELNS1_3repE0EEENS1_30default_config_static_selectorELNS0_4arch9wavefront6targetE0EEEvSS_
		.amdhsa_group_segment_fixed_size 0
		.amdhsa_private_segment_fixed_size 0
		.amdhsa_kernarg_size 64
		.amdhsa_user_sgpr_count 2
		.amdhsa_user_sgpr_dispatch_ptr 0
		.amdhsa_user_sgpr_queue_ptr 0
		.amdhsa_user_sgpr_kernarg_segment_ptr 1
		.amdhsa_user_sgpr_dispatch_id 0
		.amdhsa_user_sgpr_kernarg_preload_length 0
		.amdhsa_user_sgpr_kernarg_preload_offset 0
		.amdhsa_user_sgpr_private_segment_size 0
		.amdhsa_wavefront_size32 1
		.amdhsa_uses_dynamic_stack 0
		.amdhsa_enable_private_segment 0
		.amdhsa_system_sgpr_workgroup_id_x 1
		.amdhsa_system_sgpr_workgroup_id_y 0
		.amdhsa_system_sgpr_workgroup_id_z 0
		.amdhsa_system_sgpr_workgroup_info 0
		.amdhsa_system_vgpr_workitem_id 0
		.amdhsa_next_free_vgpr 1
		.amdhsa_next_free_sgpr 1
		.amdhsa_named_barrier_count 0
		.amdhsa_reserve_vcc 0
		.amdhsa_float_round_mode_32 0
		.amdhsa_float_round_mode_16_64 0
		.amdhsa_float_denorm_mode_32 3
		.amdhsa_float_denorm_mode_16_64 3
		.amdhsa_fp16_overflow 0
		.amdhsa_memory_ordered 1
		.amdhsa_forward_progress 1
		.amdhsa_inst_pref_size 0
		.amdhsa_round_robin_scheduling 0
		.amdhsa_exception_fp_ieee_invalid_op 0
		.amdhsa_exception_fp_denorm_src 0
		.amdhsa_exception_fp_ieee_div_zero 0
		.amdhsa_exception_fp_ieee_overflow 0
		.amdhsa_exception_fp_ieee_underflow 0
		.amdhsa_exception_fp_ieee_inexact 0
		.amdhsa_exception_int_div_zero 0
	.end_amdhsa_kernel
	.section	.text._ZN7rocprim17ROCPRIM_400000_NS6detail17trampoline_kernelINS0_14default_configENS1_21merge_config_selectorINS0_5tupleIJiiEEENS0_10empty_typeEEEZNS1_10merge_implIS3_NS0_12zip_iteratorINS5_IJN6thrust23THRUST_200600_302600_NS10device_ptrIiEESE_EEEEESG_SG_PS7_SH_SH_NSC_11hip_rocprim7__merge17predicate_wrapperIiiNSC_4lessIiEEEEEE10hipError_tPvRmT0_T1_T2_T3_T4_T5_mmT6_P12ihipStream_tbEUlT_E_NS1_11comp_targetILNS1_3genE3ELNS1_11target_archE908ELNS1_3gpuE7ELNS1_3repE0EEENS1_30default_config_static_selectorELNS0_4arch9wavefront6targetE0EEEvSS_,"axG",@progbits,_ZN7rocprim17ROCPRIM_400000_NS6detail17trampoline_kernelINS0_14default_configENS1_21merge_config_selectorINS0_5tupleIJiiEEENS0_10empty_typeEEEZNS1_10merge_implIS3_NS0_12zip_iteratorINS5_IJN6thrust23THRUST_200600_302600_NS10device_ptrIiEESE_EEEEESG_SG_PS7_SH_SH_NSC_11hip_rocprim7__merge17predicate_wrapperIiiNSC_4lessIiEEEEEE10hipError_tPvRmT0_T1_T2_T3_T4_T5_mmT6_P12ihipStream_tbEUlT_E_NS1_11comp_targetILNS1_3genE3ELNS1_11target_archE908ELNS1_3gpuE7ELNS1_3repE0EEENS1_30default_config_static_selectorELNS0_4arch9wavefront6targetE0EEEvSS_,comdat
.Lfunc_end627:
	.size	_ZN7rocprim17ROCPRIM_400000_NS6detail17trampoline_kernelINS0_14default_configENS1_21merge_config_selectorINS0_5tupleIJiiEEENS0_10empty_typeEEEZNS1_10merge_implIS3_NS0_12zip_iteratorINS5_IJN6thrust23THRUST_200600_302600_NS10device_ptrIiEESE_EEEEESG_SG_PS7_SH_SH_NSC_11hip_rocprim7__merge17predicate_wrapperIiiNSC_4lessIiEEEEEE10hipError_tPvRmT0_T1_T2_T3_T4_T5_mmT6_P12ihipStream_tbEUlT_E_NS1_11comp_targetILNS1_3genE3ELNS1_11target_archE908ELNS1_3gpuE7ELNS1_3repE0EEENS1_30default_config_static_selectorELNS0_4arch9wavefront6targetE0EEEvSS_, .Lfunc_end627-_ZN7rocprim17ROCPRIM_400000_NS6detail17trampoline_kernelINS0_14default_configENS1_21merge_config_selectorINS0_5tupleIJiiEEENS0_10empty_typeEEEZNS1_10merge_implIS3_NS0_12zip_iteratorINS5_IJN6thrust23THRUST_200600_302600_NS10device_ptrIiEESE_EEEEESG_SG_PS7_SH_SH_NSC_11hip_rocprim7__merge17predicate_wrapperIiiNSC_4lessIiEEEEEE10hipError_tPvRmT0_T1_T2_T3_T4_T5_mmT6_P12ihipStream_tbEUlT_E_NS1_11comp_targetILNS1_3genE3ELNS1_11target_archE908ELNS1_3gpuE7ELNS1_3repE0EEENS1_30default_config_static_selectorELNS0_4arch9wavefront6targetE0EEEvSS_
                                        ; -- End function
	.set _ZN7rocprim17ROCPRIM_400000_NS6detail17trampoline_kernelINS0_14default_configENS1_21merge_config_selectorINS0_5tupleIJiiEEENS0_10empty_typeEEEZNS1_10merge_implIS3_NS0_12zip_iteratorINS5_IJN6thrust23THRUST_200600_302600_NS10device_ptrIiEESE_EEEEESG_SG_PS7_SH_SH_NSC_11hip_rocprim7__merge17predicate_wrapperIiiNSC_4lessIiEEEEEE10hipError_tPvRmT0_T1_T2_T3_T4_T5_mmT6_P12ihipStream_tbEUlT_E_NS1_11comp_targetILNS1_3genE3ELNS1_11target_archE908ELNS1_3gpuE7ELNS1_3repE0EEENS1_30default_config_static_selectorELNS0_4arch9wavefront6targetE0EEEvSS_.num_vgpr, 0
	.set _ZN7rocprim17ROCPRIM_400000_NS6detail17trampoline_kernelINS0_14default_configENS1_21merge_config_selectorINS0_5tupleIJiiEEENS0_10empty_typeEEEZNS1_10merge_implIS3_NS0_12zip_iteratorINS5_IJN6thrust23THRUST_200600_302600_NS10device_ptrIiEESE_EEEEESG_SG_PS7_SH_SH_NSC_11hip_rocprim7__merge17predicate_wrapperIiiNSC_4lessIiEEEEEE10hipError_tPvRmT0_T1_T2_T3_T4_T5_mmT6_P12ihipStream_tbEUlT_E_NS1_11comp_targetILNS1_3genE3ELNS1_11target_archE908ELNS1_3gpuE7ELNS1_3repE0EEENS1_30default_config_static_selectorELNS0_4arch9wavefront6targetE0EEEvSS_.num_agpr, 0
	.set _ZN7rocprim17ROCPRIM_400000_NS6detail17trampoline_kernelINS0_14default_configENS1_21merge_config_selectorINS0_5tupleIJiiEEENS0_10empty_typeEEEZNS1_10merge_implIS3_NS0_12zip_iteratorINS5_IJN6thrust23THRUST_200600_302600_NS10device_ptrIiEESE_EEEEESG_SG_PS7_SH_SH_NSC_11hip_rocprim7__merge17predicate_wrapperIiiNSC_4lessIiEEEEEE10hipError_tPvRmT0_T1_T2_T3_T4_T5_mmT6_P12ihipStream_tbEUlT_E_NS1_11comp_targetILNS1_3genE3ELNS1_11target_archE908ELNS1_3gpuE7ELNS1_3repE0EEENS1_30default_config_static_selectorELNS0_4arch9wavefront6targetE0EEEvSS_.numbered_sgpr, 0
	.set _ZN7rocprim17ROCPRIM_400000_NS6detail17trampoline_kernelINS0_14default_configENS1_21merge_config_selectorINS0_5tupleIJiiEEENS0_10empty_typeEEEZNS1_10merge_implIS3_NS0_12zip_iteratorINS5_IJN6thrust23THRUST_200600_302600_NS10device_ptrIiEESE_EEEEESG_SG_PS7_SH_SH_NSC_11hip_rocprim7__merge17predicate_wrapperIiiNSC_4lessIiEEEEEE10hipError_tPvRmT0_T1_T2_T3_T4_T5_mmT6_P12ihipStream_tbEUlT_E_NS1_11comp_targetILNS1_3genE3ELNS1_11target_archE908ELNS1_3gpuE7ELNS1_3repE0EEENS1_30default_config_static_selectorELNS0_4arch9wavefront6targetE0EEEvSS_.num_named_barrier, 0
	.set _ZN7rocprim17ROCPRIM_400000_NS6detail17trampoline_kernelINS0_14default_configENS1_21merge_config_selectorINS0_5tupleIJiiEEENS0_10empty_typeEEEZNS1_10merge_implIS3_NS0_12zip_iteratorINS5_IJN6thrust23THRUST_200600_302600_NS10device_ptrIiEESE_EEEEESG_SG_PS7_SH_SH_NSC_11hip_rocprim7__merge17predicate_wrapperIiiNSC_4lessIiEEEEEE10hipError_tPvRmT0_T1_T2_T3_T4_T5_mmT6_P12ihipStream_tbEUlT_E_NS1_11comp_targetILNS1_3genE3ELNS1_11target_archE908ELNS1_3gpuE7ELNS1_3repE0EEENS1_30default_config_static_selectorELNS0_4arch9wavefront6targetE0EEEvSS_.private_seg_size, 0
	.set _ZN7rocprim17ROCPRIM_400000_NS6detail17trampoline_kernelINS0_14default_configENS1_21merge_config_selectorINS0_5tupleIJiiEEENS0_10empty_typeEEEZNS1_10merge_implIS3_NS0_12zip_iteratorINS5_IJN6thrust23THRUST_200600_302600_NS10device_ptrIiEESE_EEEEESG_SG_PS7_SH_SH_NSC_11hip_rocprim7__merge17predicate_wrapperIiiNSC_4lessIiEEEEEE10hipError_tPvRmT0_T1_T2_T3_T4_T5_mmT6_P12ihipStream_tbEUlT_E_NS1_11comp_targetILNS1_3genE3ELNS1_11target_archE908ELNS1_3gpuE7ELNS1_3repE0EEENS1_30default_config_static_selectorELNS0_4arch9wavefront6targetE0EEEvSS_.uses_vcc, 0
	.set _ZN7rocprim17ROCPRIM_400000_NS6detail17trampoline_kernelINS0_14default_configENS1_21merge_config_selectorINS0_5tupleIJiiEEENS0_10empty_typeEEEZNS1_10merge_implIS3_NS0_12zip_iteratorINS5_IJN6thrust23THRUST_200600_302600_NS10device_ptrIiEESE_EEEEESG_SG_PS7_SH_SH_NSC_11hip_rocprim7__merge17predicate_wrapperIiiNSC_4lessIiEEEEEE10hipError_tPvRmT0_T1_T2_T3_T4_T5_mmT6_P12ihipStream_tbEUlT_E_NS1_11comp_targetILNS1_3genE3ELNS1_11target_archE908ELNS1_3gpuE7ELNS1_3repE0EEENS1_30default_config_static_selectorELNS0_4arch9wavefront6targetE0EEEvSS_.uses_flat_scratch, 0
	.set _ZN7rocprim17ROCPRIM_400000_NS6detail17trampoline_kernelINS0_14default_configENS1_21merge_config_selectorINS0_5tupleIJiiEEENS0_10empty_typeEEEZNS1_10merge_implIS3_NS0_12zip_iteratorINS5_IJN6thrust23THRUST_200600_302600_NS10device_ptrIiEESE_EEEEESG_SG_PS7_SH_SH_NSC_11hip_rocprim7__merge17predicate_wrapperIiiNSC_4lessIiEEEEEE10hipError_tPvRmT0_T1_T2_T3_T4_T5_mmT6_P12ihipStream_tbEUlT_E_NS1_11comp_targetILNS1_3genE3ELNS1_11target_archE908ELNS1_3gpuE7ELNS1_3repE0EEENS1_30default_config_static_selectorELNS0_4arch9wavefront6targetE0EEEvSS_.has_dyn_sized_stack, 0
	.set _ZN7rocprim17ROCPRIM_400000_NS6detail17trampoline_kernelINS0_14default_configENS1_21merge_config_selectorINS0_5tupleIJiiEEENS0_10empty_typeEEEZNS1_10merge_implIS3_NS0_12zip_iteratorINS5_IJN6thrust23THRUST_200600_302600_NS10device_ptrIiEESE_EEEEESG_SG_PS7_SH_SH_NSC_11hip_rocprim7__merge17predicate_wrapperIiiNSC_4lessIiEEEEEE10hipError_tPvRmT0_T1_T2_T3_T4_T5_mmT6_P12ihipStream_tbEUlT_E_NS1_11comp_targetILNS1_3genE3ELNS1_11target_archE908ELNS1_3gpuE7ELNS1_3repE0EEENS1_30default_config_static_selectorELNS0_4arch9wavefront6targetE0EEEvSS_.has_recursion, 0
	.set _ZN7rocprim17ROCPRIM_400000_NS6detail17trampoline_kernelINS0_14default_configENS1_21merge_config_selectorINS0_5tupleIJiiEEENS0_10empty_typeEEEZNS1_10merge_implIS3_NS0_12zip_iteratorINS5_IJN6thrust23THRUST_200600_302600_NS10device_ptrIiEESE_EEEEESG_SG_PS7_SH_SH_NSC_11hip_rocprim7__merge17predicate_wrapperIiiNSC_4lessIiEEEEEE10hipError_tPvRmT0_T1_T2_T3_T4_T5_mmT6_P12ihipStream_tbEUlT_E_NS1_11comp_targetILNS1_3genE3ELNS1_11target_archE908ELNS1_3gpuE7ELNS1_3repE0EEENS1_30default_config_static_selectorELNS0_4arch9wavefront6targetE0EEEvSS_.has_indirect_call, 0
	.section	.AMDGPU.csdata,"",@progbits
; Kernel info:
; codeLenInByte = 0
; TotalNumSgprs: 0
; NumVgprs: 0
; ScratchSize: 0
; MemoryBound: 0
; FloatMode: 240
; IeeeMode: 1
; LDSByteSize: 0 bytes/workgroup (compile time only)
; SGPRBlocks: 0
; VGPRBlocks: 0
; NumSGPRsForWavesPerEU: 1
; NumVGPRsForWavesPerEU: 1
; NamedBarCnt: 0
; Occupancy: 16
; WaveLimiterHint : 0
; COMPUTE_PGM_RSRC2:SCRATCH_EN: 0
; COMPUTE_PGM_RSRC2:USER_SGPR: 2
; COMPUTE_PGM_RSRC2:TRAP_HANDLER: 0
; COMPUTE_PGM_RSRC2:TGID_X_EN: 1
; COMPUTE_PGM_RSRC2:TGID_Y_EN: 0
; COMPUTE_PGM_RSRC2:TGID_Z_EN: 0
; COMPUTE_PGM_RSRC2:TIDIG_COMP_CNT: 0
	.section	.text._ZN7rocprim17ROCPRIM_400000_NS6detail17trampoline_kernelINS0_14default_configENS1_21merge_config_selectorINS0_5tupleIJiiEEENS0_10empty_typeEEEZNS1_10merge_implIS3_NS0_12zip_iteratorINS5_IJN6thrust23THRUST_200600_302600_NS10device_ptrIiEESE_EEEEESG_SG_PS7_SH_SH_NSC_11hip_rocprim7__merge17predicate_wrapperIiiNSC_4lessIiEEEEEE10hipError_tPvRmT0_T1_T2_T3_T4_T5_mmT6_P12ihipStream_tbEUlT_E_NS1_11comp_targetILNS1_3genE2ELNS1_11target_archE906ELNS1_3gpuE6ELNS1_3repE0EEENS1_30default_config_static_selectorELNS0_4arch9wavefront6targetE0EEEvSS_,"axG",@progbits,_ZN7rocprim17ROCPRIM_400000_NS6detail17trampoline_kernelINS0_14default_configENS1_21merge_config_selectorINS0_5tupleIJiiEEENS0_10empty_typeEEEZNS1_10merge_implIS3_NS0_12zip_iteratorINS5_IJN6thrust23THRUST_200600_302600_NS10device_ptrIiEESE_EEEEESG_SG_PS7_SH_SH_NSC_11hip_rocprim7__merge17predicate_wrapperIiiNSC_4lessIiEEEEEE10hipError_tPvRmT0_T1_T2_T3_T4_T5_mmT6_P12ihipStream_tbEUlT_E_NS1_11comp_targetILNS1_3genE2ELNS1_11target_archE906ELNS1_3gpuE6ELNS1_3repE0EEENS1_30default_config_static_selectorELNS0_4arch9wavefront6targetE0EEEvSS_,comdat
	.protected	_ZN7rocprim17ROCPRIM_400000_NS6detail17trampoline_kernelINS0_14default_configENS1_21merge_config_selectorINS0_5tupleIJiiEEENS0_10empty_typeEEEZNS1_10merge_implIS3_NS0_12zip_iteratorINS5_IJN6thrust23THRUST_200600_302600_NS10device_ptrIiEESE_EEEEESG_SG_PS7_SH_SH_NSC_11hip_rocprim7__merge17predicate_wrapperIiiNSC_4lessIiEEEEEE10hipError_tPvRmT0_T1_T2_T3_T4_T5_mmT6_P12ihipStream_tbEUlT_E_NS1_11comp_targetILNS1_3genE2ELNS1_11target_archE906ELNS1_3gpuE6ELNS1_3repE0EEENS1_30default_config_static_selectorELNS0_4arch9wavefront6targetE0EEEvSS_ ; -- Begin function _ZN7rocprim17ROCPRIM_400000_NS6detail17trampoline_kernelINS0_14default_configENS1_21merge_config_selectorINS0_5tupleIJiiEEENS0_10empty_typeEEEZNS1_10merge_implIS3_NS0_12zip_iteratorINS5_IJN6thrust23THRUST_200600_302600_NS10device_ptrIiEESE_EEEEESG_SG_PS7_SH_SH_NSC_11hip_rocprim7__merge17predicate_wrapperIiiNSC_4lessIiEEEEEE10hipError_tPvRmT0_T1_T2_T3_T4_T5_mmT6_P12ihipStream_tbEUlT_E_NS1_11comp_targetILNS1_3genE2ELNS1_11target_archE906ELNS1_3gpuE6ELNS1_3repE0EEENS1_30default_config_static_selectorELNS0_4arch9wavefront6targetE0EEEvSS_
	.globl	_ZN7rocprim17ROCPRIM_400000_NS6detail17trampoline_kernelINS0_14default_configENS1_21merge_config_selectorINS0_5tupleIJiiEEENS0_10empty_typeEEEZNS1_10merge_implIS3_NS0_12zip_iteratorINS5_IJN6thrust23THRUST_200600_302600_NS10device_ptrIiEESE_EEEEESG_SG_PS7_SH_SH_NSC_11hip_rocprim7__merge17predicate_wrapperIiiNSC_4lessIiEEEEEE10hipError_tPvRmT0_T1_T2_T3_T4_T5_mmT6_P12ihipStream_tbEUlT_E_NS1_11comp_targetILNS1_3genE2ELNS1_11target_archE906ELNS1_3gpuE6ELNS1_3repE0EEENS1_30default_config_static_selectorELNS0_4arch9wavefront6targetE0EEEvSS_
	.p2align	8
	.type	_ZN7rocprim17ROCPRIM_400000_NS6detail17trampoline_kernelINS0_14default_configENS1_21merge_config_selectorINS0_5tupleIJiiEEENS0_10empty_typeEEEZNS1_10merge_implIS3_NS0_12zip_iteratorINS5_IJN6thrust23THRUST_200600_302600_NS10device_ptrIiEESE_EEEEESG_SG_PS7_SH_SH_NSC_11hip_rocprim7__merge17predicate_wrapperIiiNSC_4lessIiEEEEEE10hipError_tPvRmT0_T1_T2_T3_T4_T5_mmT6_P12ihipStream_tbEUlT_E_NS1_11comp_targetILNS1_3genE2ELNS1_11target_archE906ELNS1_3gpuE6ELNS1_3repE0EEENS1_30default_config_static_selectorELNS0_4arch9wavefront6targetE0EEEvSS_,@function
_ZN7rocprim17ROCPRIM_400000_NS6detail17trampoline_kernelINS0_14default_configENS1_21merge_config_selectorINS0_5tupleIJiiEEENS0_10empty_typeEEEZNS1_10merge_implIS3_NS0_12zip_iteratorINS5_IJN6thrust23THRUST_200600_302600_NS10device_ptrIiEESE_EEEEESG_SG_PS7_SH_SH_NSC_11hip_rocprim7__merge17predicate_wrapperIiiNSC_4lessIiEEEEEE10hipError_tPvRmT0_T1_T2_T3_T4_T5_mmT6_P12ihipStream_tbEUlT_E_NS1_11comp_targetILNS1_3genE2ELNS1_11target_archE906ELNS1_3gpuE6ELNS1_3repE0EEENS1_30default_config_static_selectorELNS0_4arch9wavefront6targetE0EEEvSS_: ; @_ZN7rocprim17ROCPRIM_400000_NS6detail17trampoline_kernelINS0_14default_configENS1_21merge_config_selectorINS0_5tupleIJiiEEENS0_10empty_typeEEEZNS1_10merge_implIS3_NS0_12zip_iteratorINS5_IJN6thrust23THRUST_200600_302600_NS10device_ptrIiEESE_EEEEESG_SG_PS7_SH_SH_NSC_11hip_rocprim7__merge17predicate_wrapperIiiNSC_4lessIiEEEEEE10hipError_tPvRmT0_T1_T2_T3_T4_T5_mmT6_P12ihipStream_tbEUlT_E_NS1_11comp_targetILNS1_3genE2ELNS1_11target_archE906ELNS1_3gpuE6ELNS1_3repE0EEENS1_30default_config_static_selectorELNS0_4arch9wavefront6targetE0EEEvSS_
; %bb.0:
	.section	.rodata,"a",@progbits
	.p2align	6, 0x0
	.amdhsa_kernel _ZN7rocprim17ROCPRIM_400000_NS6detail17trampoline_kernelINS0_14default_configENS1_21merge_config_selectorINS0_5tupleIJiiEEENS0_10empty_typeEEEZNS1_10merge_implIS3_NS0_12zip_iteratorINS5_IJN6thrust23THRUST_200600_302600_NS10device_ptrIiEESE_EEEEESG_SG_PS7_SH_SH_NSC_11hip_rocprim7__merge17predicate_wrapperIiiNSC_4lessIiEEEEEE10hipError_tPvRmT0_T1_T2_T3_T4_T5_mmT6_P12ihipStream_tbEUlT_E_NS1_11comp_targetILNS1_3genE2ELNS1_11target_archE906ELNS1_3gpuE6ELNS1_3repE0EEENS1_30default_config_static_selectorELNS0_4arch9wavefront6targetE0EEEvSS_
		.amdhsa_group_segment_fixed_size 0
		.amdhsa_private_segment_fixed_size 0
		.amdhsa_kernarg_size 64
		.amdhsa_user_sgpr_count 2
		.amdhsa_user_sgpr_dispatch_ptr 0
		.amdhsa_user_sgpr_queue_ptr 0
		.amdhsa_user_sgpr_kernarg_segment_ptr 1
		.amdhsa_user_sgpr_dispatch_id 0
		.amdhsa_user_sgpr_kernarg_preload_length 0
		.amdhsa_user_sgpr_kernarg_preload_offset 0
		.amdhsa_user_sgpr_private_segment_size 0
		.amdhsa_wavefront_size32 1
		.amdhsa_uses_dynamic_stack 0
		.amdhsa_enable_private_segment 0
		.amdhsa_system_sgpr_workgroup_id_x 1
		.amdhsa_system_sgpr_workgroup_id_y 0
		.amdhsa_system_sgpr_workgroup_id_z 0
		.amdhsa_system_sgpr_workgroup_info 0
		.amdhsa_system_vgpr_workitem_id 0
		.amdhsa_next_free_vgpr 1
		.amdhsa_next_free_sgpr 1
		.amdhsa_named_barrier_count 0
		.amdhsa_reserve_vcc 0
		.amdhsa_float_round_mode_32 0
		.amdhsa_float_round_mode_16_64 0
		.amdhsa_float_denorm_mode_32 3
		.amdhsa_float_denorm_mode_16_64 3
		.amdhsa_fp16_overflow 0
		.amdhsa_memory_ordered 1
		.amdhsa_forward_progress 1
		.amdhsa_inst_pref_size 0
		.amdhsa_round_robin_scheduling 0
		.amdhsa_exception_fp_ieee_invalid_op 0
		.amdhsa_exception_fp_denorm_src 0
		.amdhsa_exception_fp_ieee_div_zero 0
		.amdhsa_exception_fp_ieee_overflow 0
		.amdhsa_exception_fp_ieee_underflow 0
		.amdhsa_exception_fp_ieee_inexact 0
		.amdhsa_exception_int_div_zero 0
	.end_amdhsa_kernel
	.section	.text._ZN7rocprim17ROCPRIM_400000_NS6detail17trampoline_kernelINS0_14default_configENS1_21merge_config_selectorINS0_5tupleIJiiEEENS0_10empty_typeEEEZNS1_10merge_implIS3_NS0_12zip_iteratorINS5_IJN6thrust23THRUST_200600_302600_NS10device_ptrIiEESE_EEEEESG_SG_PS7_SH_SH_NSC_11hip_rocprim7__merge17predicate_wrapperIiiNSC_4lessIiEEEEEE10hipError_tPvRmT0_T1_T2_T3_T4_T5_mmT6_P12ihipStream_tbEUlT_E_NS1_11comp_targetILNS1_3genE2ELNS1_11target_archE906ELNS1_3gpuE6ELNS1_3repE0EEENS1_30default_config_static_selectorELNS0_4arch9wavefront6targetE0EEEvSS_,"axG",@progbits,_ZN7rocprim17ROCPRIM_400000_NS6detail17trampoline_kernelINS0_14default_configENS1_21merge_config_selectorINS0_5tupleIJiiEEENS0_10empty_typeEEEZNS1_10merge_implIS3_NS0_12zip_iteratorINS5_IJN6thrust23THRUST_200600_302600_NS10device_ptrIiEESE_EEEEESG_SG_PS7_SH_SH_NSC_11hip_rocprim7__merge17predicate_wrapperIiiNSC_4lessIiEEEEEE10hipError_tPvRmT0_T1_T2_T3_T4_T5_mmT6_P12ihipStream_tbEUlT_E_NS1_11comp_targetILNS1_3genE2ELNS1_11target_archE906ELNS1_3gpuE6ELNS1_3repE0EEENS1_30default_config_static_selectorELNS0_4arch9wavefront6targetE0EEEvSS_,comdat
.Lfunc_end628:
	.size	_ZN7rocprim17ROCPRIM_400000_NS6detail17trampoline_kernelINS0_14default_configENS1_21merge_config_selectorINS0_5tupleIJiiEEENS0_10empty_typeEEEZNS1_10merge_implIS3_NS0_12zip_iteratorINS5_IJN6thrust23THRUST_200600_302600_NS10device_ptrIiEESE_EEEEESG_SG_PS7_SH_SH_NSC_11hip_rocprim7__merge17predicate_wrapperIiiNSC_4lessIiEEEEEE10hipError_tPvRmT0_T1_T2_T3_T4_T5_mmT6_P12ihipStream_tbEUlT_E_NS1_11comp_targetILNS1_3genE2ELNS1_11target_archE906ELNS1_3gpuE6ELNS1_3repE0EEENS1_30default_config_static_selectorELNS0_4arch9wavefront6targetE0EEEvSS_, .Lfunc_end628-_ZN7rocprim17ROCPRIM_400000_NS6detail17trampoline_kernelINS0_14default_configENS1_21merge_config_selectorINS0_5tupleIJiiEEENS0_10empty_typeEEEZNS1_10merge_implIS3_NS0_12zip_iteratorINS5_IJN6thrust23THRUST_200600_302600_NS10device_ptrIiEESE_EEEEESG_SG_PS7_SH_SH_NSC_11hip_rocprim7__merge17predicate_wrapperIiiNSC_4lessIiEEEEEE10hipError_tPvRmT0_T1_T2_T3_T4_T5_mmT6_P12ihipStream_tbEUlT_E_NS1_11comp_targetILNS1_3genE2ELNS1_11target_archE906ELNS1_3gpuE6ELNS1_3repE0EEENS1_30default_config_static_selectorELNS0_4arch9wavefront6targetE0EEEvSS_
                                        ; -- End function
	.set _ZN7rocprim17ROCPRIM_400000_NS6detail17trampoline_kernelINS0_14default_configENS1_21merge_config_selectorINS0_5tupleIJiiEEENS0_10empty_typeEEEZNS1_10merge_implIS3_NS0_12zip_iteratorINS5_IJN6thrust23THRUST_200600_302600_NS10device_ptrIiEESE_EEEEESG_SG_PS7_SH_SH_NSC_11hip_rocprim7__merge17predicate_wrapperIiiNSC_4lessIiEEEEEE10hipError_tPvRmT0_T1_T2_T3_T4_T5_mmT6_P12ihipStream_tbEUlT_E_NS1_11comp_targetILNS1_3genE2ELNS1_11target_archE906ELNS1_3gpuE6ELNS1_3repE0EEENS1_30default_config_static_selectorELNS0_4arch9wavefront6targetE0EEEvSS_.num_vgpr, 0
	.set _ZN7rocprim17ROCPRIM_400000_NS6detail17trampoline_kernelINS0_14default_configENS1_21merge_config_selectorINS0_5tupleIJiiEEENS0_10empty_typeEEEZNS1_10merge_implIS3_NS0_12zip_iteratorINS5_IJN6thrust23THRUST_200600_302600_NS10device_ptrIiEESE_EEEEESG_SG_PS7_SH_SH_NSC_11hip_rocprim7__merge17predicate_wrapperIiiNSC_4lessIiEEEEEE10hipError_tPvRmT0_T1_T2_T3_T4_T5_mmT6_P12ihipStream_tbEUlT_E_NS1_11comp_targetILNS1_3genE2ELNS1_11target_archE906ELNS1_3gpuE6ELNS1_3repE0EEENS1_30default_config_static_selectorELNS0_4arch9wavefront6targetE0EEEvSS_.num_agpr, 0
	.set _ZN7rocprim17ROCPRIM_400000_NS6detail17trampoline_kernelINS0_14default_configENS1_21merge_config_selectorINS0_5tupleIJiiEEENS0_10empty_typeEEEZNS1_10merge_implIS3_NS0_12zip_iteratorINS5_IJN6thrust23THRUST_200600_302600_NS10device_ptrIiEESE_EEEEESG_SG_PS7_SH_SH_NSC_11hip_rocprim7__merge17predicate_wrapperIiiNSC_4lessIiEEEEEE10hipError_tPvRmT0_T1_T2_T3_T4_T5_mmT6_P12ihipStream_tbEUlT_E_NS1_11comp_targetILNS1_3genE2ELNS1_11target_archE906ELNS1_3gpuE6ELNS1_3repE0EEENS1_30default_config_static_selectorELNS0_4arch9wavefront6targetE0EEEvSS_.numbered_sgpr, 0
	.set _ZN7rocprim17ROCPRIM_400000_NS6detail17trampoline_kernelINS0_14default_configENS1_21merge_config_selectorINS0_5tupleIJiiEEENS0_10empty_typeEEEZNS1_10merge_implIS3_NS0_12zip_iteratorINS5_IJN6thrust23THRUST_200600_302600_NS10device_ptrIiEESE_EEEEESG_SG_PS7_SH_SH_NSC_11hip_rocprim7__merge17predicate_wrapperIiiNSC_4lessIiEEEEEE10hipError_tPvRmT0_T1_T2_T3_T4_T5_mmT6_P12ihipStream_tbEUlT_E_NS1_11comp_targetILNS1_3genE2ELNS1_11target_archE906ELNS1_3gpuE6ELNS1_3repE0EEENS1_30default_config_static_selectorELNS0_4arch9wavefront6targetE0EEEvSS_.num_named_barrier, 0
	.set _ZN7rocprim17ROCPRIM_400000_NS6detail17trampoline_kernelINS0_14default_configENS1_21merge_config_selectorINS0_5tupleIJiiEEENS0_10empty_typeEEEZNS1_10merge_implIS3_NS0_12zip_iteratorINS5_IJN6thrust23THRUST_200600_302600_NS10device_ptrIiEESE_EEEEESG_SG_PS7_SH_SH_NSC_11hip_rocprim7__merge17predicate_wrapperIiiNSC_4lessIiEEEEEE10hipError_tPvRmT0_T1_T2_T3_T4_T5_mmT6_P12ihipStream_tbEUlT_E_NS1_11comp_targetILNS1_3genE2ELNS1_11target_archE906ELNS1_3gpuE6ELNS1_3repE0EEENS1_30default_config_static_selectorELNS0_4arch9wavefront6targetE0EEEvSS_.private_seg_size, 0
	.set _ZN7rocprim17ROCPRIM_400000_NS6detail17trampoline_kernelINS0_14default_configENS1_21merge_config_selectorINS0_5tupleIJiiEEENS0_10empty_typeEEEZNS1_10merge_implIS3_NS0_12zip_iteratorINS5_IJN6thrust23THRUST_200600_302600_NS10device_ptrIiEESE_EEEEESG_SG_PS7_SH_SH_NSC_11hip_rocprim7__merge17predicate_wrapperIiiNSC_4lessIiEEEEEE10hipError_tPvRmT0_T1_T2_T3_T4_T5_mmT6_P12ihipStream_tbEUlT_E_NS1_11comp_targetILNS1_3genE2ELNS1_11target_archE906ELNS1_3gpuE6ELNS1_3repE0EEENS1_30default_config_static_selectorELNS0_4arch9wavefront6targetE0EEEvSS_.uses_vcc, 0
	.set _ZN7rocprim17ROCPRIM_400000_NS6detail17trampoline_kernelINS0_14default_configENS1_21merge_config_selectorINS0_5tupleIJiiEEENS0_10empty_typeEEEZNS1_10merge_implIS3_NS0_12zip_iteratorINS5_IJN6thrust23THRUST_200600_302600_NS10device_ptrIiEESE_EEEEESG_SG_PS7_SH_SH_NSC_11hip_rocprim7__merge17predicate_wrapperIiiNSC_4lessIiEEEEEE10hipError_tPvRmT0_T1_T2_T3_T4_T5_mmT6_P12ihipStream_tbEUlT_E_NS1_11comp_targetILNS1_3genE2ELNS1_11target_archE906ELNS1_3gpuE6ELNS1_3repE0EEENS1_30default_config_static_selectorELNS0_4arch9wavefront6targetE0EEEvSS_.uses_flat_scratch, 0
	.set _ZN7rocprim17ROCPRIM_400000_NS6detail17trampoline_kernelINS0_14default_configENS1_21merge_config_selectorINS0_5tupleIJiiEEENS0_10empty_typeEEEZNS1_10merge_implIS3_NS0_12zip_iteratorINS5_IJN6thrust23THRUST_200600_302600_NS10device_ptrIiEESE_EEEEESG_SG_PS7_SH_SH_NSC_11hip_rocprim7__merge17predicate_wrapperIiiNSC_4lessIiEEEEEE10hipError_tPvRmT0_T1_T2_T3_T4_T5_mmT6_P12ihipStream_tbEUlT_E_NS1_11comp_targetILNS1_3genE2ELNS1_11target_archE906ELNS1_3gpuE6ELNS1_3repE0EEENS1_30default_config_static_selectorELNS0_4arch9wavefront6targetE0EEEvSS_.has_dyn_sized_stack, 0
	.set _ZN7rocprim17ROCPRIM_400000_NS6detail17trampoline_kernelINS0_14default_configENS1_21merge_config_selectorINS0_5tupleIJiiEEENS0_10empty_typeEEEZNS1_10merge_implIS3_NS0_12zip_iteratorINS5_IJN6thrust23THRUST_200600_302600_NS10device_ptrIiEESE_EEEEESG_SG_PS7_SH_SH_NSC_11hip_rocprim7__merge17predicate_wrapperIiiNSC_4lessIiEEEEEE10hipError_tPvRmT0_T1_T2_T3_T4_T5_mmT6_P12ihipStream_tbEUlT_E_NS1_11comp_targetILNS1_3genE2ELNS1_11target_archE906ELNS1_3gpuE6ELNS1_3repE0EEENS1_30default_config_static_selectorELNS0_4arch9wavefront6targetE0EEEvSS_.has_recursion, 0
	.set _ZN7rocprim17ROCPRIM_400000_NS6detail17trampoline_kernelINS0_14default_configENS1_21merge_config_selectorINS0_5tupleIJiiEEENS0_10empty_typeEEEZNS1_10merge_implIS3_NS0_12zip_iteratorINS5_IJN6thrust23THRUST_200600_302600_NS10device_ptrIiEESE_EEEEESG_SG_PS7_SH_SH_NSC_11hip_rocprim7__merge17predicate_wrapperIiiNSC_4lessIiEEEEEE10hipError_tPvRmT0_T1_T2_T3_T4_T5_mmT6_P12ihipStream_tbEUlT_E_NS1_11comp_targetILNS1_3genE2ELNS1_11target_archE906ELNS1_3gpuE6ELNS1_3repE0EEENS1_30default_config_static_selectorELNS0_4arch9wavefront6targetE0EEEvSS_.has_indirect_call, 0
	.section	.AMDGPU.csdata,"",@progbits
; Kernel info:
; codeLenInByte = 0
; TotalNumSgprs: 0
; NumVgprs: 0
; ScratchSize: 0
; MemoryBound: 0
; FloatMode: 240
; IeeeMode: 1
; LDSByteSize: 0 bytes/workgroup (compile time only)
; SGPRBlocks: 0
; VGPRBlocks: 0
; NumSGPRsForWavesPerEU: 1
; NumVGPRsForWavesPerEU: 1
; NamedBarCnt: 0
; Occupancy: 16
; WaveLimiterHint : 0
; COMPUTE_PGM_RSRC2:SCRATCH_EN: 0
; COMPUTE_PGM_RSRC2:USER_SGPR: 2
; COMPUTE_PGM_RSRC2:TRAP_HANDLER: 0
; COMPUTE_PGM_RSRC2:TGID_X_EN: 1
; COMPUTE_PGM_RSRC2:TGID_Y_EN: 0
; COMPUTE_PGM_RSRC2:TGID_Z_EN: 0
; COMPUTE_PGM_RSRC2:TIDIG_COMP_CNT: 0
	.section	.text._ZN7rocprim17ROCPRIM_400000_NS6detail17trampoline_kernelINS0_14default_configENS1_21merge_config_selectorINS0_5tupleIJiiEEENS0_10empty_typeEEEZNS1_10merge_implIS3_NS0_12zip_iteratorINS5_IJN6thrust23THRUST_200600_302600_NS10device_ptrIiEESE_EEEEESG_SG_PS7_SH_SH_NSC_11hip_rocprim7__merge17predicate_wrapperIiiNSC_4lessIiEEEEEE10hipError_tPvRmT0_T1_T2_T3_T4_T5_mmT6_P12ihipStream_tbEUlT_E_NS1_11comp_targetILNS1_3genE10ELNS1_11target_archE1201ELNS1_3gpuE5ELNS1_3repE0EEENS1_30default_config_static_selectorELNS0_4arch9wavefront6targetE0EEEvSS_,"axG",@progbits,_ZN7rocprim17ROCPRIM_400000_NS6detail17trampoline_kernelINS0_14default_configENS1_21merge_config_selectorINS0_5tupleIJiiEEENS0_10empty_typeEEEZNS1_10merge_implIS3_NS0_12zip_iteratorINS5_IJN6thrust23THRUST_200600_302600_NS10device_ptrIiEESE_EEEEESG_SG_PS7_SH_SH_NSC_11hip_rocprim7__merge17predicate_wrapperIiiNSC_4lessIiEEEEEE10hipError_tPvRmT0_T1_T2_T3_T4_T5_mmT6_P12ihipStream_tbEUlT_E_NS1_11comp_targetILNS1_3genE10ELNS1_11target_archE1201ELNS1_3gpuE5ELNS1_3repE0EEENS1_30default_config_static_selectorELNS0_4arch9wavefront6targetE0EEEvSS_,comdat
	.protected	_ZN7rocprim17ROCPRIM_400000_NS6detail17trampoline_kernelINS0_14default_configENS1_21merge_config_selectorINS0_5tupleIJiiEEENS0_10empty_typeEEEZNS1_10merge_implIS3_NS0_12zip_iteratorINS5_IJN6thrust23THRUST_200600_302600_NS10device_ptrIiEESE_EEEEESG_SG_PS7_SH_SH_NSC_11hip_rocprim7__merge17predicate_wrapperIiiNSC_4lessIiEEEEEE10hipError_tPvRmT0_T1_T2_T3_T4_T5_mmT6_P12ihipStream_tbEUlT_E_NS1_11comp_targetILNS1_3genE10ELNS1_11target_archE1201ELNS1_3gpuE5ELNS1_3repE0EEENS1_30default_config_static_selectorELNS0_4arch9wavefront6targetE0EEEvSS_ ; -- Begin function _ZN7rocprim17ROCPRIM_400000_NS6detail17trampoline_kernelINS0_14default_configENS1_21merge_config_selectorINS0_5tupleIJiiEEENS0_10empty_typeEEEZNS1_10merge_implIS3_NS0_12zip_iteratorINS5_IJN6thrust23THRUST_200600_302600_NS10device_ptrIiEESE_EEEEESG_SG_PS7_SH_SH_NSC_11hip_rocprim7__merge17predicate_wrapperIiiNSC_4lessIiEEEEEE10hipError_tPvRmT0_T1_T2_T3_T4_T5_mmT6_P12ihipStream_tbEUlT_E_NS1_11comp_targetILNS1_3genE10ELNS1_11target_archE1201ELNS1_3gpuE5ELNS1_3repE0EEENS1_30default_config_static_selectorELNS0_4arch9wavefront6targetE0EEEvSS_
	.globl	_ZN7rocprim17ROCPRIM_400000_NS6detail17trampoline_kernelINS0_14default_configENS1_21merge_config_selectorINS0_5tupleIJiiEEENS0_10empty_typeEEEZNS1_10merge_implIS3_NS0_12zip_iteratorINS5_IJN6thrust23THRUST_200600_302600_NS10device_ptrIiEESE_EEEEESG_SG_PS7_SH_SH_NSC_11hip_rocprim7__merge17predicate_wrapperIiiNSC_4lessIiEEEEEE10hipError_tPvRmT0_T1_T2_T3_T4_T5_mmT6_P12ihipStream_tbEUlT_E_NS1_11comp_targetILNS1_3genE10ELNS1_11target_archE1201ELNS1_3gpuE5ELNS1_3repE0EEENS1_30default_config_static_selectorELNS0_4arch9wavefront6targetE0EEEvSS_
	.p2align	8
	.type	_ZN7rocprim17ROCPRIM_400000_NS6detail17trampoline_kernelINS0_14default_configENS1_21merge_config_selectorINS0_5tupleIJiiEEENS0_10empty_typeEEEZNS1_10merge_implIS3_NS0_12zip_iteratorINS5_IJN6thrust23THRUST_200600_302600_NS10device_ptrIiEESE_EEEEESG_SG_PS7_SH_SH_NSC_11hip_rocprim7__merge17predicate_wrapperIiiNSC_4lessIiEEEEEE10hipError_tPvRmT0_T1_T2_T3_T4_T5_mmT6_P12ihipStream_tbEUlT_E_NS1_11comp_targetILNS1_3genE10ELNS1_11target_archE1201ELNS1_3gpuE5ELNS1_3repE0EEENS1_30default_config_static_selectorELNS0_4arch9wavefront6targetE0EEEvSS_,@function
_ZN7rocprim17ROCPRIM_400000_NS6detail17trampoline_kernelINS0_14default_configENS1_21merge_config_selectorINS0_5tupleIJiiEEENS0_10empty_typeEEEZNS1_10merge_implIS3_NS0_12zip_iteratorINS5_IJN6thrust23THRUST_200600_302600_NS10device_ptrIiEESE_EEEEESG_SG_PS7_SH_SH_NSC_11hip_rocprim7__merge17predicate_wrapperIiiNSC_4lessIiEEEEEE10hipError_tPvRmT0_T1_T2_T3_T4_T5_mmT6_P12ihipStream_tbEUlT_E_NS1_11comp_targetILNS1_3genE10ELNS1_11target_archE1201ELNS1_3gpuE5ELNS1_3repE0EEENS1_30default_config_static_selectorELNS0_4arch9wavefront6targetE0EEEvSS_: ; @_ZN7rocprim17ROCPRIM_400000_NS6detail17trampoline_kernelINS0_14default_configENS1_21merge_config_selectorINS0_5tupleIJiiEEENS0_10empty_typeEEEZNS1_10merge_implIS3_NS0_12zip_iteratorINS5_IJN6thrust23THRUST_200600_302600_NS10device_ptrIiEESE_EEEEESG_SG_PS7_SH_SH_NSC_11hip_rocprim7__merge17predicate_wrapperIiiNSC_4lessIiEEEEEE10hipError_tPvRmT0_T1_T2_T3_T4_T5_mmT6_P12ihipStream_tbEUlT_E_NS1_11comp_targetILNS1_3genE10ELNS1_11target_archE1201ELNS1_3gpuE5ELNS1_3repE0EEENS1_30default_config_static_selectorELNS0_4arch9wavefront6targetE0EEEvSS_
; %bb.0:
	.section	.rodata,"a",@progbits
	.p2align	6, 0x0
	.amdhsa_kernel _ZN7rocprim17ROCPRIM_400000_NS6detail17trampoline_kernelINS0_14default_configENS1_21merge_config_selectorINS0_5tupleIJiiEEENS0_10empty_typeEEEZNS1_10merge_implIS3_NS0_12zip_iteratorINS5_IJN6thrust23THRUST_200600_302600_NS10device_ptrIiEESE_EEEEESG_SG_PS7_SH_SH_NSC_11hip_rocprim7__merge17predicate_wrapperIiiNSC_4lessIiEEEEEE10hipError_tPvRmT0_T1_T2_T3_T4_T5_mmT6_P12ihipStream_tbEUlT_E_NS1_11comp_targetILNS1_3genE10ELNS1_11target_archE1201ELNS1_3gpuE5ELNS1_3repE0EEENS1_30default_config_static_selectorELNS0_4arch9wavefront6targetE0EEEvSS_
		.amdhsa_group_segment_fixed_size 0
		.amdhsa_private_segment_fixed_size 0
		.amdhsa_kernarg_size 64
		.amdhsa_user_sgpr_count 2
		.amdhsa_user_sgpr_dispatch_ptr 0
		.amdhsa_user_sgpr_queue_ptr 0
		.amdhsa_user_sgpr_kernarg_segment_ptr 1
		.amdhsa_user_sgpr_dispatch_id 0
		.amdhsa_user_sgpr_kernarg_preload_length 0
		.amdhsa_user_sgpr_kernarg_preload_offset 0
		.amdhsa_user_sgpr_private_segment_size 0
		.amdhsa_wavefront_size32 1
		.amdhsa_uses_dynamic_stack 0
		.amdhsa_enable_private_segment 0
		.amdhsa_system_sgpr_workgroup_id_x 1
		.amdhsa_system_sgpr_workgroup_id_y 0
		.amdhsa_system_sgpr_workgroup_id_z 0
		.amdhsa_system_sgpr_workgroup_info 0
		.amdhsa_system_vgpr_workitem_id 0
		.amdhsa_next_free_vgpr 1
		.amdhsa_next_free_sgpr 1
		.amdhsa_named_barrier_count 0
		.amdhsa_reserve_vcc 0
		.amdhsa_float_round_mode_32 0
		.amdhsa_float_round_mode_16_64 0
		.amdhsa_float_denorm_mode_32 3
		.amdhsa_float_denorm_mode_16_64 3
		.amdhsa_fp16_overflow 0
		.amdhsa_memory_ordered 1
		.amdhsa_forward_progress 1
		.amdhsa_inst_pref_size 0
		.amdhsa_round_robin_scheduling 0
		.amdhsa_exception_fp_ieee_invalid_op 0
		.amdhsa_exception_fp_denorm_src 0
		.amdhsa_exception_fp_ieee_div_zero 0
		.amdhsa_exception_fp_ieee_overflow 0
		.amdhsa_exception_fp_ieee_underflow 0
		.amdhsa_exception_fp_ieee_inexact 0
		.amdhsa_exception_int_div_zero 0
	.end_amdhsa_kernel
	.section	.text._ZN7rocprim17ROCPRIM_400000_NS6detail17trampoline_kernelINS0_14default_configENS1_21merge_config_selectorINS0_5tupleIJiiEEENS0_10empty_typeEEEZNS1_10merge_implIS3_NS0_12zip_iteratorINS5_IJN6thrust23THRUST_200600_302600_NS10device_ptrIiEESE_EEEEESG_SG_PS7_SH_SH_NSC_11hip_rocprim7__merge17predicate_wrapperIiiNSC_4lessIiEEEEEE10hipError_tPvRmT0_T1_T2_T3_T4_T5_mmT6_P12ihipStream_tbEUlT_E_NS1_11comp_targetILNS1_3genE10ELNS1_11target_archE1201ELNS1_3gpuE5ELNS1_3repE0EEENS1_30default_config_static_selectorELNS0_4arch9wavefront6targetE0EEEvSS_,"axG",@progbits,_ZN7rocprim17ROCPRIM_400000_NS6detail17trampoline_kernelINS0_14default_configENS1_21merge_config_selectorINS0_5tupleIJiiEEENS0_10empty_typeEEEZNS1_10merge_implIS3_NS0_12zip_iteratorINS5_IJN6thrust23THRUST_200600_302600_NS10device_ptrIiEESE_EEEEESG_SG_PS7_SH_SH_NSC_11hip_rocprim7__merge17predicate_wrapperIiiNSC_4lessIiEEEEEE10hipError_tPvRmT0_T1_T2_T3_T4_T5_mmT6_P12ihipStream_tbEUlT_E_NS1_11comp_targetILNS1_3genE10ELNS1_11target_archE1201ELNS1_3gpuE5ELNS1_3repE0EEENS1_30default_config_static_selectorELNS0_4arch9wavefront6targetE0EEEvSS_,comdat
.Lfunc_end629:
	.size	_ZN7rocprim17ROCPRIM_400000_NS6detail17trampoline_kernelINS0_14default_configENS1_21merge_config_selectorINS0_5tupleIJiiEEENS0_10empty_typeEEEZNS1_10merge_implIS3_NS0_12zip_iteratorINS5_IJN6thrust23THRUST_200600_302600_NS10device_ptrIiEESE_EEEEESG_SG_PS7_SH_SH_NSC_11hip_rocprim7__merge17predicate_wrapperIiiNSC_4lessIiEEEEEE10hipError_tPvRmT0_T1_T2_T3_T4_T5_mmT6_P12ihipStream_tbEUlT_E_NS1_11comp_targetILNS1_3genE10ELNS1_11target_archE1201ELNS1_3gpuE5ELNS1_3repE0EEENS1_30default_config_static_selectorELNS0_4arch9wavefront6targetE0EEEvSS_, .Lfunc_end629-_ZN7rocprim17ROCPRIM_400000_NS6detail17trampoline_kernelINS0_14default_configENS1_21merge_config_selectorINS0_5tupleIJiiEEENS0_10empty_typeEEEZNS1_10merge_implIS3_NS0_12zip_iteratorINS5_IJN6thrust23THRUST_200600_302600_NS10device_ptrIiEESE_EEEEESG_SG_PS7_SH_SH_NSC_11hip_rocprim7__merge17predicate_wrapperIiiNSC_4lessIiEEEEEE10hipError_tPvRmT0_T1_T2_T3_T4_T5_mmT6_P12ihipStream_tbEUlT_E_NS1_11comp_targetILNS1_3genE10ELNS1_11target_archE1201ELNS1_3gpuE5ELNS1_3repE0EEENS1_30default_config_static_selectorELNS0_4arch9wavefront6targetE0EEEvSS_
                                        ; -- End function
	.set _ZN7rocprim17ROCPRIM_400000_NS6detail17trampoline_kernelINS0_14default_configENS1_21merge_config_selectorINS0_5tupleIJiiEEENS0_10empty_typeEEEZNS1_10merge_implIS3_NS0_12zip_iteratorINS5_IJN6thrust23THRUST_200600_302600_NS10device_ptrIiEESE_EEEEESG_SG_PS7_SH_SH_NSC_11hip_rocprim7__merge17predicate_wrapperIiiNSC_4lessIiEEEEEE10hipError_tPvRmT0_T1_T2_T3_T4_T5_mmT6_P12ihipStream_tbEUlT_E_NS1_11comp_targetILNS1_3genE10ELNS1_11target_archE1201ELNS1_3gpuE5ELNS1_3repE0EEENS1_30default_config_static_selectorELNS0_4arch9wavefront6targetE0EEEvSS_.num_vgpr, 0
	.set _ZN7rocprim17ROCPRIM_400000_NS6detail17trampoline_kernelINS0_14default_configENS1_21merge_config_selectorINS0_5tupleIJiiEEENS0_10empty_typeEEEZNS1_10merge_implIS3_NS0_12zip_iteratorINS5_IJN6thrust23THRUST_200600_302600_NS10device_ptrIiEESE_EEEEESG_SG_PS7_SH_SH_NSC_11hip_rocprim7__merge17predicate_wrapperIiiNSC_4lessIiEEEEEE10hipError_tPvRmT0_T1_T2_T3_T4_T5_mmT6_P12ihipStream_tbEUlT_E_NS1_11comp_targetILNS1_3genE10ELNS1_11target_archE1201ELNS1_3gpuE5ELNS1_3repE0EEENS1_30default_config_static_selectorELNS0_4arch9wavefront6targetE0EEEvSS_.num_agpr, 0
	.set _ZN7rocprim17ROCPRIM_400000_NS6detail17trampoline_kernelINS0_14default_configENS1_21merge_config_selectorINS0_5tupleIJiiEEENS0_10empty_typeEEEZNS1_10merge_implIS3_NS0_12zip_iteratorINS5_IJN6thrust23THRUST_200600_302600_NS10device_ptrIiEESE_EEEEESG_SG_PS7_SH_SH_NSC_11hip_rocprim7__merge17predicate_wrapperIiiNSC_4lessIiEEEEEE10hipError_tPvRmT0_T1_T2_T3_T4_T5_mmT6_P12ihipStream_tbEUlT_E_NS1_11comp_targetILNS1_3genE10ELNS1_11target_archE1201ELNS1_3gpuE5ELNS1_3repE0EEENS1_30default_config_static_selectorELNS0_4arch9wavefront6targetE0EEEvSS_.numbered_sgpr, 0
	.set _ZN7rocprim17ROCPRIM_400000_NS6detail17trampoline_kernelINS0_14default_configENS1_21merge_config_selectorINS0_5tupleIJiiEEENS0_10empty_typeEEEZNS1_10merge_implIS3_NS0_12zip_iteratorINS5_IJN6thrust23THRUST_200600_302600_NS10device_ptrIiEESE_EEEEESG_SG_PS7_SH_SH_NSC_11hip_rocprim7__merge17predicate_wrapperIiiNSC_4lessIiEEEEEE10hipError_tPvRmT0_T1_T2_T3_T4_T5_mmT6_P12ihipStream_tbEUlT_E_NS1_11comp_targetILNS1_3genE10ELNS1_11target_archE1201ELNS1_3gpuE5ELNS1_3repE0EEENS1_30default_config_static_selectorELNS0_4arch9wavefront6targetE0EEEvSS_.num_named_barrier, 0
	.set _ZN7rocprim17ROCPRIM_400000_NS6detail17trampoline_kernelINS0_14default_configENS1_21merge_config_selectorINS0_5tupleIJiiEEENS0_10empty_typeEEEZNS1_10merge_implIS3_NS0_12zip_iteratorINS5_IJN6thrust23THRUST_200600_302600_NS10device_ptrIiEESE_EEEEESG_SG_PS7_SH_SH_NSC_11hip_rocprim7__merge17predicate_wrapperIiiNSC_4lessIiEEEEEE10hipError_tPvRmT0_T1_T2_T3_T4_T5_mmT6_P12ihipStream_tbEUlT_E_NS1_11comp_targetILNS1_3genE10ELNS1_11target_archE1201ELNS1_3gpuE5ELNS1_3repE0EEENS1_30default_config_static_selectorELNS0_4arch9wavefront6targetE0EEEvSS_.private_seg_size, 0
	.set _ZN7rocprim17ROCPRIM_400000_NS6detail17trampoline_kernelINS0_14default_configENS1_21merge_config_selectorINS0_5tupleIJiiEEENS0_10empty_typeEEEZNS1_10merge_implIS3_NS0_12zip_iteratorINS5_IJN6thrust23THRUST_200600_302600_NS10device_ptrIiEESE_EEEEESG_SG_PS7_SH_SH_NSC_11hip_rocprim7__merge17predicate_wrapperIiiNSC_4lessIiEEEEEE10hipError_tPvRmT0_T1_T2_T3_T4_T5_mmT6_P12ihipStream_tbEUlT_E_NS1_11comp_targetILNS1_3genE10ELNS1_11target_archE1201ELNS1_3gpuE5ELNS1_3repE0EEENS1_30default_config_static_selectorELNS0_4arch9wavefront6targetE0EEEvSS_.uses_vcc, 0
	.set _ZN7rocprim17ROCPRIM_400000_NS6detail17trampoline_kernelINS0_14default_configENS1_21merge_config_selectorINS0_5tupleIJiiEEENS0_10empty_typeEEEZNS1_10merge_implIS3_NS0_12zip_iteratorINS5_IJN6thrust23THRUST_200600_302600_NS10device_ptrIiEESE_EEEEESG_SG_PS7_SH_SH_NSC_11hip_rocprim7__merge17predicate_wrapperIiiNSC_4lessIiEEEEEE10hipError_tPvRmT0_T1_T2_T3_T4_T5_mmT6_P12ihipStream_tbEUlT_E_NS1_11comp_targetILNS1_3genE10ELNS1_11target_archE1201ELNS1_3gpuE5ELNS1_3repE0EEENS1_30default_config_static_selectorELNS0_4arch9wavefront6targetE0EEEvSS_.uses_flat_scratch, 0
	.set _ZN7rocprim17ROCPRIM_400000_NS6detail17trampoline_kernelINS0_14default_configENS1_21merge_config_selectorINS0_5tupleIJiiEEENS0_10empty_typeEEEZNS1_10merge_implIS3_NS0_12zip_iteratorINS5_IJN6thrust23THRUST_200600_302600_NS10device_ptrIiEESE_EEEEESG_SG_PS7_SH_SH_NSC_11hip_rocprim7__merge17predicate_wrapperIiiNSC_4lessIiEEEEEE10hipError_tPvRmT0_T1_T2_T3_T4_T5_mmT6_P12ihipStream_tbEUlT_E_NS1_11comp_targetILNS1_3genE10ELNS1_11target_archE1201ELNS1_3gpuE5ELNS1_3repE0EEENS1_30default_config_static_selectorELNS0_4arch9wavefront6targetE0EEEvSS_.has_dyn_sized_stack, 0
	.set _ZN7rocprim17ROCPRIM_400000_NS6detail17trampoline_kernelINS0_14default_configENS1_21merge_config_selectorINS0_5tupleIJiiEEENS0_10empty_typeEEEZNS1_10merge_implIS3_NS0_12zip_iteratorINS5_IJN6thrust23THRUST_200600_302600_NS10device_ptrIiEESE_EEEEESG_SG_PS7_SH_SH_NSC_11hip_rocprim7__merge17predicate_wrapperIiiNSC_4lessIiEEEEEE10hipError_tPvRmT0_T1_T2_T3_T4_T5_mmT6_P12ihipStream_tbEUlT_E_NS1_11comp_targetILNS1_3genE10ELNS1_11target_archE1201ELNS1_3gpuE5ELNS1_3repE0EEENS1_30default_config_static_selectorELNS0_4arch9wavefront6targetE0EEEvSS_.has_recursion, 0
	.set _ZN7rocprim17ROCPRIM_400000_NS6detail17trampoline_kernelINS0_14default_configENS1_21merge_config_selectorINS0_5tupleIJiiEEENS0_10empty_typeEEEZNS1_10merge_implIS3_NS0_12zip_iteratorINS5_IJN6thrust23THRUST_200600_302600_NS10device_ptrIiEESE_EEEEESG_SG_PS7_SH_SH_NSC_11hip_rocprim7__merge17predicate_wrapperIiiNSC_4lessIiEEEEEE10hipError_tPvRmT0_T1_T2_T3_T4_T5_mmT6_P12ihipStream_tbEUlT_E_NS1_11comp_targetILNS1_3genE10ELNS1_11target_archE1201ELNS1_3gpuE5ELNS1_3repE0EEENS1_30default_config_static_selectorELNS0_4arch9wavefront6targetE0EEEvSS_.has_indirect_call, 0
	.section	.AMDGPU.csdata,"",@progbits
; Kernel info:
; codeLenInByte = 0
; TotalNumSgprs: 0
; NumVgprs: 0
; ScratchSize: 0
; MemoryBound: 0
; FloatMode: 240
; IeeeMode: 1
; LDSByteSize: 0 bytes/workgroup (compile time only)
; SGPRBlocks: 0
; VGPRBlocks: 0
; NumSGPRsForWavesPerEU: 1
; NumVGPRsForWavesPerEU: 1
; NamedBarCnt: 0
; Occupancy: 16
; WaveLimiterHint : 0
; COMPUTE_PGM_RSRC2:SCRATCH_EN: 0
; COMPUTE_PGM_RSRC2:USER_SGPR: 2
; COMPUTE_PGM_RSRC2:TRAP_HANDLER: 0
; COMPUTE_PGM_RSRC2:TGID_X_EN: 1
; COMPUTE_PGM_RSRC2:TGID_Y_EN: 0
; COMPUTE_PGM_RSRC2:TGID_Z_EN: 0
; COMPUTE_PGM_RSRC2:TIDIG_COMP_CNT: 0
	.section	.text._ZN7rocprim17ROCPRIM_400000_NS6detail17trampoline_kernelINS0_14default_configENS1_21merge_config_selectorINS0_5tupleIJiiEEENS0_10empty_typeEEEZNS1_10merge_implIS3_NS0_12zip_iteratorINS5_IJN6thrust23THRUST_200600_302600_NS10device_ptrIiEESE_EEEEESG_SG_PS7_SH_SH_NSC_11hip_rocprim7__merge17predicate_wrapperIiiNSC_4lessIiEEEEEE10hipError_tPvRmT0_T1_T2_T3_T4_T5_mmT6_P12ihipStream_tbEUlT_E_NS1_11comp_targetILNS1_3genE10ELNS1_11target_archE1200ELNS1_3gpuE4ELNS1_3repE0EEENS1_30default_config_static_selectorELNS0_4arch9wavefront6targetE0EEEvSS_,"axG",@progbits,_ZN7rocprim17ROCPRIM_400000_NS6detail17trampoline_kernelINS0_14default_configENS1_21merge_config_selectorINS0_5tupleIJiiEEENS0_10empty_typeEEEZNS1_10merge_implIS3_NS0_12zip_iteratorINS5_IJN6thrust23THRUST_200600_302600_NS10device_ptrIiEESE_EEEEESG_SG_PS7_SH_SH_NSC_11hip_rocprim7__merge17predicate_wrapperIiiNSC_4lessIiEEEEEE10hipError_tPvRmT0_T1_T2_T3_T4_T5_mmT6_P12ihipStream_tbEUlT_E_NS1_11comp_targetILNS1_3genE10ELNS1_11target_archE1200ELNS1_3gpuE4ELNS1_3repE0EEENS1_30default_config_static_selectorELNS0_4arch9wavefront6targetE0EEEvSS_,comdat
	.protected	_ZN7rocprim17ROCPRIM_400000_NS6detail17trampoline_kernelINS0_14default_configENS1_21merge_config_selectorINS0_5tupleIJiiEEENS0_10empty_typeEEEZNS1_10merge_implIS3_NS0_12zip_iteratorINS5_IJN6thrust23THRUST_200600_302600_NS10device_ptrIiEESE_EEEEESG_SG_PS7_SH_SH_NSC_11hip_rocprim7__merge17predicate_wrapperIiiNSC_4lessIiEEEEEE10hipError_tPvRmT0_T1_T2_T3_T4_T5_mmT6_P12ihipStream_tbEUlT_E_NS1_11comp_targetILNS1_3genE10ELNS1_11target_archE1200ELNS1_3gpuE4ELNS1_3repE0EEENS1_30default_config_static_selectorELNS0_4arch9wavefront6targetE0EEEvSS_ ; -- Begin function _ZN7rocprim17ROCPRIM_400000_NS6detail17trampoline_kernelINS0_14default_configENS1_21merge_config_selectorINS0_5tupleIJiiEEENS0_10empty_typeEEEZNS1_10merge_implIS3_NS0_12zip_iteratorINS5_IJN6thrust23THRUST_200600_302600_NS10device_ptrIiEESE_EEEEESG_SG_PS7_SH_SH_NSC_11hip_rocprim7__merge17predicate_wrapperIiiNSC_4lessIiEEEEEE10hipError_tPvRmT0_T1_T2_T3_T4_T5_mmT6_P12ihipStream_tbEUlT_E_NS1_11comp_targetILNS1_3genE10ELNS1_11target_archE1200ELNS1_3gpuE4ELNS1_3repE0EEENS1_30default_config_static_selectorELNS0_4arch9wavefront6targetE0EEEvSS_
	.globl	_ZN7rocprim17ROCPRIM_400000_NS6detail17trampoline_kernelINS0_14default_configENS1_21merge_config_selectorINS0_5tupleIJiiEEENS0_10empty_typeEEEZNS1_10merge_implIS3_NS0_12zip_iteratorINS5_IJN6thrust23THRUST_200600_302600_NS10device_ptrIiEESE_EEEEESG_SG_PS7_SH_SH_NSC_11hip_rocprim7__merge17predicate_wrapperIiiNSC_4lessIiEEEEEE10hipError_tPvRmT0_T1_T2_T3_T4_T5_mmT6_P12ihipStream_tbEUlT_E_NS1_11comp_targetILNS1_3genE10ELNS1_11target_archE1200ELNS1_3gpuE4ELNS1_3repE0EEENS1_30default_config_static_selectorELNS0_4arch9wavefront6targetE0EEEvSS_
	.p2align	8
	.type	_ZN7rocprim17ROCPRIM_400000_NS6detail17trampoline_kernelINS0_14default_configENS1_21merge_config_selectorINS0_5tupleIJiiEEENS0_10empty_typeEEEZNS1_10merge_implIS3_NS0_12zip_iteratorINS5_IJN6thrust23THRUST_200600_302600_NS10device_ptrIiEESE_EEEEESG_SG_PS7_SH_SH_NSC_11hip_rocprim7__merge17predicate_wrapperIiiNSC_4lessIiEEEEEE10hipError_tPvRmT0_T1_T2_T3_T4_T5_mmT6_P12ihipStream_tbEUlT_E_NS1_11comp_targetILNS1_3genE10ELNS1_11target_archE1200ELNS1_3gpuE4ELNS1_3repE0EEENS1_30default_config_static_selectorELNS0_4arch9wavefront6targetE0EEEvSS_,@function
_ZN7rocprim17ROCPRIM_400000_NS6detail17trampoline_kernelINS0_14default_configENS1_21merge_config_selectorINS0_5tupleIJiiEEENS0_10empty_typeEEEZNS1_10merge_implIS3_NS0_12zip_iteratorINS5_IJN6thrust23THRUST_200600_302600_NS10device_ptrIiEESE_EEEEESG_SG_PS7_SH_SH_NSC_11hip_rocprim7__merge17predicate_wrapperIiiNSC_4lessIiEEEEEE10hipError_tPvRmT0_T1_T2_T3_T4_T5_mmT6_P12ihipStream_tbEUlT_E_NS1_11comp_targetILNS1_3genE10ELNS1_11target_archE1200ELNS1_3gpuE4ELNS1_3repE0EEENS1_30default_config_static_selectorELNS0_4arch9wavefront6targetE0EEEvSS_: ; @_ZN7rocprim17ROCPRIM_400000_NS6detail17trampoline_kernelINS0_14default_configENS1_21merge_config_selectorINS0_5tupleIJiiEEENS0_10empty_typeEEEZNS1_10merge_implIS3_NS0_12zip_iteratorINS5_IJN6thrust23THRUST_200600_302600_NS10device_ptrIiEESE_EEEEESG_SG_PS7_SH_SH_NSC_11hip_rocprim7__merge17predicate_wrapperIiiNSC_4lessIiEEEEEE10hipError_tPvRmT0_T1_T2_T3_T4_T5_mmT6_P12ihipStream_tbEUlT_E_NS1_11comp_targetILNS1_3genE10ELNS1_11target_archE1200ELNS1_3gpuE4ELNS1_3repE0EEENS1_30default_config_static_selectorELNS0_4arch9wavefront6targetE0EEEvSS_
; %bb.0:
	.section	.rodata,"a",@progbits
	.p2align	6, 0x0
	.amdhsa_kernel _ZN7rocprim17ROCPRIM_400000_NS6detail17trampoline_kernelINS0_14default_configENS1_21merge_config_selectorINS0_5tupleIJiiEEENS0_10empty_typeEEEZNS1_10merge_implIS3_NS0_12zip_iteratorINS5_IJN6thrust23THRUST_200600_302600_NS10device_ptrIiEESE_EEEEESG_SG_PS7_SH_SH_NSC_11hip_rocprim7__merge17predicate_wrapperIiiNSC_4lessIiEEEEEE10hipError_tPvRmT0_T1_T2_T3_T4_T5_mmT6_P12ihipStream_tbEUlT_E_NS1_11comp_targetILNS1_3genE10ELNS1_11target_archE1200ELNS1_3gpuE4ELNS1_3repE0EEENS1_30default_config_static_selectorELNS0_4arch9wavefront6targetE0EEEvSS_
		.amdhsa_group_segment_fixed_size 0
		.amdhsa_private_segment_fixed_size 0
		.amdhsa_kernarg_size 64
		.amdhsa_user_sgpr_count 2
		.amdhsa_user_sgpr_dispatch_ptr 0
		.amdhsa_user_sgpr_queue_ptr 0
		.amdhsa_user_sgpr_kernarg_segment_ptr 1
		.amdhsa_user_sgpr_dispatch_id 0
		.amdhsa_user_sgpr_kernarg_preload_length 0
		.amdhsa_user_sgpr_kernarg_preload_offset 0
		.amdhsa_user_sgpr_private_segment_size 0
		.amdhsa_wavefront_size32 1
		.amdhsa_uses_dynamic_stack 0
		.amdhsa_enable_private_segment 0
		.amdhsa_system_sgpr_workgroup_id_x 1
		.amdhsa_system_sgpr_workgroup_id_y 0
		.amdhsa_system_sgpr_workgroup_id_z 0
		.amdhsa_system_sgpr_workgroup_info 0
		.amdhsa_system_vgpr_workitem_id 0
		.amdhsa_next_free_vgpr 1
		.amdhsa_next_free_sgpr 1
		.amdhsa_named_barrier_count 0
		.amdhsa_reserve_vcc 0
		.amdhsa_float_round_mode_32 0
		.amdhsa_float_round_mode_16_64 0
		.amdhsa_float_denorm_mode_32 3
		.amdhsa_float_denorm_mode_16_64 3
		.amdhsa_fp16_overflow 0
		.amdhsa_memory_ordered 1
		.amdhsa_forward_progress 1
		.amdhsa_inst_pref_size 0
		.amdhsa_round_robin_scheduling 0
		.amdhsa_exception_fp_ieee_invalid_op 0
		.amdhsa_exception_fp_denorm_src 0
		.amdhsa_exception_fp_ieee_div_zero 0
		.amdhsa_exception_fp_ieee_overflow 0
		.amdhsa_exception_fp_ieee_underflow 0
		.amdhsa_exception_fp_ieee_inexact 0
		.amdhsa_exception_int_div_zero 0
	.end_amdhsa_kernel
	.section	.text._ZN7rocprim17ROCPRIM_400000_NS6detail17trampoline_kernelINS0_14default_configENS1_21merge_config_selectorINS0_5tupleIJiiEEENS0_10empty_typeEEEZNS1_10merge_implIS3_NS0_12zip_iteratorINS5_IJN6thrust23THRUST_200600_302600_NS10device_ptrIiEESE_EEEEESG_SG_PS7_SH_SH_NSC_11hip_rocprim7__merge17predicate_wrapperIiiNSC_4lessIiEEEEEE10hipError_tPvRmT0_T1_T2_T3_T4_T5_mmT6_P12ihipStream_tbEUlT_E_NS1_11comp_targetILNS1_3genE10ELNS1_11target_archE1200ELNS1_3gpuE4ELNS1_3repE0EEENS1_30default_config_static_selectorELNS0_4arch9wavefront6targetE0EEEvSS_,"axG",@progbits,_ZN7rocprim17ROCPRIM_400000_NS6detail17trampoline_kernelINS0_14default_configENS1_21merge_config_selectorINS0_5tupleIJiiEEENS0_10empty_typeEEEZNS1_10merge_implIS3_NS0_12zip_iteratorINS5_IJN6thrust23THRUST_200600_302600_NS10device_ptrIiEESE_EEEEESG_SG_PS7_SH_SH_NSC_11hip_rocprim7__merge17predicate_wrapperIiiNSC_4lessIiEEEEEE10hipError_tPvRmT0_T1_T2_T3_T4_T5_mmT6_P12ihipStream_tbEUlT_E_NS1_11comp_targetILNS1_3genE10ELNS1_11target_archE1200ELNS1_3gpuE4ELNS1_3repE0EEENS1_30default_config_static_selectorELNS0_4arch9wavefront6targetE0EEEvSS_,comdat
.Lfunc_end630:
	.size	_ZN7rocprim17ROCPRIM_400000_NS6detail17trampoline_kernelINS0_14default_configENS1_21merge_config_selectorINS0_5tupleIJiiEEENS0_10empty_typeEEEZNS1_10merge_implIS3_NS0_12zip_iteratorINS5_IJN6thrust23THRUST_200600_302600_NS10device_ptrIiEESE_EEEEESG_SG_PS7_SH_SH_NSC_11hip_rocprim7__merge17predicate_wrapperIiiNSC_4lessIiEEEEEE10hipError_tPvRmT0_T1_T2_T3_T4_T5_mmT6_P12ihipStream_tbEUlT_E_NS1_11comp_targetILNS1_3genE10ELNS1_11target_archE1200ELNS1_3gpuE4ELNS1_3repE0EEENS1_30default_config_static_selectorELNS0_4arch9wavefront6targetE0EEEvSS_, .Lfunc_end630-_ZN7rocprim17ROCPRIM_400000_NS6detail17trampoline_kernelINS0_14default_configENS1_21merge_config_selectorINS0_5tupleIJiiEEENS0_10empty_typeEEEZNS1_10merge_implIS3_NS0_12zip_iteratorINS5_IJN6thrust23THRUST_200600_302600_NS10device_ptrIiEESE_EEEEESG_SG_PS7_SH_SH_NSC_11hip_rocprim7__merge17predicate_wrapperIiiNSC_4lessIiEEEEEE10hipError_tPvRmT0_T1_T2_T3_T4_T5_mmT6_P12ihipStream_tbEUlT_E_NS1_11comp_targetILNS1_3genE10ELNS1_11target_archE1200ELNS1_3gpuE4ELNS1_3repE0EEENS1_30default_config_static_selectorELNS0_4arch9wavefront6targetE0EEEvSS_
                                        ; -- End function
	.set _ZN7rocprim17ROCPRIM_400000_NS6detail17trampoline_kernelINS0_14default_configENS1_21merge_config_selectorINS0_5tupleIJiiEEENS0_10empty_typeEEEZNS1_10merge_implIS3_NS0_12zip_iteratorINS5_IJN6thrust23THRUST_200600_302600_NS10device_ptrIiEESE_EEEEESG_SG_PS7_SH_SH_NSC_11hip_rocprim7__merge17predicate_wrapperIiiNSC_4lessIiEEEEEE10hipError_tPvRmT0_T1_T2_T3_T4_T5_mmT6_P12ihipStream_tbEUlT_E_NS1_11comp_targetILNS1_3genE10ELNS1_11target_archE1200ELNS1_3gpuE4ELNS1_3repE0EEENS1_30default_config_static_selectorELNS0_4arch9wavefront6targetE0EEEvSS_.num_vgpr, 0
	.set _ZN7rocprim17ROCPRIM_400000_NS6detail17trampoline_kernelINS0_14default_configENS1_21merge_config_selectorINS0_5tupleIJiiEEENS0_10empty_typeEEEZNS1_10merge_implIS3_NS0_12zip_iteratorINS5_IJN6thrust23THRUST_200600_302600_NS10device_ptrIiEESE_EEEEESG_SG_PS7_SH_SH_NSC_11hip_rocprim7__merge17predicate_wrapperIiiNSC_4lessIiEEEEEE10hipError_tPvRmT0_T1_T2_T3_T4_T5_mmT6_P12ihipStream_tbEUlT_E_NS1_11comp_targetILNS1_3genE10ELNS1_11target_archE1200ELNS1_3gpuE4ELNS1_3repE0EEENS1_30default_config_static_selectorELNS0_4arch9wavefront6targetE0EEEvSS_.num_agpr, 0
	.set _ZN7rocprim17ROCPRIM_400000_NS6detail17trampoline_kernelINS0_14default_configENS1_21merge_config_selectorINS0_5tupleIJiiEEENS0_10empty_typeEEEZNS1_10merge_implIS3_NS0_12zip_iteratorINS5_IJN6thrust23THRUST_200600_302600_NS10device_ptrIiEESE_EEEEESG_SG_PS7_SH_SH_NSC_11hip_rocprim7__merge17predicate_wrapperIiiNSC_4lessIiEEEEEE10hipError_tPvRmT0_T1_T2_T3_T4_T5_mmT6_P12ihipStream_tbEUlT_E_NS1_11comp_targetILNS1_3genE10ELNS1_11target_archE1200ELNS1_3gpuE4ELNS1_3repE0EEENS1_30default_config_static_selectorELNS0_4arch9wavefront6targetE0EEEvSS_.numbered_sgpr, 0
	.set _ZN7rocprim17ROCPRIM_400000_NS6detail17trampoline_kernelINS0_14default_configENS1_21merge_config_selectorINS0_5tupleIJiiEEENS0_10empty_typeEEEZNS1_10merge_implIS3_NS0_12zip_iteratorINS5_IJN6thrust23THRUST_200600_302600_NS10device_ptrIiEESE_EEEEESG_SG_PS7_SH_SH_NSC_11hip_rocprim7__merge17predicate_wrapperIiiNSC_4lessIiEEEEEE10hipError_tPvRmT0_T1_T2_T3_T4_T5_mmT6_P12ihipStream_tbEUlT_E_NS1_11comp_targetILNS1_3genE10ELNS1_11target_archE1200ELNS1_3gpuE4ELNS1_3repE0EEENS1_30default_config_static_selectorELNS0_4arch9wavefront6targetE0EEEvSS_.num_named_barrier, 0
	.set _ZN7rocprim17ROCPRIM_400000_NS6detail17trampoline_kernelINS0_14default_configENS1_21merge_config_selectorINS0_5tupleIJiiEEENS0_10empty_typeEEEZNS1_10merge_implIS3_NS0_12zip_iteratorINS5_IJN6thrust23THRUST_200600_302600_NS10device_ptrIiEESE_EEEEESG_SG_PS7_SH_SH_NSC_11hip_rocprim7__merge17predicate_wrapperIiiNSC_4lessIiEEEEEE10hipError_tPvRmT0_T1_T2_T3_T4_T5_mmT6_P12ihipStream_tbEUlT_E_NS1_11comp_targetILNS1_3genE10ELNS1_11target_archE1200ELNS1_3gpuE4ELNS1_3repE0EEENS1_30default_config_static_selectorELNS0_4arch9wavefront6targetE0EEEvSS_.private_seg_size, 0
	.set _ZN7rocprim17ROCPRIM_400000_NS6detail17trampoline_kernelINS0_14default_configENS1_21merge_config_selectorINS0_5tupleIJiiEEENS0_10empty_typeEEEZNS1_10merge_implIS3_NS0_12zip_iteratorINS5_IJN6thrust23THRUST_200600_302600_NS10device_ptrIiEESE_EEEEESG_SG_PS7_SH_SH_NSC_11hip_rocprim7__merge17predicate_wrapperIiiNSC_4lessIiEEEEEE10hipError_tPvRmT0_T1_T2_T3_T4_T5_mmT6_P12ihipStream_tbEUlT_E_NS1_11comp_targetILNS1_3genE10ELNS1_11target_archE1200ELNS1_3gpuE4ELNS1_3repE0EEENS1_30default_config_static_selectorELNS0_4arch9wavefront6targetE0EEEvSS_.uses_vcc, 0
	.set _ZN7rocprim17ROCPRIM_400000_NS6detail17trampoline_kernelINS0_14default_configENS1_21merge_config_selectorINS0_5tupleIJiiEEENS0_10empty_typeEEEZNS1_10merge_implIS3_NS0_12zip_iteratorINS5_IJN6thrust23THRUST_200600_302600_NS10device_ptrIiEESE_EEEEESG_SG_PS7_SH_SH_NSC_11hip_rocprim7__merge17predicate_wrapperIiiNSC_4lessIiEEEEEE10hipError_tPvRmT0_T1_T2_T3_T4_T5_mmT6_P12ihipStream_tbEUlT_E_NS1_11comp_targetILNS1_3genE10ELNS1_11target_archE1200ELNS1_3gpuE4ELNS1_3repE0EEENS1_30default_config_static_selectorELNS0_4arch9wavefront6targetE0EEEvSS_.uses_flat_scratch, 0
	.set _ZN7rocprim17ROCPRIM_400000_NS6detail17trampoline_kernelINS0_14default_configENS1_21merge_config_selectorINS0_5tupleIJiiEEENS0_10empty_typeEEEZNS1_10merge_implIS3_NS0_12zip_iteratorINS5_IJN6thrust23THRUST_200600_302600_NS10device_ptrIiEESE_EEEEESG_SG_PS7_SH_SH_NSC_11hip_rocprim7__merge17predicate_wrapperIiiNSC_4lessIiEEEEEE10hipError_tPvRmT0_T1_T2_T3_T4_T5_mmT6_P12ihipStream_tbEUlT_E_NS1_11comp_targetILNS1_3genE10ELNS1_11target_archE1200ELNS1_3gpuE4ELNS1_3repE0EEENS1_30default_config_static_selectorELNS0_4arch9wavefront6targetE0EEEvSS_.has_dyn_sized_stack, 0
	.set _ZN7rocprim17ROCPRIM_400000_NS6detail17trampoline_kernelINS0_14default_configENS1_21merge_config_selectorINS0_5tupleIJiiEEENS0_10empty_typeEEEZNS1_10merge_implIS3_NS0_12zip_iteratorINS5_IJN6thrust23THRUST_200600_302600_NS10device_ptrIiEESE_EEEEESG_SG_PS7_SH_SH_NSC_11hip_rocprim7__merge17predicate_wrapperIiiNSC_4lessIiEEEEEE10hipError_tPvRmT0_T1_T2_T3_T4_T5_mmT6_P12ihipStream_tbEUlT_E_NS1_11comp_targetILNS1_3genE10ELNS1_11target_archE1200ELNS1_3gpuE4ELNS1_3repE0EEENS1_30default_config_static_selectorELNS0_4arch9wavefront6targetE0EEEvSS_.has_recursion, 0
	.set _ZN7rocprim17ROCPRIM_400000_NS6detail17trampoline_kernelINS0_14default_configENS1_21merge_config_selectorINS0_5tupleIJiiEEENS0_10empty_typeEEEZNS1_10merge_implIS3_NS0_12zip_iteratorINS5_IJN6thrust23THRUST_200600_302600_NS10device_ptrIiEESE_EEEEESG_SG_PS7_SH_SH_NSC_11hip_rocprim7__merge17predicate_wrapperIiiNSC_4lessIiEEEEEE10hipError_tPvRmT0_T1_T2_T3_T4_T5_mmT6_P12ihipStream_tbEUlT_E_NS1_11comp_targetILNS1_3genE10ELNS1_11target_archE1200ELNS1_3gpuE4ELNS1_3repE0EEENS1_30default_config_static_selectorELNS0_4arch9wavefront6targetE0EEEvSS_.has_indirect_call, 0
	.section	.AMDGPU.csdata,"",@progbits
; Kernel info:
; codeLenInByte = 0
; TotalNumSgprs: 0
; NumVgprs: 0
; ScratchSize: 0
; MemoryBound: 0
; FloatMode: 240
; IeeeMode: 1
; LDSByteSize: 0 bytes/workgroup (compile time only)
; SGPRBlocks: 0
; VGPRBlocks: 0
; NumSGPRsForWavesPerEU: 1
; NumVGPRsForWavesPerEU: 1
; NamedBarCnt: 0
; Occupancy: 16
; WaveLimiterHint : 0
; COMPUTE_PGM_RSRC2:SCRATCH_EN: 0
; COMPUTE_PGM_RSRC2:USER_SGPR: 2
; COMPUTE_PGM_RSRC2:TRAP_HANDLER: 0
; COMPUTE_PGM_RSRC2:TGID_X_EN: 1
; COMPUTE_PGM_RSRC2:TGID_Y_EN: 0
; COMPUTE_PGM_RSRC2:TGID_Z_EN: 0
; COMPUTE_PGM_RSRC2:TIDIG_COMP_CNT: 0
	.section	.text._ZN7rocprim17ROCPRIM_400000_NS6detail17trampoline_kernelINS0_14default_configENS1_21merge_config_selectorINS0_5tupleIJiiEEENS0_10empty_typeEEEZNS1_10merge_implIS3_NS0_12zip_iteratorINS5_IJN6thrust23THRUST_200600_302600_NS10device_ptrIiEESE_EEEEESG_SG_PS7_SH_SH_NSC_11hip_rocprim7__merge17predicate_wrapperIiiNSC_4lessIiEEEEEE10hipError_tPvRmT0_T1_T2_T3_T4_T5_mmT6_P12ihipStream_tbEUlT_E_NS1_11comp_targetILNS1_3genE9ELNS1_11target_archE1100ELNS1_3gpuE3ELNS1_3repE0EEENS1_30default_config_static_selectorELNS0_4arch9wavefront6targetE0EEEvSS_,"axG",@progbits,_ZN7rocprim17ROCPRIM_400000_NS6detail17trampoline_kernelINS0_14default_configENS1_21merge_config_selectorINS0_5tupleIJiiEEENS0_10empty_typeEEEZNS1_10merge_implIS3_NS0_12zip_iteratorINS5_IJN6thrust23THRUST_200600_302600_NS10device_ptrIiEESE_EEEEESG_SG_PS7_SH_SH_NSC_11hip_rocprim7__merge17predicate_wrapperIiiNSC_4lessIiEEEEEE10hipError_tPvRmT0_T1_T2_T3_T4_T5_mmT6_P12ihipStream_tbEUlT_E_NS1_11comp_targetILNS1_3genE9ELNS1_11target_archE1100ELNS1_3gpuE3ELNS1_3repE0EEENS1_30default_config_static_selectorELNS0_4arch9wavefront6targetE0EEEvSS_,comdat
	.protected	_ZN7rocprim17ROCPRIM_400000_NS6detail17trampoline_kernelINS0_14default_configENS1_21merge_config_selectorINS0_5tupleIJiiEEENS0_10empty_typeEEEZNS1_10merge_implIS3_NS0_12zip_iteratorINS5_IJN6thrust23THRUST_200600_302600_NS10device_ptrIiEESE_EEEEESG_SG_PS7_SH_SH_NSC_11hip_rocprim7__merge17predicate_wrapperIiiNSC_4lessIiEEEEEE10hipError_tPvRmT0_T1_T2_T3_T4_T5_mmT6_P12ihipStream_tbEUlT_E_NS1_11comp_targetILNS1_3genE9ELNS1_11target_archE1100ELNS1_3gpuE3ELNS1_3repE0EEENS1_30default_config_static_selectorELNS0_4arch9wavefront6targetE0EEEvSS_ ; -- Begin function _ZN7rocprim17ROCPRIM_400000_NS6detail17trampoline_kernelINS0_14default_configENS1_21merge_config_selectorINS0_5tupleIJiiEEENS0_10empty_typeEEEZNS1_10merge_implIS3_NS0_12zip_iteratorINS5_IJN6thrust23THRUST_200600_302600_NS10device_ptrIiEESE_EEEEESG_SG_PS7_SH_SH_NSC_11hip_rocprim7__merge17predicate_wrapperIiiNSC_4lessIiEEEEEE10hipError_tPvRmT0_T1_T2_T3_T4_T5_mmT6_P12ihipStream_tbEUlT_E_NS1_11comp_targetILNS1_3genE9ELNS1_11target_archE1100ELNS1_3gpuE3ELNS1_3repE0EEENS1_30default_config_static_selectorELNS0_4arch9wavefront6targetE0EEEvSS_
	.globl	_ZN7rocprim17ROCPRIM_400000_NS6detail17trampoline_kernelINS0_14default_configENS1_21merge_config_selectorINS0_5tupleIJiiEEENS0_10empty_typeEEEZNS1_10merge_implIS3_NS0_12zip_iteratorINS5_IJN6thrust23THRUST_200600_302600_NS10device_ptrIiEESE_EEEEESG_SG_PS7_SH_SH_NSC_11hip_rocprim7__merge17predicate_wrapperIiiNSC_4lessIiEEEEEE10hipError_tPvRmT0_T1_T2_T3_T4_T5_mmT6_P12ihipStream_tbEUlT_E_NS1_11comp_targetILNS1_3genE9ELNS1_11target_archE1100ELNS1_3gpuE3ELNS1_3repE0EEENS1_30default_config_static_selectorELNS0_4arch9wavefront6targetE0EEEvSS_
	.p2align	8
	.type	_ZN7rocprim17ROCPRIM_400000_NS6detail17trampoline_kernelINS0_14default_configENS1_21merge_config_selectorINS0_5tupleIJiiEEENS0_10empty_typeEEEZNS1_10merge_implIS3_NS0_12zip_iteratorINS5_IJN6thrust23THRUST_200600_302600_NS10device_ptrIiEESE_EEEEESG_SG_PS7_SH_SH_NSC_11hip_rocprim7__merge17predicate_wrapperIiiNSC_4lessIiEEEEEE10hipError_tPvRmT0_T1_T2_T3_T4_T5_mmT6_P12ihipStream_tbEUlT_E_NS1_11comp_targetILNS1_3genE9ELNS1_11target_archE1100ELNS1_3gpuE3ELNS1_3repE0EEENS1_30default_config_static_selectorELNS0_4arch9wavefront6targetE0EEEvSS_,@function
_ZN7rocprim17ROCPRIM_400000_NS6detail17trampoline_kernelINS0_14default_configENS1_21merge_config_selectorINS0_5tupleIJiiEEENS0_10empty_typeEEEZNS1_10merge_implIS3_NS0_12zip_iteratorINS5_IJN6thrust23THRUST_200600_302600_NS10device_ptrIiEESE_EEEEESG_SG_PS7_SH_SH_NSC_11hip_rocprim7__merge17predicate_wrapperIiiNSC_4lessIiEEEEEE10hipError_tPvRmT0_T1_T2_T3_T4_T5_mmT6_P12ihipStream_tbEUlT_E_NS1_11comp_targetILNS1_3genE9ELNS1_11target_archE1100ELNS1_3gpuE3ELNS1_3repE0EEENS1_30default_config_static_selectorELNS0_4arch9wavefront6targetE0EEEvSS_: ; @_ZN7rocprim17ROCPRIM_400000_NS6detail17trampoline_kernelINS0_14default_configENS1_21merge_config_selectorINS0_5tupleIJiiEEENS0_10empty_typeEEEZNS1_10merge_implIS3_NS0_12zip_iteratorINS5_IJN6thrust23THRUST_200600_302600_NS10device_ptrIiEESE_EEEEESG_SG_PS7_SH_SH_NSC_11hip_rocprim7__merge17predicate_wrapperIiiNSC_4lessIiEEEEEE10hipError_tPvRmT0_T1_T2_T3_T4_T5_mmT6_P12ihipStream_tbEUlT_E_NS1_11comp_targetILNS1_3genE9ELNS1_11target_archE1100ELNS1_3gpuE3ELNS1_3repE0EEENS1_30default_config_static_selectorELNS0_4arch9wavefront6targetE0EEEvSS_
; %bb.0:
	.section	.rodata,"a",@progbits
	.p2align	6, 0x0
	.amdhsa_kernel _ZN7rocprim17ROCPRIM_400000_NS6detail17trampoline_kernelINS0_14default_configENS1_21merge_config_selectorINS0_5tupleIJiiEEENS0_10empty_typeEEEZNS1_10merge_implIS3_NS0_12zip_iteratorINS5_IJN6thrust23THRUST_200600_302600_NS10device_ptrIiEESE_EEEEESG_SG_PS7_SH_SH_NSC_11hip_rocprim7__merge17predicate_wrapperIiiNSC_4lessIiEEEEEE10hipError_tPvRmT0_T1_T2_T3_T4_T5_mmT6_P12ihipStream_tbEUlT_E_NS1_11comp_targetILNS1_3genE9ELNS1_11target_archE1100ELNS1_3gpuE3ELNS1_3repE0EEENS1_30default_config_static_selectorELNS0_4arch9wavefront6targetE0EEEvSS_
		.amdhsa_group_segment_fixed_size 0
		.amdhsa_private_segment_fixed_size 0
		.amdhsa_kernarg_size 64
		.amdhsa_user_sgpr_count 2
		.amdhsa_user_sgpr_dispatch_ptr 0
		.amdhsa_user_sgpr_queue_ptr 0
		.amdhsa_user_sgpr_kernarg_segment_ptr 1
		.amdhsa_user_sgpr_dispatch_id 0
		.amdhsa_user_sgpr_kernarg_preload_length 0
		.amdhsa_user_sgpr_kernarg_preload_offset 0
		.amdhsa_user_sgpr_private_segment_size 0
		.amdhsa_wavefront_size32 1
		.amdhsa_uses_dynamic_stack 0
		.amdhsa_enable_private_segment 0
		.amdhsa_system_sgpr_workgroup_id_x 1
		.amdhsa_system_sgpr_workgroup_id_y 0
		.amdhsa_system_sgpr_workgroup_id_z 0
		.amdhsa_system_sgpr_workgroup_info 0
		.amdhsa_system_vgpr_workitem_id 0
		.amdhsa_next_free_vgpr 1
		.amdhsa_next_free_sgpr 1
		.amdhsa_named_barrier_count 0
		.amdhsa_reserve_vcc 0
		.amdhsa_float_round_mode_32 0
		.amdhsa_float_round_mode_16_64 0
		.amdhsa_float_denorm_mode_32 3
		.amdhsa_float_denorm_mode_16_64 3
		.amdhsa_fp16_overflow 0
		.amdhsa_memory_ordered 1
		.amdhsa_forward_progress 1
		.amdhsa_inst_pref_size 0
		.amdhsa_round_robin_scheduling 0
		.amdhsa_exception_fp_ieee_invalid_op 0
		.amdhsa_exception_fp_denorm_src 0
		.amdhsa_exception_fp_ieee_div_zero 0
		.amdhsa_exception_fp_ieee_overflow 0
		.amdhsa_exception_fp_ieee_underflow 0
		.amdhsa_exception_fp_ieee_inexact 0
		.amdhsa_exception_int_div_zero 0
	.end_amdhsa_kernel
	.section	.text._ZN7rocprim17ROCPRIM_400000_NS6detail17trampoline_kernelINS0_14default_configENS1_21merge_config_selectorINS0_5tupleIJiiEEENS0_10empty_typeEEEZNS1_10merge_implIS3_NS0_12zip_iteratorINS5_IJN6thrust23THRUST_200600_302600_NS10device_ptrIiEESE_EEEEESG_SG_PS7_SH_SH_NSC_11hip_rocprim7__merge17predicate_wrapperIiiNSC_4lessIiEEEEEE10hipError_tPvRmT0_T1_T2_T3_T4_T5_mmT6_P12ihipStream_tbEUlT_E_NS1_11comp_targetILNS1_3genE9ELNS1_11target_archE1100ELNS1_3gpuE3ELNS1_3repE0EEENS1_30default_config_static_selectorELNS0_4arch9wavefront6targetE0EEEvSS_,"axG",@progbits,_ZN7rocprim17ROCPRIM_400000_NS6detail17trampoline_kernelINS0_14default_configENS1_21merge_config_selectorINS0_5tupleIJiiEEENS0_10empty_typeEEEZNS1_10merge_implIS3_NS0_12zip_iteratorINS5_IJN6thrust23THRUST_200600_302600_NS10device_ptrIiEESE_EEEEESG_SG_PS7_SH_SH_NSC_11hip_rocprim7__merge17predicate_wrapperIiiNSC_4lessIiEEEEEE10hipError_tPvRmT0_T1_T2_T3_T4_T5_mmT6_P12ihipStream_tbEUlT_E_NS1_11comp_targetILNS1_3genE9ELNS1_11target_archE1100ELNS1_3gpuE3ELNS1_3repE0EEENS1_30default_config_static_selectorELNS0_4arch9wavefront6targetE0EEEvSS_,comdat
.Lfunc_end631:
	.size	_ZN7rocprim17ROCPRIM_400000_NS6detail17trampoline_kernelINS0_14default_configENS1_21merge_config_selectorINS0_5tupleIJiiEEENS0_10empty_typeEEEZNS1_10merge_implIS3_NS0_12zip_iteratorINS5_IJN6thrust23THRUST_200600_302600_NS10device_ptrIiEESE_EEEEESG_SG_PS7_SH_SH_NSC_11hip_rocprim7__merge17predicate_wrapperIiiNSC_4lessIiEEEEEE10hipError_tPvRmT0_T1_T2_T3_T4_T5_mmT6_P12ihipStream_tbEUlT_E_NS1_11comp_targetILNS1_3genE9ELNS1_11target_archE1100ELNS1_3gpuE3ELNS1_3repE0EEENS1_30default_config_static_selectorELNS0_4arch9wavefront6targetE0EEEvSS_, .Lfunc_end631-_ZN7rocprim17ROCPRIM_400000_NS6detail17trampoline_kernelINS0_14default_configENS1_21merge_config_selectorINS0_5tupleIJiiEEENS0_10empty_typeEEEZNS1_10merge_implIS3_NS0_12zip_iteratorINS5_IJN6thrust23THRUST_200600_302600_NS10device_ptrIiEESE_EEEEESG_SG_PS7_SH_SH_NSC_11hip_rocprim7__merge17predicate_wrapperIiiNSC_4lessIiEEEEEE10hipError_tPvRmT0_T1_T2_T3_T4_T5_mmT6_P12ihipStream_tbEUlT_E_NS1_11comp_targetILNS1_3genE9ELNS1_11target_archE1100ELNS1_3gpuE3ELNS1_3repE0EEENS1_30default_config_static_selectorELNS0_4arch9wavefront6targetE0EEEvSS_
                                        ; -- End function
	.set _ZN7rocprim17ROCPRIM_400000_NS6detail17trampoline_kernelINS0_14default_configENS1_21merge_config_selectorINS0_5tupleIJiiEEENS0_10empty_typeEEEZNS1_10merge_implIS3_NS0_12zip_iteratorINS5_IJN6thrust23THRUST_200600_302600_NS10device_ptrIiEESE_EEEEESG_SG_PS7_SH_SH_NSC_11hip_rocprim7__merge17predicate_wrapperIiiNSC_4lessIiEEEEEE10hipError_tPvRmT0_T1_T2_T3_T4_T5_mmT6_P12ihipStream_tbEUlT_E_NS1_11comp_targetILNS1_3genE9ELNS1_11target_archE1100ELNS1_3gpuE3ELNS1_3repE0EEENS1_30default_config_static_selectorELNS0_4arch9wavefront6targetE0EEEvSS_.num_vgpr, 0
	.set _ZN7rocprim17ROCPRIM_400000_NS6detail17trampoline_kernelINS0_14default_configENS1_21merge_config_selectorINS0_5tupleIJiiEEENS0_10empty_typeEEEZNS1_10merge_implIS3_NS0_12zip_iteratorINS5_IJN6thrust23THRUST_200600_302600_NS10device_ptrIiEESE_EEEEESG_SG_PS7_SH_SH_NSC_11hip_rocprim7__merge17predicate_wrapperIiiNSC_4lessIiEEEEEE10hipError_tPvRmT0_T1_T2_T3_T4_T5_mmT6_P12ihipStream_tbEUlT_E_NS1_11comp_targetILNS1_3genE9ELNS1_11target_archE1100ELNS1_3gpuE3ELNS1_3repE0EEENS1_30default_config_static_selectorELNS0_4arch9wavefront6targetE0EEEvSS_.num_agpr, 0
	.set _ZN7rocprim17ROCPRIM_400000_NS6detail17trampoline_kernelINS0_14default_configENS1_21merge_config_selectorINS0_5tupleIJiiEEENS0_10empty_typeEEEZNS1_10merge_implIS3_NS0_12zip_iteratorINS5_IJN6thrust23THRUST_200600_302600_NS10device_ptrIiEESE_EEEEESG_SG_PS7_SH_SH_NSC_11hip_rocprim7__merge17predicate_wrapperIiiNSC_4lessIiEEEEEE10hipError_tPvRmT0_T1_T2_T3_T4_T5_mmT6_P12ihipStream_tbEUlT_E_NS1_11comp_targetILNS1_3genE9ELNS1_11target_archE1100ELNS1_3gpuE3ELNS1_3repE0EEENS1_30default_config_static_selectorELNS0_4arch9wavefront6targetE0EEEvSS_.numbered_sgpr, 0
	.set _ZN7rocprim17ROCPRIM_400000_NS6detail17trampoline_kernelINS0_14default_configENS1_21merge_config_selectorINS0_5tupleIJiiEEENS0_10empty_typeEEEZNS1_10merge_implIS3_NS0_12zip_iteratorINS5_IJN6thrust23THRUST_200600_302600_NS10device_ptrIiEESE_EEEEESG_SG_PS7_SH_SH_NSC_11hip_rocprim7__merge17predicate_wrapperIiiNSC_4lessIiEEEEEE10hipError_tPvRmT0_T1_T2_T3_T4_T5_mmT6_P12ihipStream_tbEUlT_E_NS1_11comp_targetILNS1_3genE9ELNS1_11target_archE1100ELNS1_3gpuE3ELNS1_3repE0EEENS1_30default_config_static_selectorELNS0_4arch9wavefront6targetE0EEEvSS_.num_named_barrier, 0
	.set _ZN7rocprim17ROCPRIM_400000_NS6detail17trampoline_kernelINS0_14default_configENS1_21merge_config_selectorINS0_5tupleIJiiEEENS0_10empty_typeEEEZNS1_10merge_implIS3_NS0_12zip_iteratorINS5_IJN6thrust23THRUST_200600_302600_NS10device_ptrIiEESE_EEEEESG_SG_PS7_SH_SH_NSC_11hip_rocprim7__merge17predicate_wrapperIiiNSC_4lessIiEEEEEE10hipError_tPvRmT0_T1_T2_T3_T4_T5_mmT6_P12ihipStream_tbEUlT_E_NS1_11comp_targetILNS1_3genE9ELNS1_11target_archE1100ELNS1_3gpuE3ELNS1_3repE0EEENS1_30default_config_static_selectorELNS0_4arch9wavefront6targetE0EEEvSS_.private_seg_size, 0
	.set _ZN7rocprim17ROCPRIM_400000_NS6detail17trampoline_kernelINS0_14default_configENS1_21merge_config_selectorINS0_5tupleIJiiEEENS0_10empty_typeEEEZNS1_10merge_implIS3_NS0_12zip_iteratorINS5_IJN6thrust23THRUST_200600_302600_NS10device_ptrIiEESE_EEEEESG_SG_PS7_SH_SH_NSC_11hip_rocprim7__merge17predicate_wrapperIiiNSC_4lessIiEEEEEE10hipError_tPvRmT0_T1_T2_T3_T4_T5_mmT6_P12ihipStream_tbEUlT_E_NS1_11comp_targetILNS1_3genE9ELNS1_11target_archE1100ELNS1_3gpuE3ELNS1_3repE0EEENS1_30default_config_static_selectorELNS0_4arch9wavefront6targetE0EEEvSS_.uses_vcc, 0
	.set _ZN7rocprim17ROCPRIM_400000_NS6detail17trampoline_kernelINS0_14default_configENS1_21merge_config_selectorINS0_5tupleIJiiEEENS0_10empty_typeEEEZNS1_10merge_implIS3_NS0_12zip_iteratorINS5_IJN6thrust23THRUST_200600_302600_NS10device_ptrIiEESE_EEEEESG_SG_PS7_SH_SH_NSC_11hip_rocprim7__merge17predicate_wrapperIiiNSC_4lessIiEEEEEE10hipError_tPvRmT0_T1_T2_T3_T4_T5_mmT6_P12ihipStream_tbEUlT_E_NS1_11comp_targetILNS1_3genE9ELNS1_11target_archE1100ELNS1_3gpuE3ELNS1_3repE0EEENS1_30default_config_static_selectorELNS0_4arch9wavefront6targetE0EEEvSS_.uses_flat_scratch, 0
	.set _ZN7rocprim17ROCPRIM_400000_NS6detail17trampoline_kernelINS0_14default_configENS1_21merge_config_selectorINS0_5tupleIJiiEEENS0_10empty_typeEEEZNS1_10merge_implIS3_NS0_12zip_iteratorINS5_IJN6thrust23THRUST_200600_302600_NS10device_ptrIiEESE_EEEEESG_SG_PS7_SH_SH_NSC_11hip_rocprim7__merge17predicate_wrapperIiiNSC_4lessIiEEEEEE10hipError_tPvRmT0_T1_T2_T3_T4_T5_mmT6_P12ihipStream_tbEUlT_E_NS1_11comp_targetILNS1_3genE9ELNS1_11target_archE1100ELNS1_3gpuE3ELNS1_3repE0EEENS1_30default_config_static_selectorELNS0_4arch9wavefront6targetE0EEEvSS_.has_dyn_sized_stack, 0
	.set _ZN7rocprim17ROCPRIM_400000_NS6detail17trampoline_kernelINS0_14default_configENS1_21merge_config_selectorINS0_5tupleIJiiEEENS0_10empty_typeEEEZNS1_10merge_implIS3_NS0_12zip_iteratorINS5_IJN6thrust23THRUST_200600_302600_NS10device_ptrIiEESE_EEEEESG_SG_PS7_SH_SH_NSC_11hip_rocprim7__merge17predicate_wrapperIiiNSC_4lessIiEEEEEE10hipError_tPvRmT0_T1_T2_T3_T4_T5_mmT6_P12ihipStream_tbEUlT_E_NS1_11comp_targetILNS1_3genE9ELNS1_11target_archE1100ELNS1_3gpuE3ELNS1_3repE0EEENS1_30default_config_static_selectorELNS0_4arch9wavefront6targetE0EEEvSS_.has_recursion, 0
	.set _ZN7rocprim17ROCPRIM_400000_NS6detail17trampoline_kernelINS0_14default_configENS1_21merge_config_selectorINS0_5tupleIJiiEEENS0_10empty_typeEEEZNS1_10merge_implIS3_NS0_12zip_iteratorINS5_IJN6thrust23THRUST_200600_302600_NS10device_ptrIiEESE_EEEEESG_SG_PS7_SH_SH_NSC_11hip_rocprim7__merge17predicate_wrapperIiiNSC_4lessIiEEEEEE10hipError_tPvRmT0_T1_T2_T3_T4_T5_mmT6_P12ihipStream_tbEUlT_E_NS1_11comp_targetILNS1_3genE9ELNS1_11target_archE1100ELNS1_3gpuE3ELNS1_3repE0EEENS1_30default_config_static_selectorELNS0_4arch9wavefront6targetE0EEEvSS_.has_indirect_call, 0
	.section	.AMDGPU.csdata,"",@progbits
; Kernel info:
; codeLenInByte = 0
; TotalNumSgprs: 0
; NumVgprs: 0
; ScratchSize: 0
; MemoryBound: 0
; FloatMode: 240
; IeeeMode: 1
; LDSByteSize: 0 bytes/workgroup (compile time only)
; SGPRBlocks: 0
; VGPRBlocks: 0
; NumSGPRsForWavesPerEU: 1
; NumVGPRsForWavesPerEU: 1
; NamedBarCnt: 0
; Occupancy: 16
; WaveLimiterHint : 0
; COMPUTE_PGM_RSRC2:SCRATCH_EN: 0
; COMPUTE_PGM_RSRC2:USER_SGPR: 2
; COMPUTE_PGM_RSRC2:TRAP_HANDLER: 0
; COMPUTE_PGM_RSRC2:TGID_X_EN: 1
; COMPUTE_PGM_RSRC2:TGID_Y_EN: 0
; COMPUTE_PGM_RSRC2:TGID_Z_EN: 0
; COMPUTE_PGM_RSRC2:TIDIG_COMP_CNT: 0
	.section	.text._ZN7rocprim17ROCPRIM_400000_NS6detail17trampoline_kernelINS0_14default_configENS1_21merge_config_selectorINS0_5tupleIJiiEEENS0_10empty_typeEEEZNS1_10merge_implIS3_NS0_12zip_iteratorINS5_IJN6thrust23THRUST_200600_302600_NS10device_ptrIiEESE_EEEEESG_SG_PS7_SH_SH_NSC_11hip_rocprim7__merge17predicate_wrapperIiiNSC_4lessIiEEEEEE10hipError_tPvRmT0_T1_T2_T3_T4_T5_mmT6_P12ihipStream_tbEUlT_E_NS1_11comp_targetILNS1_3genE8ELNS1_11target_archE1030ELNS1_3gpuE2ELNS1_3repE0EEENS1_30default_config_static_selectorELNS0_4arch9wavefront6targetE0EEEvSS_,"axG",@progbits,_ZN7rocprim17ROCPRIM_400000_NS6detail17trampoline_kernelINS0_14default_configENS1_21merge_config_selectorINS0_5tupleIJiiEEENS0_10empty_typeEEEZNS1_10merge_implIS3_NS0_12zip_iteratorINS5_IJN6thrust23THRUST_200600_302600_NS10device_ptrIiEESE_EEEEESG_SG_PS7_SH_SH_NSC_11hip_rocprim7__merge17predicate_wrapperIiiNSC_4lessIiEEEEEE10hipError_tPvRmT0_T1_T2_T3_T4_T5_mmT6_P12ihipStream_tbEUlT_E_NS1_11comp_targetILNS1_3genE8ELNS1_11target_archE1030ELNS1_3gpuE2ELNS1_3repE0EEENS1_30default_config_static_selectorELNS0_4arch9wavefront6targetE0EEEvSS_,comdat
	.protected	_ZN7rocprim17ROCPRIM_400000_NS6detail17trampoline_kernelINS0_14default_configENS1_21merge_config_selectorINS0_5tupleIJiiEEENS0_10empty_typeEEEZNS1_10merge_implIS3_NS0_12zip_iteratorINS5_IJN6thrust23THRUST_200600_302600_NS10device_ptrIiEESE_EEEEESG_SG_PS7_SH_SH_NSC_11hip_rocprim7__merge17predicate_wrapperIiiNSC_4lessIiEEEEEE10hipError_tPvRmT0_T1_T2_T3_T4_T5_mmT6_P12ihipStream_tbEUlT_E_NS1_11comp_targetILNS1_3genE8ELNS1_11target_archE1030ELNS1_3gpuE2ELNS1_3repE0EEENS1_30default_config_static_selectorELNS0_4arch9wavefront6targetE0EEEvSS_ ; -- Begin function _ZN7rocprim17ROCPRIM_400000_NS6detail17trampoline_kernelINS0_14default_configENS1_21merge_config_selectorINS0_5tupleIJiiEEENS0_10empty_typeEEEZNS1_10merge_implIS3_NS0_12zip_iteratorINS5_IJN6thrust23THRUST_200600_302600_NS10device_ptrIiEESE_EEEEESG_SG_PS7_SH_SH_NSC_11hip_rocprim7__merge17predicate_wrapperIiiNSC_4lessIiEEEEEE10hipError_tPvRmT0_T1_T2_T3_T4_T5_mmT6_P12ihipStream_tbEUlT_E_NS1_11comp_targetILNS1_3genE8ELNS1_11target_archE1030ELNS1_3gpuE2ELNS1_3repE0EEENS1_30default_config_static_selectorELNS0_4arch9wavefront6targetE0EEEvSS_
	.globl	_ZN7rocprim17ROCPRIM_400000_NS6detail17trampoline_kernelINS0_14default_configENS1_21merge_config_selectorINS0_5tupleIJiiEEENS0_10empty_typeEEEZNS1_10merge_implIS3_NS0_12zip_iteratorINS5_IJN6thrust23THRUST_200600_302600_NS10device_ptrIiEESE_EEEEESG_SG_PS7_SH_SH_NSC_11hip_rocprim7__merge17predicate_wrapperIiiNSC_4lessIiEEEEEE10hipError_tPvRmT0_T1_T2_T3_T4_T5_mmT6_P12ihipStream_tbEUlT_E_NS1_11comp_targetILNS1_3genE8ELNS1_11target_archE1030ELNS1_3gpuE2ELNS1_3repE0EEENS1_30default_config_static_selectorELNS0_4arch9wavefront6targetE0EEEvSS_
	.p2align	8
	.type	_ZN7rocprim17ROCPRIM_400000_NS6detail17trampoline_kernelINS0_14default_configENS1_21merge_config_selectorINS0_5tupleIJiiEEENS0_10empty_typeEEEZNS1_10merge_implIS3_NS0_12zip_iteratorINS5_IJN6thrust23THRUST_200600_302600_NS10device_ptrIiEESE_EEEEESG_SG_PS7_SH_SH_NSC_11hip_rocprim7__merge17predicate_wrapperIiiNSC_4lessIiEEEEEE10hipError_tPvRmT0_T1_T2_T3_T4_T5_mmT6_P12ihipStream_tbEUlT_E_NS1_11comp_targetILNS1_3genE8ELNS1_11target_archE1030ELNS1_3gpuE2ELNS1_3repE0EEENS1_30default_config_static_selectorELNS0_4arch9wavefront6targetE0EEEvSS_,@function
_ZN7rocprim17ROCPRIM_400000_NS6detail17trampoline_kernelINS0_14default_configENS1_21merge_config_selectorINS0_5tupleIJiiEEENS0_10empty_typeEEEZNS1_10merge_implIS3_NS0_12zip_iteratorINS5_IJN6thrust23THRUST_200600_302600_NS10device_ptrIiEESE_EEEEESG_SG_PS7_SH_SH_NSC_11hip_rocprim7__merge17predicate_wrapperIiiNSC_4lessIiEEEEEE10hipError_tPvRmT0_T1_T2_T3_T4_T5_mmT6_P12ihipStream_tbEUlT_E_NS1_11comp_targetILNS1_3genE8ELNS1_11target_archE1030ELNS1_3gpuE2ELNS1_3repE0EEENS1_30default_config_static_selectorELNS0_4arch9wavefront6targetE0EEEvSS_: ; @_ZN7rocprim17ROCPRIM_400000_NS6detail17trampoline_kernelINS0_14default_configENS1_21merge_config_selectorINS0_5tupleIJiiEEENS0_10empty_typeEEEZNS1_10merge_implIS3_NS0_12zip_iteratorINS5_IJN6thrust23THRUST_200600_302600_NS10device_ptrIiEESE_EEEEESG_SG_PS7_SH_SH_NSC_11hip_rocprim7__merge17predicate_wrapperIiiNSC_4lessIiEEEEEE10hipError_tPvRmT0_T1_T2_T3_T4_T5_mmT6_P12ihipStream_tbEUlT_E_NS1_11comp_targetILNS1_3genE8ELNS1_11target_archE1030ELNS1_3gpuE2ELNS1_3repE0EEENS1_30default_config_static_selectorELNS0_4arch9wavefront6targetE0EEEvSS_
; %bb.0:
	.section	.rodata,"a",@progbits
	.p2align	6, 0x0
	.amdhsa_kernel _ZN7rocprim17ROCPRIM_400000_NS6detail17trampoline_kernelINS0_14default_configENS1_21merge_config_selectorINS0_5tupleIJiiEEENS0_10empty_typeEEEZNS1_10merge_implIS3_NS0_12zip_iteratorINS5_IJN6thrust23THRUST_200600_302600_NS10device_ptrIiEESE_EEEEESG_SG_PS7_SH_SH_NSC_11hip_rocprim7__merge17predicate_wrapperIiiNSC_4lessIiEEEEEE10hipError_tPvRmT0_T1_T2_T3_T4_T5_mmT6_P12ihipStream_tbEUlT_E_NS1_11comp_targetILNS1_3genE8ELNS1_11target_archE1030ELNS1_3gpuE2ELNS1_3repE0EEENS1_30default_config_static_selectorELNS0_4arch9wavefront6targetE0EEEvSS_
		.amdhsa_group_segment_fixed_size 0
		.amdhsa_private_segment_fixed_size 0
		.amdhsa_kernarg_size 64
		.amdhsa_user_sgpr_count 2
		.amdhsa_user_sgpr_dispatch_ptr 0
		.amdhsa_user_sgpr_queue_ptr 0
		.amdhsa_user_sgpr_kernarg_segment_ptr 1
		.amdhsa_user_sgpr_dispatch_id 0
		.amdhsa_user_sgpr_kernarg_preload_length 0
		.amdhsa_user_sgpr_kernarg_preload_offset 0
		.amdhsa_user_sgpr_private_segment_size 0
		.amdhsa_wavefront_size32 1
		.amdhsa_uses_dynamic_stack 0
		.amdhsa_enable_private_segment 0
		.amdhsa_system_sgpr_workgroup_id_x 1
		.amdhsa_system_sgpr_workgroup_id_y 0
		.amdhsa_system_sgpr_workgroup_id_z 0
		.amdhsa_system_sgpr_workgroup_info 0
		.amdhsa_system_vgpr_workitem_id 0
		.amdhsa_next_free_vgpr 1
		.amdhsa_next_free_sgpr 1
		.amdhsa_named_barrier_count 0
		.amdhsa_reserve_vcc 0
		.amdhsa_float_round_mode_32 0
		.amdhsa_float_round_mode_16_64 0
		.amdhsa_float_denorm_mode_32 3
		.amdhsa_float_denorm_mode_16_64 3
		.amdhsa_fp16_overflow 0
		.amdhsa_memory_ordered 1
		.amdhsa_forward_progress 1
		.amdhsa_inst_pref_size 0
		.amdhsa_round_robin_scheduling 0
		.amdhsa_exception_fp_ieee_invalid_op 0
		.amdhsa_exception_fp_denorm_src 0
		.amdhsa_exception_fp_ieee_div_zero 0
		.amdhsa_exception_fp_ieee_overflow 0
		.amdhsa_exception_fp_ieee_underflow 0
		.amdhsa_exception_fp_ieee_inexact 0
		.amdhsa_exception_int_div_zero 0
	.end_amdhsa_kernel
	.section	.text._ZN7rocprim17ROCPRIM_400000_NS6detail17trampoline_kernelINS0_14default_configENS1_21merge_config_selectorINS0_5tupleIJiiEEENS0_10empty_typeEEEZNS1_10merge_implIS3_NS0_12zip_iteratorINS5_IJN6thrust23THRUST_200600_302600_NS10device_ptrIiEESE_EEEEESG_SG_PS7_SH_SH_NSC_11hip_rocprim7__merge17predicate_wrapperIiiNSC_4lessIiEEEEEE10hipError_tPvRmT0_T1_T2_T3_T4_T5_mmT6_P12ihipStream_tbEUlT_E_NS1_11comp_targetILNS1_3genE8ELNS1_11target_archE1030ELNS1_3gpuE2ELNS1_3repE0EEENS1_30default_config_static_selectorELNS0_4arch9wavefront6targetE0EEEvSS_,"axG",@progbits,_ZN7rocprim17ROCPRIM_400000_NS6detail17trampoline_kernelINS0_14default_configENS1_21merge_config_selectorINS0_5tupleIJiiEEENS0_10empty_typeEEEZNS1_10merge_implIS3_NS0_12zip_iteratorINS5_IJN6thrust23THRUST_200600_302600_NS10device_ptrIiEESE_EEEEESG_SG_PS7_SH_SH_NSC_11hip_rocprim7__merge17predicate_wrapperIiiNSC_4lessIiEEEEEE10hipError_tPvRmT0_T1_T2_T3_T4_T5_mmT6_P12ihipStream_tbEUlT_E_NS1_11comp_targetILNS1_3genE8ELNS1_11target_archE1030ELNS1_3gpuE2ELNS1_3repE0EEENS1_30default_config_static_selectorELNS0_4arch9wavefront6targetE0EEEvSS_,comdat
.Lfunc_end632:
	.size	_ZN7rocprim17ROCPRIM_400000_NS6detail17trampoline_kernelINS0_14default_configENS1_21merge_config_selectorINS0_5tupleIJiiEEENS0_10empty_typeEEEZNS1_10merge_implIS3_NS0_12zip_iteratorINS5_IJN6thrust23THRUST_200600_302600_NS10device_ptrIiEESE_EEEEESG_SG_PS7_SH_SH_NSC_11hip_rocprim7__merge17predicate_wrapperIiiNSC_4lessIiEEEEEE10hipError_tPvRmT0_T1_T2_T3_T4_T5_mmT6_P12ihipStream_tbEUlT_E_NS1_11comp_targetILNS1_3genE8ELNS1_11target_archE1030ELNS1_3gpuE2ELNS1_3repE0EEENS1_30default_config_static_selectorELNS0_4arch9wavefront6targetE0EEEvSS_, .Lfunc_end632-_ZN7rocprim17ROCPRIM_400000_NS6detail17trampoline_kernelINS0_14default_configENS1_21merge_config_selectorINS0_5tupleIJiiEEENS0_10empty_typeEEEZNS1_10merge_implIS3_NS0_12zip_iteratorINS5_IJN6thrust23THRUST_200600_302600_NS10device_ptrIiEESE_EEEEESG_SG_PS7_SH_SH_NSC_11hip_rocprim7__merge17predicate_wrapperIiiNSC_4lessIiEEEEEE10hipError_tPvRmT0_T1_T2_T3_T4_T5_mmT6_P12ihipStream_tbEUlT_E_NS1_11comp_targetILNS1_3genE8ELNS1_11target_archE1030ELNS1_3gpuE2ELNS1_3repE0EEENS1_30default_config_static_selectorELNS0_4arch9wavefront6targetE0EEEvSS_
                                        ; -- End function
	.set _ZN7rocprim17ROCPRIM_400000_NS6detail17trampoline_kernelINS0_14default_configENS1_21merge_config_selectorINS0_5tupleIJiiEEENS0_10empty_typeEEEZNS1_10merge_implIS3_NS0_12zip_iteratorINS5_IJN6thrust23THRUST_200600_302600_NS10device_ptrIiEESE_EEEEESG_SG_PS7_SH_SH_NSC_11hip_rocprim7__merge17predicate_wrapperIiiNSC_4lessIiEEEEEE10hipError_tPvRmT0_T1_T2_T3_T4_T5_mmT6_P12ihipStream_tbEUlT_E_NS1_11comp_targetILNS1_3genE8ELNS1_11target_archE1030ELNS1_3gpuE2ELNS1_3repE0EEENS1_30default_config_static_selectorELNS0_4arch9wavefront6targetE0EEEvSS_.num_vgpr, 0
	.set _ZN7rocprim17ROCPRIM_400000_NS6detail17trampoline_kernelINS0_14default_configENS1_21merge_config_selectorINS0_5tupleIJiiEEENS0_10empty_typeEEEZNS1_10merge_implIS3_NS0_12zip_iteratorINS5_IJN6thrust23THRUST_200600_302600_NS10device_ptrIiEESE_EEEEESG_SG_PS7_SH_SH_NSC_11hip_rocprim7__merge17predicate_wrapperIiiNSC_4lessIiEEEEEE10hipError_tPvRmT0_T1_T2_T3_T4_T5_mmT6_P12ihipStream_tbEUlT_E_NS1_11comp_targetILNS1_3genE8ELNS1_11target_archE1030ELNS1_3gpuE2ELNS1_3repE0EEENS1_30default_config_static_selectorELNS0_4arch9wavefront6targetE0EEEvSS_.num_agpr, 0
	.set _ZN7rocprim17ROCPRIM_400000_NS6detail17trampoline_kernelINS0_14default_configENS1_21merge_config_selectorINS0_5tupleIJiiEEENS0_10empty_typeEEEZNS1_10merge_implIS3_NS0_12zip_iteratorINS5_IJN6thrust23THRUST_200600_302600_NS10device_ptrIiEESE_EEEEESG_SG_PS7_SH_SH_NSC_11hip_rocprim7__merge17predicate_wrapperIiiNSC_4lessIiEEEEEE10hipError_tPvRmT0_T1_T2_T3_T4_T5_mmT6_P12ihipStream_tbEUlT_E_NS1_11comp_targetILNS1_3genE8ELNS1_11target_archE1030ELNS1_3gpuE2ELNS1_3repE0EEENS1_30default_config_static_selectorELNS0_4arch9wavefront6targetE0EEEvSS_.numbered_sgpr, 0
	.set _ZN7rocprim17ROCPRIM_400000_NS6detail17trampoline_kernelINS0_14default_configENS1_21merge_config_selectorINS0_5tupleIJiiEEENS0_10empty_typeEEEZNS1_10merge_implIS3_NS0_12zip_iteratorINS5_IJN6thrust23THRUST_200600_302600_NS10device_ptrIiEESE_EEEEESG_SG_PS7_SH_SH_NSC_11hip_rocprim7__merge17predicate_wrapperIiiNSC_4lessIiEEEEEE10hipError_tPvRmT0_T1_T2_T3_T4_T5_mmT6_P12ihipStream_tbEUlT_E_NS1_11comp_targetILNS1_3genE8ELNS1_11target_archE1030ELNS1_3gpuE2ELNS1_3repE0EEENS1_30default_config_static_selectorELNS0_4arch9wavefront6targetE0EEEvSS_.num_named_barrier, 0
	.set _ZN7rocprim17ROCPRIM_400000_NS6detail17trampoline_kernelINS0_14default_configENS1_21merge_config_selectorINS0_5tupleIJiiEEENS0_10empty_typeEEEZNS1_10merge_implIS3_NS0_12zip_iteratorINS5_IJN6thrust23THRUST_200600_302600_NS10device_ptrIiEESE_EEEEESG_SG_PS7_SH_SH_NSC_11hip_rocprim7__merge17predicate_wrapperIiiNSC_4lessIiEEEEEE10hipError_tPvRmT0_T1_T2_T3_T4_T5_mmT6_P12ihipStream_tbEUlT_E_NS1_11comp_targetILNS1_3genE8ELNS1_11target_archE1030ELNS1_3gpuE2ELNS1_3repE0EEENS1_30default_config_static_selectorELNS0_4arch9wavefront6targetE0EEEvSS_.private_seg_size, 0
	.set _ZN7rocprim17ROCPRIM_400000_NS6detail17trampoline_kernelINS0_14default_configENS1_21merge_config_selectorINS0_5tupleIJiiEEENS0_10empty_typeEEEZNS1_10merge_implIS3_NS0_12zip_iteratorINS5_IJN6thrust23THRUST_200600_302600_NS10device_ptrIiEESE_EEEEESG_SG_PS7_SH_SH_NSC_11hip_rocprim7__merge17predicate_wrapperIiiNSC_4lessIiEEEEEE10hipError_tPvRmT0_T1_T2_T3_T4_T5_mmT6_P12ihipStream_tbEUlT_E_NS1_11comp_targetILNS1_3genE8ELNS1_11target_archE1030ELNS1_3gpuE2ELNS1_3repE0EEENS1_30default_config_static_selectorELNS0_4arch9wavefront6targetE0EEEvSS_.uses_vcc, 0
	.set _ZN7rocprim17ROCPRIM_400000_NS6detail17trampoline_kernelINS0_14default_configENS1_21merge_config_selectorINS0_5tupleIJiiEEENS0_10empty_typeEEEZNS1_10merge_implIS3_NS0_12zip_iteratorINS5_IJN6thrust23THRUST_200600_302600_NS10device_ptrIiEESE_EEEEESG_SG_PS7_SH_SH_NSC_11hip_rocprim7__merge17predicate_wrapperIiiNSC_4lessIiEEEEEE10hipError_tPvRmT0_T1_T2_T3_T4_T5_mmT6_P12ihipStream_tbEUlT_E_NS1_11comp_targetILNS1_3genE8ELNS1_11target_archE1030ELNS1_3gpuE2ELNS1_3repE0EEENS1_30default_config_static_selectorELNS0_4arch9wavefront6targetE0EEEvSS_.uses_flat_scratch, 0
	.set _ZN7rocprim17ROCPRIM_400000_NS6detail17trampoline_kernelINS0_14default_configENS1_21merge_config_selectorINS0_5tupleIJiiEEENS0_10empty_typeEEEZNS1_10merge_implIS3_NS0_12zip_iteratorINS5_IJN6thrust23THRUST_200600_302600_NS10device_ptrIiEESE_EEEEESG_SG_PS7_SH_SH_NSC_11hip_rocprim7__merge17predicate_wrapperIiiNSC_4lessIiEEEEEE10hipError_tPvRmT0_T1_T2_T3_T4_T5_mmT6_P12ihipStream_tbEUlT_E_NS1_11comp_targetILNS1_3genE8ELNS1_11target_archE1030ELNS1_3gpuE2ELNS1_3repE0EEENS1_30default_config_static_selectorELNS0_4arch9wavefront6targetE0EEEvSS_.has_dyn_sized_stack, 0
	.set _ZN7rocprim17ROCPRIM_400000_NS6detail17trampoline_kernelINS0_14default_configENS1_21merge_config_selectorINS0_5tupleIJiiEEENS0_10empty_typeEEEZNS1_10merge_implIS3_NS0_12zip_iteratorINS5_IJN6thrust23THRUST_200600_302600_NS10device_ptrIiEESE_EEEEESG_SG_PS7_SH_SH_NSC_11hip_rocprim7__merge17predicate_wrapperIiiNSC_4lessIiEEEEEE10hipError_tPvRmT0_T1_T2_T3_T4_T5_mmT6_P12ihipStream_tbEUlT_E_NS1_11comp_targetILNS1_3genE8ELNS1_11target_archE1030ELNS1_3gpuE2ELNS1_3repE0EEENS1_30default_config_static_selectorELNS0_4arch9wavefront6targetE0EEEvSS_.has_recursion, 0
	.set _ZN7rocprim17ROCPRIM_400000_NS6detail17trampoline_kernelINS0_14default_configENS1_21merge_config_selectorINS0_5tupleIJiiEEENS0_10empty_typeEEEZNS1_10merge_implIS3_NS0_12zip_iteratorINS5_IJN6thrust23THRUST_200600_302600_NS10device_ptrIiEESE_EEEEESG_SG_PS7_SH_SH_NSC_11hip_rocprim7__merge17predicate_wrapperIiiNSC_4lessIiEEEEEE10hipError_tPvRmT0_T1_T2_T3_T4_T5_mmT6_P12ihipStream_tbEUlT_E_NS1_11comp_targetILNS1_3genE8ELNS1_11target_archE1030ELNS1_3gpuE2ELNS1_3repE0EEENS1_30default_config_static_selectorELNS0_4arch9wavefront6targetE0EEEvSS_.has_indirect_call, 0
	.section	.AMDGPU.csdata,"",@progbits
; Kernel info:
; codeLenInByte = 0
; TotalNumSgprs: 0
; NumVgprs: 0
; ScratchSize: 0
; MemoryBound: 0
; FloatMode: 240
; IeeeMode: 1
; LDSByteSize: 0 bytes/workgroup (compile time only)
; SGPRBlocks: 0
; VGPRBlocks: 0
; NumSGPRsForWavesPerEU: 1
; NumVGPRsForWavesPerEU: 1
; NamedBarCnt: 0
; Occupancy: 16
; WaveLimiterHint : 0
; COMPUTE_PGM_RSRC2:SCRATCH_EN: 0
; COMPUTE_PGM_RSRC2:USER_SGPR: 2
; COMPUTE_PGM_RSRC2:TRAP_HANDLER: 0
; COMPUTE_PGM_RSRC2:TGID_X_EN: 1
; COMPUTE_PGM_RSRC2:TGID_Y_EN: 0
; COMPUTE_PGM_RSRC2:TGID_Z_EN: 0
; COMPUTE_PGM_RSRC2:TIDIG_COMP_CNT: 0
	.section	.text._ZN7rocprim17ROCPRIM_400000_NS6detail17trampoline_kernelINS0_14default_configENS1_21merge_config_selectorINS0_5tupleIJiiEEENS0_10empty_typeEEEZNS1_10merge_implIS3_NS0_12zip_iteratorINS5_IJN6thrust23THRUST_200600_302600_NS10device_ptrIiEESE_EEEEESG_SG_PS7_SH_SH_NSC_11hip_rocprim7__merge17predicate_wrapperIiiNSC_4lessIiEEEEEE10hipError_tPvRmT0_T1_T2_T3_T4_T5_mmT6_P12ihipStream_tbEUlT_E0_NS1_11comp_targetILNS1_3genE0ELNS1_11target_archE4294967295ELNS1_3gpuE0ELNS1_3repE0EEENS1_30default_config_static_selectorELNS0_4arch9wavefront6targetE0EEEvSS_,"axG",@progbits,_ZN7rocprim17ROCPRIM_400000_NS6detail17trampoline_kernelINS0_14default_configENS1_21merge_config_selectorINS0_5tupleIJiiEEENS0_10empty_typeEEEZNS1_10merge_implIS3_NS0_12zip_iteratorINS5_IJN6thrust23THRUST_200600_302600_NS10device_ptrIiEESE_EEEEESG_SG_PS7_SH_SH_NSC_11hip_rocprim7__merge17predicate_wrapperIiiNSC_4lessIiEEEEEE10hipError_tPvRmT0_T1_T2_T3_T4_T5_mmT6_P12ihipStream_tbEUlT_E0_NS1_11comp_targetILNS1_3genE0ELNS1_11target_archE4294967295ELNS1_3gpuE0ELNS1_3repE0EEENS1_30default_config_static_selectorELNS0_4arch9wavefront6targetE0EEEvSS_,comdat
	.protected	_ZN7rocprim17ROCPRIM_400000_NS6detail17trampoline_kernelINS0_14default_configENS1_21merge_config_selectorINS0_5tupleIJiiEEENS0_10empty_typeEEEZNS1_10merge_implIS3_NS0_12zip_iteratorINS5_IJN6thrust23THRUST_200600_302600_NS10device_ptrIiEESE_EEEEESG_SG_PS7_SH_SH_NSC_11hip_rocprim7__merge17predicate_wrapperIiiNSC_4lessIiEEEEEE10hipError_tPvRmT0_T1_T2_T3_T4_T5_mmT6_P12ihipStream_tbEUlT_E0_NS1_11comp_targetILNS1_3genE0ELNS1_11target_archE4294967295ELNS1_3gpuE0ELNS1_3repE0EEENS1_30default_config_static_selectorELNS0_4arch9wavefront6targetE0EEEvSS_ ; -- Begin function _ZN7rocprim17ROCPRIM_400000_NS6detail17trampoline_kernelINS0_14default_configENS1_21merge_config_selectorINS0_5tupleIJiiEEENS0_10empty_typeEEEZNS1_10merge_implIS3_NS0_12zip_iteratorINS5_IJN6thrust23THRUST_200600_302600_NS10device_ptrIiEESE_EEEEESG_SG_PS7_SH_SH_NSC_11hip_rocprim7__merge17predicate_wrapperIiiNSC_4lessIiEEEEEE10hipError_tPvRmT0_T1_T2_T3_T4_T5_mmT6_P12ihipStream_tbEUlT_E0_NS1_11comp_targetILNS1_3genE0ELNS1_11target_archE4294967295ELNS1_3gpuE0ELNS1_3repE0EEENS1_30default_config_static_selectorELNS0_4arch9wavefront6targetE0EEEvSS_
	.globl	_ZN7rocprim17ROCPRIM_400000_NS6detail17trampoline_kernelINS0_14default_configENS1_21merge_config_selectorINS0_5tupleIJiiEEENS0_10empty_typeEEEZNS1_10merge_implIS3_NS0_12zip_iteratorINS5_IJN6thrust23THRUST_200600_302600_NS10device_ptrIiEESE_EEEEESG_SG_PS7_SH_SH_NSC_11hip_rocprim7__merge17predicate_wrapperIiiNSC_4lessIiEEEEEE10hipError_tPvRmT0_T1_T2_T3_T4_T5_mmT6_P12ihipStream_tbEUlT_E0_NS1_11comp_targetILNS1_3genE0ELNS1_11target_archE4294967295ELNS1_3gpuE0ELNS1_3repE0EEENS1_30default_config_static_selectorELNS0_4arch9wavefront6targetE0EEEvSS_
	.p2align	8
	.type	_ZN7rocprim17ROCPRIM_400000_NS6detail17trampoline_kernelINS0_14default_configENS1_21merge_config_selectorINS0_5tupleIJiiEEENS0_10empty_typeEEEZNS1_10merge_implIS3_NS0_12zip_iteratorINS5_IJN6thrust23THRUST_200600_302600_NS10device_ptrIiEESE_EEEEESG_SG_PS7_SH_SH_NSC_11hip_rocprim7__merge17predicate_wrapperIiiNSC_4lessIiEEEEEE10hipError_tPvRmT0_T1_T2_T3_T4_T5_mmT6_P12ihipStream_tbEUlT_E0_NS1_11comp_targetILNS1_3genE0ELNS1_11target_archE4294967295ELNS1_3gpuE0ELNS1_3repE0EEENS1_30default_config_static_selectorELNS0_4arch9wavefront6targetE0EEEvSS_,@function
_ZN7rocprim17ROCPRIM_400000_NS6detail17trampoline_kernelINS0_14default_configENS1_21merge_config_selectorINS0_5tupleIJiiEEENS0_10empty_typeEEEZNS1_10merge_implIS3_NS0_12zip_iteratorINS5_IJN6thrust23THRUST_200600_302600_NS10device_ptrIiEESE_EEEEESG_SG_PS7_SH_SH_NSC_11hip_rocprim7__merge17predicate_wrapperIiiNSC_4lessIiEEEEEE10hipError_tPvRmT0_T1_T2_T3_T4_T5_mmT6_P12ihipStream_tbEUlT_E0_NS1_11comp_targetILNS1_3genE0ELNS1_11target_archE4294967295ELNS1_3gpuE0ELNS1_3repE0EEENS1_30default_config_static_selectorELNS0_4arch9wavefront6targetE0EEEvSS_: ; @_ZN7rocprim17ROCPRIM_400000_NS6detail17trampoline_kernelINS0_14default_configENS1_21merge_config_selectorINS0_5tupleIJiiEEENS0_10empty_typeEEEZNS1_10merge_implIS3_NS0_12zip_iteratorINS5_IJN6thrust23THRUST_200600_302600_NS10device_ptrIiEESE_EEEEESG_SG_PS7_SH_SH_NSC_11hip_rocprim7__merge17predicate_wrapperIiiNSC_4lessIiEEEEEE10hipError_tPvRmT0_T1_T2_T3_T4_T5_mmT6_P12ihipStream_tbEUlT_E0_NS1_11comp_targetILNS1_3genE0ELNS1_11target_archE4294967295ELNS1_3gpuE0ELNS1_3repE0EEENS1_30default_config_static_selectorELNS0_4arch9wavefront6targetE0EEEvSS_
; %bb.0:
	s_clause 0x1
	s_load_b128 s[12:15], s[0:1], 0x58
	s_load_b256 s[4:11], s[0:1], 0x8
	s_bfe_u32 s2, ttmp6, 0x4000c
	s_and_b32 s3, ttmp6, 15
	s_add_co_i32 s2, s2, 1
	s_wait_kmcnt 0x0
	s_getreg_b32 s13, hwreg(HW_REG_IB_STS2, 6, 4)
	s_mul_i32 s2, ttmp9, s2
	s_mov_b32 s19, 0
	s_add_co_i32 s3, s3, s2
	s_cmp_eq_u32 s13, 0
	v_mov_b32_e32 v1, 0
	s_cselect_b32 s2, ttmp9, s3
	s_add_co_i32 s24, s14, s12
	s_add_co_i32 s12, s2, 1
	;; [unrolled: 1-line block ×3, first 2 shown]
	s_delay_alu instid0(SALU_CYCLE_1) | instskip(NEXT) | instid1(SALU_CYCLE_1)
	s_lshr_b32 s3, s3, 8
	s_mul_hi_u32 s3, s3, 0x24924925
	s_delay_alu instid0(SALU_CYCLE_1)
	s_min_u32 s16, s2, s3
	s_min_u32 s3, s12, s3
	s_clause 0x1
	s_load_b32 s18, s[4:5], s16 offset:0x0 scale_offset
	s_load_b32 s17, s[4:5], s3 offset:0x0 scale_offset
	s_load_b128 s[12:15], s[0:1], 0x28
	s_wait_xcnt 0x0
	s_mul_i32 s16, s2, 0x700
	s_mov_b32 s3, s19
	s_add_co_i32 s2, s16, 0x700
	s_delay_alu instid0(SALU_CYCLE_1)
	s_min_u32 s25, s24, s2
	s_wait_kmcnt 0x0
	s_sub_co_i32 s2, s16, s18
	s_lshl_b64 s[22:23], s[18:19], 2
	s_lshl_b64 s[20:21], s[2:3], 2
	s_add_co_i32 s2, s2, s17
	s_sub_co_i32 s18, s17, s18
	s_sub_co_i32 s2, s25, s2
	s_add_nc_u64 s[4:5], s[10:11], s[20:21]
	s_add_nc_u64 s[10:11], s[12:13], s[20:21]
	;; [unrolled: 1-line block ×3, first 2 shown]
	s_mov_b32 s3, exec_lo
	v_cmpx_le_u32_e64 s18, v0
	s_xor_b32 s3, exec_lo, s3
	s_cbranch_execz .LBB633_4
; %bb.1:
	s_mov_b32 s12, exec_lo
	v_cmpx_gt_u64_e64 s[20:21], v[0:1]
	s_cbranch_execz .LBB633_3
; %bb.2:
	v_subrev_nc_u32_e32 v4, s18, v0
	s_clause 0x1
	global_load_b32 v2, v4, s[4:5] scale_offset
	global_load_b32 v3, v4, s[10:11] scale_offset
	s_wait_xcnt 0x0
	v_lshlrev_b32_e32 v4, 3, v0
	s_wait_loadcnt 0x0
	ds_store_b64 v4, v[2:3]
.LBB633_3:
	s_or_b32 exec_lo, exec_lo, s12
.LBB633_4:
	s_or_saveexec_b32 s3, s3
	v_lshlrev_b32_e32 v2, 3, v0
	s_add_nc_u64 s[6:7], s[6:7], s[22:23]
	s_add_nc_u64 s[12:13], s[8:9], s[22:23]
	s_xor_b32 exec_lo, exec_lo, s3
	s_cbranch_execz .LBB633_6
; %bb.5:
	s_clause 0x1
	global_load_b32 v4, v0, s[6:7] scale_offset
	global_load_b32 v5, v0, s[12:13] scale_offset
	s_wait_loadcnt 0x0
	ds_store_b64 v2, v[4:5]
.LBB633_6:
	s_or_b32 exec_lo, exec_lo, s3
	v_or_b32_e32 v14, 0x100, v0
	v_mov_b32_e32 v15, 0
	s_mov_b32 s3, exec_lo
	s_delay_alu instid0(VALU_DEP_2)
	v_cmpx_le_u32_e64 s18, v14
	s_xor_b32 s3, exec_lo, s3
	s_cbranch_execz .LBB633_10
; %bb.7:
	s_mov_b32 s8, exec_lo
	v_cmpx_gt_u64_e64 s[20:21], v[14:15]
	s_cbranch_execz .LBB633_9
; %bb.8:
	v_sub_nc_u64_e64 v[4:5], v[0:1], s[18:19]
	s_delay_alu instid0(VALU_DEP_1) | instskip(NEXT) | instid1(VALU_DEP_1)
	v_lshlrev_b64_e32 v[4:5], 2, v[4:5]
	v_add_nc_u64_e32 v[6:7], s[4:5], v[4:5]
	v_add_nc_u64_e32 v[4:5], s[10:11], v[4:5]
	global_load_b32 v8, v[6:7], off offset:1024
	global_load_b32 v9, v[4:5], off offset:1024
	s_wait_loadcnt 0x0
	ds_store_b64 v2, v[8:9] offset:2048
.LBB633_9:
	s_or_b32 exec_lo, exec_lo, s8
.LBB633_10:
	s_and_not1_saveexec_b32 s3, s3
	s_cbranch_execz .LBB633_12
; %bb.11:
	s_clause 0x1
	global_load_b32 v4, v0, s[6:7] offset:1024 scale_offset
	global_load_b32 v5, v0, s[12:13] offset:1024 scale_offset
	s_wait_loadcnt 0x0
	ds_store_b64 v2, v[4:5] offset:2048
.LBB633_12:
	s_or_b32 exec_lo, exec_lo, s3
	v_or_b32_e32 v16, 0x200, v0
	v_mov_b32_e32 v17, 0
	s_mov_b32 s3, exec_lo
	s_delay_alu instid0(VALU_DEP_2)
	v_cmpx_le_u32_e64 s18, v16
	s_xor_b32 s3, exec_lo, s3
	s_cbranch_execz .LBB633_16
; %bb.13:
	s_mov_b32 s8, exec_lo
	v_cmpx_gt_u64_e64 s[20:21], v[16:17]
	s_cbranch_execz .LBB633_15
; %bb.14:
	v_sub_nc_u64_e64 v[4:5], v[0:1], s[18:19]
	s_delay_alu instid0(VALU_DEP_1) | instskip(NEXT) | instid1(VALU_DEP_1)
	v_lshlrev_b64_e32 v[4:5], 2, v[4:5]
	v_add_nc_u64_e32 v[6:7], s[4:5], v[4:5]
	v_add_nc_u64_e32 v[4:5], s[10:11], v[4:5]
	global_load_b32 v8, v[6:7], off offset:2048
	global_load_b32 v9, v[4:5], off offset:2048
	s_wait_loadcnt 0x0
	ds_store_b64 v2, v[8:9] offset:4096
.LBB633_15:
	s_or_b32 exec_lo, exec_lo, s8
.LBB633_16:
	s_and_not1_saveexec_b32 s3, s3
	s_cbranch_execz .LBB633_18
; %bb.17:
	s_clause 0x1
	global_load_b32 v4, v0, s[6:7] offset:2048 scale_offset
	global_load_b32 v5, v0, s[12:13] offset:2048 scale_offset
	s_wait_loadcnt 0x0
	ds_store_b64 v2, v[4:5] offset:4096
.LBB633_18:
	;; [unrolled: 34-line block ×5, first 2 shown]
	s_or_b32 exec_lo, exec_lo, s3
	v_or_b32_e32 v24, 0x600, v0
	v_mov_b32_e32 v25, 0
	s_mov_b32 s3, exec_lo
	s_delay_alu instid0(VALU_DEP_2)
	v_cmpx_le_u32_e64 s18, v24
	s_xor_b32 s3, exec_lo, s3
	s_cbranch_execz .LBB633_40
; %bb.37:
	s_mov_b32 s8, exec_lo
	v_cmpx_gt_u64_e64 s[20:21], v[24:25]
	s_cbranch_execz .LBB633_39
; %bb.38:
	v_sub_nc_u64_e64 v[4:5], v[0:1], s[18:19]
	s_delay_alu instid0(VALU_DEP_1) | instskip(NEXT) | instid1(VALU_DEP_1)
	v_lshlrev_b64_e32 v[4:5], 2, v[4:5]
	v_add_nc_u64_e32 v[6:7], s[4:5], v[4:5]
	v_add_nc_u64_e32 v[4:5], s[10:11], v[4:5]
	global_load_b32 v8, v[6:7], off offset:6144
	global_load_b32 v9, v[4:5], off offset:6144
	s_wait_loadcnt 0x0
	ds_store_b64 v2, v[8:9] offset:12288
.LBB633_39:
	s_or_b32 exec_lo, exec_lo, s8
                                        ; implicit-def: $vgpr2
.LBB633_40:
	s_or_saveexec_b32 s3, s3
	s_load_b64 s[8:9], s[0:1], 0x38
	s_xor_b32 exec_lo, exec_lo, s3
	s_cbranch_execz .LBB633_42
; %bb.41:
	s_clause 0x1
	global_load_b32 v4, v0, s[6:7] offset:6144 scale_offset
	global_load_b32 v5, v0, s[12:13] offset:6144 scale_offset
	s_wait_loadcnt 0x0
	ds_store_b64 v2, v[4:5] offset:12288
.LBB633_42:
	s_or_b32 exec_lo, exec_lo, s3
	v_mul_u32_u24_e32 v2, 7, v0
	s_wait_xcnt 0x0
	s_mov_b32 s0, exec_lo
	s_wait_dscnt 0x0
	s_barrier_signal -1
	s_barrier_wait -1
	v_sub_nc_u32_e64 v15, v2, s2 clamp
	v_min_u32_e32 v3, s18, v2
	v_lshlrev_b32_e32 v1, 3, v2
	s_delay_alu instid0(VALU_DEP_2)
	v_cmpx_lt_u32_e64 v15, v3
	s_cbranch_execz .LBB633_46
; %bb.43:
	s_delay_alu instid0(VALU_DEP_2)
	v_lshl_add_u32 v4, s18, 3, v1
	s_mov_b32 s1, 0
.LBB633_44:                             ; =>This Inner Loop Header: Depth=1
	v_add_nc_u32_e32 v5, v3, v15
	s_delay_alu instid0(VALU_DEP_1) | instskip(NEXT) | instid1(VALU_DEP_1)
	v_lshrrev_b32_e32 v5, 1, v5
	v_not_b32_e32 v6, v5
	v_dual_lshlrev_b32 v7, 3, v5 :: v_dual_add_nc_u32 v8, 1, v5
	s_delay_alu instid0(VALU_DEP_2)
	v_lshl_add_u32 v6, v6, 3, v4
	ds_load_b32 v7, v7
	ds_load_b32 v6, v6
	s_wait_dscnt 0x0
	v_cmp_lt_i32_e32 vcc_lo, v6, v7
	v_dual_cndmask_b32 v3, v3, v5, vcc_lo :: v_dual_cndmask_b32 v15, v8, v15, vcc_lo
	s_delay_alu instid0(VALU_DEP_1) | instskip(SKIP_1) | instid1(SALU_CYCLE_1)
	v_cmp_ge_u32_e32 vcc_lo, v15, v3
	s_or_b32 s1, vcc_lo, s1
	s_and_not1_b32 exec_lo, exec_lo, s1
	s_cbranch_execnz .LBB633_44
; %bb.45:
	s_or_b32 exec_lo, exec_lo, s1
.LBB633_46:
	s_delay_alu instid0(SALU_CYCLE_1)
	s_or_b32 exec_lo, exec_lo, s0
	v_add_nc_u32_e32 v6, s18, v2
	s_add_co_i32 s10, s2, s18
	v_cmp_ge_u32_e32 vcc_lo, s18, v15
	v_mov_b64_e32 v[2:3], 0
	v_mov_b64_e32 v[4:5], 0
	v_sub_nc_u32_e32 v17, v6, v15
	v_mov_b64_e32 v[6:7], 0
	v_mov_b64_e32 v[8:9], 0
	;; [unrolled: 1-line block ×4, first 2 shown]
	v_cmp_ge_u32_e64 s0, s10, v17
	v_mov_b64_e32 v[26:27], 0
	s_or_b32 s0, vcc_lo, s0
	s_delay_alu instid0(SALU_CYCLE_1)
	s_and_saveexec_b32 s7, s0
	s_cbranch_execz .LBB633_52
; %bb.47:
	v_cmp_gt_u32_e32 vcc_lo, s18, v15
	v_dual_mov_b32 v2, 0 :: v_dual_mov_b32 v4, 0
	v_mov_b32_e32 v5, 0
	s_and_saveexec_b32 s0, vcc_lo
; %bb.48:
	v_lshlrev_b32_e32 v3, 3, v15
	ds_load_b64 v[4:5], v3
; %bb.49:
	s_or_b32 exec_lo, exec_lo, s0
	v_cmp_le_u32_e64 s0, s10, v17
	v_mov_b32_e32 v3, 0
	s_mov_b32 s2, exec_lo
	v_cmpx_gt_u32_e64 s10, v17
; %bb.50:
	v_lshlrev_b32_e32 v2, 3, v17
	ds_load_b64 v[2:3], v2
; %bb.51:
	s_or_b32 exec_lo, exec_lo, s2
	s_wait_dscnt 0x0
	v_cmp_ge_i32_e64 s1, v2, v4
	s_and_b32 s1, vcc_lo, s1
	s_delay_alu instid0(SALU_CYCLE_1) | instskip(SKIP_1) | instid1(VALU_DEP_1)
	s_or_b32 vcc_lo, s0, s1
	v_dual_mov_b32 v19, s18 :: v_dual_cndmask_b32 v6, v17, v15
	v_dual_cndmask_b32 v7, s10, v19 :: v_dual_add_nc_u32 v8, 1, v6
	s_delay_alu instid0(VALU_DEP_1) | instskip(SKIP_1) | instid1(VALU_DEP_2)
	v_add_min_u32_e64 v6, v7, -1, v8
	v_dual_cndmask_b32 v10, v15, v8 :: v_dual_cndmask_b32 v11, v8, v17
	v_lshlrev_b32_e32 v6, 3, v6
	s_delay_alu instid0(VALU_DEP_2) | instskip(NEXT) | instid1(VALU_DEP_3)
	v_cmp_gt_u32_e64 s0, s18, v10
	v_cmp_le_u32_e64 s2, s10, v11
	ds_load_b64 v[6:7], v6
	s_wait_dscnt 0x0
	v_cndmask_b32_e32 v15, v6, v2, vcc_lo
	v_dual_cndmask_b32 v6, v4, v6 :: v_dual_cndmask_b32 v33, v7, v3
	v_dual_cndmask_b32 v2, v2, v4 :: v_dual_cndmask_b32 v7, v5, v7
	v_cndmask_b32_e32 v3, v3, v5, vcc_lo
	s_delay_alu instid0(VALU_DEP_3) | instskip(SKIP_1) | instid1(SALU_CYCLE_1)
	v_cmp_ge_i32_e64 s1, v15, v6
	s_and_b32 s0, s0, s1
	s_or_b32 s0, s2, s0
	s_delay_alu instid0(SALU_CYCLE_1) | instskip(NEXT) | instid1(VALU_DEP_1)
	v_cndmask_b32_e64 v8, v11, v10, s0
	v_dual_cndmask_b32 v9, s10, v19, s0 :: v_dual_add_nc_u32 v12, 1, v8
	v_dual_cndmask_b32 v5, v33, v7, s0 :: v_dual_cndmask_b32 v4, v15, v6, s0
	s_delay_alu instid0(VALU_DEP_2) | instskip(SKIP_1) | instid1(VALU_DEP_2)
	v_add_min_u32_e64 v8, v9, -1, v12
	v_dual_cndmask_b32 v13, v10, v12, s0 :: v_dual_cndmask_b32 v12, v12, v11, s0
	v_lshlrev_b32_e32 v8, 3, v8
	s_delay_alu instid0(VALU_DEP_2) | instskip(NEXT) | instid1(VALU_DEP_3)
	v_cmp_gt_u32_e64 s1, s18, v13
	v_cmp_le_u32_e64 s3, s10, v12
	ds_load_b64 v[8:9], v8
	s_wait_dscnt 0x0
	v_dual_cndmask_b32 v17, v8, v15, s0 :: v_dual_cndmask_b32 v8, v6, v8, s0
	s_delay_alu instid0(VALU_DEP_1) | instskip(SKIP_1) | instid1(SALU_CYCLE_1)
	v_cmp_ge_i32_e64 s2, v17, v8
	s_and_b32 s1, s1, s2
	s_or_b32 s1, s3, s1
	s_delay_alu instid0(SALU_CYCLE_1) | instskip(NEXT) | instid1(VALU_DEP_1)
	v_cndmask_b32_e64 v10, v12, v13, s1
	v_dual_cndmask_b32 v11, s10, v19, s1 :: v_dual_add_nc_u32 v21, 1, v10
	s_delay_alu instid0(VALU_DEP_1) | instskip(NEXT) | instid1(VALU_DEP_1)
	v_add_min_u32_e64 v10, v11, -1, v21
	v_lshlrev_b32_e32 v10, 3, v10
	ds_load_b64 v[10:11], v10
	v_cndmask_b32_e64 v23, v13, v21, s1
	v_cndmask_b32_e64 v21, v21, v12, s1
	s_delay_alu instid0(VALU_DEP_1) | instskip(SKIP_3) | instid1(VALU_DEP_2)
	v_cmp_le_u32_e64 s4, s10, v21
	s_wait_dscnt 0x0
	v_dual_cndmask_b32 v25, v10, v17, s1 :: v_dual_cndmask_b32 v10, v8, v10, s1
	v_cmp_gt_u32_e64 s2, s18, v23
	v_cmp_ge_i32_e64 s3, v25, v10
	s_and_b32 s2, s2, s3
	s_delay_alu instid0(SALU_CYCLE_1) | instskip(NEXT) | instid1(SALU_CYCLE_1)
	s_or_b32 s2, s4, s2
	v_cndmask_b32_e64 v12, v21, v23, s2
	s_delay_alu instid0(VALU_DEP_1) | instskip(NEXT) | instid1(VALU_DEP_1)
	v_dual_cndmask_b32 v13, s10, v19, s2 :: v_dual_add_nc_u32 v26, 1, v12
	v_add_min_u32_e64 v12, v13, -1, v26
	v_dual_cndmask_b32 v21, v26, v21, s2 :: v_dual_cndmask_b32 v23, v23, v26, s2
	s_delay_alu instid0(VALU_DEP_2) | instskip(NEXT) | instid1(VALU_DEP_2)
	v_lshlrev_b32_e32 v12, 3, v12
	v_cmp_le_u32_e64 s5, s10, v21
	s_delay_alu instid0(VALU_DEP_3) | instskip(SKIP_3) | instid1(VALU_DEP_1)
	v_cmp_gt_u32_e64 s3, s18, v23
	ds_load_b64 v[12:13], v12
	s_wait_dscnt 0x0
	v_dual_cndmask_b32 v30, v12, v25, s2 :: v_dual_cndmask_b32 v12, v10, v12, s2
	v_cmp_ge_i32_e64 s4, v30, v12
	s_and_b32 s3, s3, s4
	s_delay_alu instid0(SALU_CYCLE_1) | instskip(NEXT) | instid1(SALU_CYCLE_1)
	s_or_b32 s3, s5, s3
	v_cndmask_b32_e64 v26, v21, v23, s3
	s_delay_alu instid0(VALU_DEP_1) | instskip(NEXT) | instid1(VALU_DEP_1)
	v_dual_cndmask_b32 v27, s10, v19, s3 :: v_dual_add_nc_u32 v28, 1, v26
	v_add_min_u32_e64 v26, v27, -1, v28
	v_dual_cndmask_b32 v23, v23, v28, s3 :: v_dual_cndmask_b32 v21, v28, v21, s3
	s_delay_alu instid0(VALU_DEP_2) | instskip(NEXT) | instid1(VALU_DEP_2)
	v_lshlrev_b32_e32 v26, 3, v26
	v_cmp_gt_u32_e64 s4, s18, v23
	s_delay_alu instid0(VALU_DEP_3) | instskip(SKIP_4) | instid1(VALU_DEP_1)
	v_cmp_le_u32_e64 s6, s10, v21
	ds_load_b64 v[26:27], v26
	s_wait_dscnt 0x0
	v_cndmask_b32_e64 v31, v26, v30, s3
	v_cndmask_b32_e64 v26, v12, v26, s3
	v_cmp_ge_i32_e64 s5, v31, v26
	s_and_b32 s4, s4, s5
	s_delay_alu instid0(SALU_CYCLE_1) | instskip(NEXT) | instid1(SALU_CYCLE_1)
	s_or_b32 s4, s6, s4
	v_cndmask_b32_e64 v28, v21, v23, s4
	s_delay_alu instid0(VALU_DEP_1) | instskip(NEXT) | instid1(VALU_DEP_1)
	v_dual_cndmask_b32 v19, s10, v19, s4 :: v_dual_add_nc_u32 v32, 1, v28
	v_add_min_u32_e64 v19, v19, -1, v32
	s_delay_alu instid0(VALU_DEP_1) | instskip(SKIP_3) | instid1(VALU_DEP_2)
	v_dual_cndmask_b32 v21, v32, v21, s4 :: v_dual_lshlrev_b32 v19, 3, v19
	ds_load_b64 v[28:29], v19
	v_cndmask_b32_e64 v19, v9, v33, s0
	v_cndmask_b32_e64 v9, v7, v9, s0
	;; [unrolled: 1-line block ×3, first 2 shown]
	s_delay_alu instid0(VALU_DEP_2) | instskip(NEXT) | instid1(VALU_DEP_1)
	v_dual_cndmask_b32 v11, v9, v11, s1 :: v_dual_cndmask_b32 v7, v19, v9, s1
	v_dual_cndmask_b32 v15, v13, v34, s2 :: v_dual_cndmask_b32 v13, v11, v13, s2
	;; [unrolled: 1-line block ×4, first 2 shown]
	v_cndmask_b32_e64 v12, v23, v32, s4
	s_delay_alu instid0(VALU_DEP_4)
	v_cndmask_b32_e64 v11, v15, v13, s3
	s_wait_dscnt 0x0
	v_dual_cndmask_b32 v15, v27, v15, s3 :: v_dual_cndmask_b32 v19, v26, v28, s4
	v_cndmask_b32_e64 v17, v28, v31, s4
	v_cndmask_b32_e64 v13, v13, v27, s3
	v_cmp_gt_u32_e32 vcc_lo, s18, v12
	v_cmp_le_u32_e64 s1, s10, v21
	v_cndmask_b32_e64 v12, v31, v26, s4
	v_cmp_ge_i32_e64 s0, v17, v19
	v_cndmask_b32_e64 v23, v29, v15, s4
	v_cndmask_b32_e64 v21, v13, v29, s4
	;; [unrolled: 1-line block ×3, first 2 shown]
	s_and_b32 s0, vcc_lo, s0
	s_delay_alu instid0(SALU_CYCLE_1) | instskip(NEXT) | instid1(VALU_DEP_2)
	s_or_b32 vcc_lo, s1, s0
	v_dual_cndmask_b32 v27, v23, v21 :: v_dual_cndmask_b32 v26, v17, v19
.LBB633_52:
	s_or_b32 exec_lo, exec_lo, s7
	v_mul_i32_i24_e32 v15, 0xffffffd0, v0
	s_mov_b32 s17, 0
	s_sub_co_i32 s4, s24, s16
	s_lshl_b64 s[2:3], s[16:17], 2
	s_cmp_gt_u32 s4, 0x6ff
	v_add_nc_u32_e32 v15, v1, v15
	s_add_nc_u64 s[0:1], s[14:15], s[2:3]
	s_wait_kmcnt 0x0
	s_add_nc_u64 s[2:3], s[8:9], s[2:3]
	s_barrier_signal -1
	s_barrier_wait -1
	ds_store_2addr_b64 v1, v[2:3], v[4:5] offset1:1
	ds_store_2addr_b64 v1, v[6:7], v[8:9] offset0:2 offset1:3
	ds_store_2addr_b64 v1, v[10:11], v[12:13] offset0:4 offset1:5
	ds_store_b64 v1, v[26:27] offset:48
	s_wait_dscnt 0x0
	s_cbranch_scc0 .LBB633_54
; %bb.53:
	s_barrier_signal -1
	s_barrier_wait -1
	ds_load_2addr_stride64_b64 v[6:9], v15 offset1:4
	ds_load_2addr_stride64_b64 v[10:13], v15 offset0:8 offset1:12
	ds_load_2addr_stride64_b64 v[26:29], v15 offset0:16 offset1:20
	ds_load_b64 v[4:5], v15 offset:12288
	s_mov_b32 s17, -1
	s_wait_dscnt 0x3
	s_clause 0x3
	global_store_b32 v0, v6, s[0:1] scale_offset
	global_store_b32 v0, v7, s[2:3] scale_offset
	global_store_b32 v0, v8, s[0:1] offset:1024 scale_offset
	global_store_b32 v0, v9, s[2:3] offset:1024 scale_offset
	s_wait_dscnt 0x2
	s_clause 0x3
	global_store_b32 v0, v10, s[0:1] offset:2048 scale_offset
	global_store_b32 v0, v11, s[2:3] offset:2048 scale_offset
	;; [unrolled: 1-line block ×4, first 2 shown]
	s_wait_dscnt 0x1
	s_clause 0x3
	global_store_b32 v0, v26, s[0:1] offset:4096 scale_offset
	global_store_b32 v0, v27, s[2:3] offset:4096 scale_offset
	;; [unrolled: 1-line block ×4, first 2 shown]
	s_cbranch_execz .LBB633_55
	s_branch .LBB633_63
.LBB633_54:
                                        ; implicit-def: $vgpr4_vgpr5
.LBB633_55:
	s_barrier_signal -1
	s_barrier_wait -1
	s_wait_storecnt_dscnt 0x0
	s_wait_xcnt 0x4
	ds_load_2addr_stride64_b64 v[10:13], v15 offset0:4 offset1:8
	ds_load_2addr_stride64_b64 v[6:9], v15 offset0:12 offset1:16
	;; [unrolled: 1-line block ×3, first 2 shown]
	s_wait_xcnt 0x0
	v_dual_mov_b32 v29, 0 :: v_dual_lshlrev_b32 v28, 2, v0
	s_mov_b32 s5, exec_lo
	s_delay_alu instid0(VALU_DEP_1)
	v_add_nc_u64_e32 v[26:27], s[0:1], v[28:29]
	v_add_nc_u64_e32 v[28:29], s[2:3], v[28:29]
	v_cmpx_gt_u32_e64 s4, v0
	s_cbranch_execnz .LBB633_66
; %bb.56:
	s_or_b32 exec_lo, exec_lo, s5
	s_delay_alu instid0(SALU_CYCLE_1)
	s_mov_b32 s5, exec_lo
	v_cmpx_gt_u32_e64 s4, v14
	s_cbranch_execnz .LBB633_67
.LBB633_57:
	s_or_b32 exec_lo, exec_lo, s5
	s_delay_alu instid0(SALU_CYCLE_1)
	s_mov_b32 s5, exec_lo
	v_cmpx_gt_u32_e64 s4, v16
	s_cbranch_execnz .LBB633_68
.LBB633_58:
	s_or_b32 exec_lo, exec_lo, s5
	s_delay_alu instid0(SALU_CYCLE_1)
	s_mov_b32 s5, exec_lo
	v_cmpx_gt_u32_e64 s4, v18
	s_cbranch_execnz .LBB633_69
.LBB633_59:
	s_or_b32 exec_lo, exec_lo, s5
	s_delay_alu instid0(SALU_CYCLE_1)
	s_mov_b32 s5, exec_lo
	v_cmpx_gt_u32_e64 s4, v20
	s_cbranch_execnz .LBB633_70
.LBB633_60:
	s_or_b32 exec_lo, exec_lo, s5
	s_delay_alu instid0(SALU_CYCLE_1)
	s_mov_b32 s5, exec_lo
	v_cmpx_gt_u32_e64 s4, v22
	s_cbranch_execz .LBB633_62
.LBB633_61:
	s_wait_dscnt 0x0
	global_store_b32 v[26:27], v2, off offset:5120
	global_store_b32 v[28:29], v3, off offset:5120
.LBB633_62:
	s_wait_xcnt 0x0
	s_or_b32 exec_lo, exec_lo, s5
	v_cmp_gt_u32_e64 s17, s4, v24
.LBB633_63:
	s_wait_xcnt 0x0
	s_delay_alu instid0(VALU_DEP_1)
	s_and_saveexec_b32 s4, s17
	s_cbranch_execnz .LBB633_65
; %bb.64:
	s_endpgm
.LBB633_65:
	s_wait_dscnt 0x0
	s_clause 0x1
	global_store_b32 v0, v4, s[0:1] offset:6144 scale_offset
	global_store_b32 v0, v5, s[2:3] offset:6144 scale_offset
	s_endpgm
.LBB633_66:
	ds_load_b64 v[30:31], v15
	s_wait_dscnt 0x0
	global_store_b32 v[26:27], v30, off
	global_store_b32 v[28:29], v31, off
	s_wait_xcnt 0x0
	s_or_b32 exec_lo, exec_lo, s5
	s_delay_alu instid0(SALU_CYCLE_1)
	s_mov_b32 s5, exec_lo
	v_cmpx_gt_u32_e64 s4, v14
	s_cbranch_execz .LBB633_57
.LBB633_67:
	s_wait_dscnt 0x2
	global_store_b32 v[26:27], v10, off offset:1024
	global_store_b32 v[28:29], v11, off offset:1024
	s_wait_xcnt 0x0
	s_or_b32 exec_lo, exec_lo, s5
	s_delay_alu instid0(SALU_CYCLE_1)
	s_mov_b32 s5, exec_lo
	v_cmpx_gt_u32_e64 s4, v16
	s_cbranch_execz .LBB633_58
.LBB633_68:
	s_wait_dscnt 0x2
	global_store_b32 v[26:27], v12, off offset:2048
	global_store_b32 v[28:29], v13, off offset:2048
	s_wait_xcnt 0x0
	s_or_b32 exec_lo, exec_lo, s5
	s_delay_alu instid0(SALU_CYCLE_1)
	s_mov_b32 s5, exec_lo
	v_cmpx_gt_u32_e64 s4, v18
	s_cbranch_execz .LBB633_59
.LBB633_69:
	s_wait_dscnt 0x1
	global_store_b32 v[26:27], v6, off offset:3072
	global_store_b32 v[28:29], v7, off offset:3072
	s_wait_xcnt 0x0
	s_or_b32 exec_lo, exec_lo, s5
	s_delay_alu instid0(SALU_CYCLE_1)
	s_mov_b32 s5, exec_lo
	v_cmpx_gt_u32_e64 s4, v20
	s_cbranch_execz .LBB633_60
.LBB633_70:
	s_wait_dscnt 0x1
	global_store_b32 v[26:27], v8, off offset:4096
	global_store_b32 v[28:29], v9, off offset:4096
	s_wait_xcnt 0x0
	s_or_b32 exec_lo, exec_lo, s5
	s_delay_alu instid0(SALU_CYCLE_1)
	s_mov_b32 s5, exec_lo
	v_cmpx_gt_u32_e64 s4, v22
	s_cbranch_execnz .LBB633_61
	s_branch .LBB633_62
	.section	.rodata,"a",@progbits
	.p2align	6, 0x0
	.amdhsa_kernel _ZN7rocprim17ROCPRIM_400000_NS6detail17trampoline_kernelINS0_14default_configENS1_21merge_config_selectorINS0_5tupleIJiiEEENS0_10empty_typeEEEZNS1_10merge_implIS3_NS0_12zip_iteratorINS5_IJN6thrust23THRUST_200600_302600_NS10device_ptrIiEESE_EEEEESG_SG_PS7_SH_SH_NSC_11hip_rocprim7__merge17predicate_wrapperIiiNSC_4lessIiEEEEEE10hipError_tPvRmT0_T1_T2_T3_T4_T5_mmT6_P12ihipStream_tbEUlT_E0_NS1_11comp_targetILNS1_3genE0ELNS1_11target_archE4294967295ELNS1_3gpuE0ELNS1_3repE0EEENS1_30default_config_static_selectorELNS0_4arch9wavefront6targetE0EEEvSS_
		.amdhsa_group_segment_fixed_size 14352
		.amdhsa_private_segment_fixed_size 0
		.amdhsa_kernarg_size 112
		.amdhsa_user_sgpr_count 2
		.amdhsa_user_sgpr_dispatch_ptr 0
		.amdhsa_user_sgpr_queue_ptr 0
		.amdhsa_user_sgpr_kernarg_segment_ptr 1
		.amdhsa_user_sgpr_dispatch_id 0
		.amdhsa_user_sgpr_kernarg_preload_length 0
		.amdhsa_user_sgpr_kernarg_preload_offset 0
		.amdhsa_user_sgpr_private_segment_size 0
		.amdhsa_wavefront_size32 1
		.amdhsa_uses_dynamic_stack 0
		.amdhsa_enable_private_segment 0
		.amdhsa_system_sgpr_workgroup_id_x 1
		.amdhsa_system_sgpr_workgroup_id_y 0
		.amdhsa_system_sgpr_workgroup_id_z 0
		.amdhsa_system_sgpr_workgroup_info 0
		.amdhsa_system_vgpr_workitem_id 0
		.amdhsa_next_free_vgpr 35
		.amdhsa_next_free_sgpr 26
		.amdhsa_named_barrier_count 0
		.amdhsa_reserve_vcc 1
		.amdhsa_float_round_mode_32 0
		.amdhsa_float_round_mode_16_64 0
		.amdhsa_float_denorm_mode_32 3
		.amdhsa_float_denorm_mode_16_64 3
		.amdhsa_fp16_overflow 0
		.amdhsa_memory_ordered 1
		.amdhsa_forward_progress 1
		.amdhsa_inst_pref_size 28
		.amdhsa_round_robin_scheduling 0
		.amdhsa_exception_fp_ieee_invalid_op 0
		.amdhsa_exception_fp_denorm_src 0
		.amdhsa_exception_fp_ieee_div_zero 0
		.amdhsa_exception_fp_ieee_overflow 0
		.amdhsa_exception_fp_ieee_underflow 0
		.amdhsa_exception_fp_ieee_inexact 0
		.amdhsa_exception_int_div_zero 0
	.end_amdhsa_kernel
	.section	.text._ZN7rocprim17ROCPRIM_400000_NS6detail17trampoline_kernelINS0_14default_configENS1_21merge_config_selectorINS0_5tupleIJiiEEENS0_10empty_typeEEEZNS1_10merge_implIS3_NS0_12zip_iteratorINS5_IJN6thrust23THRUST_200600_302600_NS10device_ptrIiEESE_EEEEESG_SG_PS7_SH_SH_NSC_11hip_rocprim7__merge17predicate_wrapperIiiNSC_4lessIiEEEEEE10hipError_tPvRmT0_T1_T2_T3_T4_T5_mmT6_P12ihipStream_tbEUlT_E0_NS1_11comp_targetILNS1_3genE0ELNS1_11target_archE4294967295ELNS1_3gpuE0ELNS1_3repE0EEENS1_30default_config_static_selectorELNS0_4arch9wavefront6targetE0EEEvSS_,"axG",@progbits,_ZN7rocprim17ROCPRIM_400000_NS6detail17trampoline_kernelINS0_14default_configENS1_21merge_config_selectorINS0_5tupleIJiiEEENS0_10empty_typeEEEZNS1_10merge_implIS3_NS0_12zip_iteratorINS5_IJN6thrust23THRUST_200600_302600_NS10device_ptrIiEESE_EEEEESG_SG_PS7_SH_SH_NSC_11hip_rocprim7__merge17predicate_wrapperIiiNSC_4lessIiEEEEEE10hipError_tPvRmT0_T1_T2_T3_T4_T5_mmT6_P12ihipStream_tbEUlT_E0_NS1_11comp_targetILNS1_3genE0ELNS1_11target_archE4294967295ELNS1_3gpuE0ELNS1_3repE0EEENS1_30default_config_static_selectorELNS0_4arch9wavefront6targetE0EEEvSS_,comdat
.Lfunc_end633:
	.size	_ZN7rocprim17ROCPRIM_400000_NS6detail17trampoline_kernelINS0_14default_configENS1_21merge_config_selectorINS0_5tupleIJiiEEENS0_10empty_typeEEEZNS1_10merge_implIS3_NS0_12zip_iteratorINS5_IJN6thrust23THRUST_200600_302600_NS10device_ptrIiEESE_EEEEESG_SG_PS7_SH_SH_NSC_11hip_rocprim7__merge17predicate_wrapperIiiNSC_4lessIiEEEEEE10hipError_tPvRmT0_T1_T2_T3_T4_T5_mmT6_P12ihipStream_tbEUlT_E0_NS1_11comp_targetILNS1_3genE0ELNS1_11target_archE4294967295ELNS1_3gpuE0ELNS1_3repE0EEENS1_30default_config_static_selectorELNS0_4arch9wavefront6targetE0EEEvSS_, .Lfunc_end633-_ZN7rocprim17ROCPRIM_400000_NS6detail17trampoline_kernelINS0_14default_configENS1_21merge_config_selectorINS0_5tupleIJiiEEENS0_10empty_typeEEEZNS1_10merge_implIS3_NS0_12zip_iteratorINS5_IJN6thrust23THRUST_200600_302600_NS10device_ptrIiEESE_EEEEESG_SG_PS7_SH_SH_NSC_11hip_rocprim7__merge17predicate_wrapperIiiNSC_4lessIiEEEEEE10hipError_tPvRmT0_T1_T2_T3_T4_T5_mmT6_P12ihipStream_tbEUlT_E0_NS1_11comp_targetILNS1_3genE0ELNS1_11target_archE4294967295ELNS1_3gpuE0ELNS1_3repE0EEENS1_30default_config_static_selectorELNS0_4arch9wavefront6targetE0EEEvSS_
                                        ; -- End function
	.set _ZN7rocprim17ROCPRIM_400000_NS6detail17trampoline_kernelINS0_14default_configENS1_21merge_config_selectorINS0_5tupleIJiiEEENS0_10empty_typeEEEZNS1_10merge_implIS3_NS0_12zip_iteratorINS5_IJN6thrust23THRUST_200600_302600_NS10device_ptrIiEESE_EEEEESG_SG_PS7_SH_SH_NSC_11hip_rocprim7__merge17predicate_wrapperIiiNSC_4lessIiEEEEEE10hipError_tPvRmT0_T1_T2_T3_T4_T5_mmT6_P12ihipStream_tbEUlT_E0_NS1_11comp_targetILNS1_3genE0ELNS1_11target_archE4294967295ELNS1_3gpuE0ELNS1_3repE0EEENS1_30default_config_static_selectorELNS0_4arch9wavefront6targetE0EEEvSS_.num_vgpr, 35
	.set _ZN7rocprim17ROCPRIM_400000_NS6detail17trampoline_kernelINS0_14default_configENS1_21merge_config_selectorINS0_5tupleIJiiEEENS0_10empty_typeEEEZNS1_10merge_implIS3_NS0_12zip_iteratorINS5_IJN6thrust23THRUST_200600_302600_NS10device_ptrIiEESE_EEEEESG_SG_PS7_SH_SH_NSC_11hip_rocprim7__merge17predicate_wrapperIiiNSC_4lessIiEEEEEE10hipError_tPvRmT0_T1_T2_T3_T4_T5_mmT6_P12ihipStream_tbEUlT_E0_NS1_11comp_targetILNS1_3genE0ELNS1_11target_archE4294967295ELNS1_3gpuE0ELNS1_3repE0EEENS1_30default_config_static_selectorELNS0_4arch9wavefront6targetE0EEEvSS_.num_agpr, 0
	.set _ZN7rocprim17ROCPRIM_400000_NS6detail17trampoline_kernelINS0_14default_configENS1_21merge_config_selectorINS0_5tupleIJiiEEENS0_10empty_typeEEEZNS1_10merge_implIS3_NS0_12zip_iteratorINS5_IJN6thrust23THRUST_200600_302600_NS10device_ptrIiEESE_EEEEESG_SG_PS7_SH_SH_NSC_11hip_rocprim7__merge17predicate_wrapperIiiNSC_4lessIiEEEEEE10hipError_tPvRmT0_T1_T2_T3_T4_T5_mmT6_P12ihipStream_tbEUlT_E0_NS1_11comp_targetILNS1_3genE0ELNS1_11target_archE4294967295ELNS1_3gpuE0ELNS1_3repE0EEENS1_30default_config_static_selectorELNS0_4arch9wavefront6targetE0EEEvSS_.numbered_sgpr, 26
	.set _ZN7rocprim17ROCPRIM_400000_NS6detail17trampoline_kernelINS0_14default_configENS1_21merge_config_selectorINS0_5tupleIJiiEEENS0_10empty_typeEEEZNS1_10merge_implIS3_NS0_12zip_iteratorINS5_IJN6thrust23THRUST_200600_302600_NS10device_ptrIiEESE_EEEEESG_SG_PS7_SH_SH_NSC_11hip_rocprim7__merge17predicate_wrapperIiiNSC_4lessIiEEEEEE10hipError_tPvRmT0_T1_T2_T3_T4_T5_mmT6_P12ihipStream_tbEUlT_E0_NS1_11comp_targetILNS1_3genE0ELNS1_11target_archE4294967295ELNS1_3gpuE0ELNS1_3repE0EEENS1_30default_config_static_selectorELNS0_4arch9wavefront6targetE0EEEvSS_.num_named_barrier, 0
	.set _ZN7rocprim17ROCPRIM_400000_NS6detail17trampoline_kernelINS0_14default_configENS1_21merge_config_selectorINS0_5tupleIJiiEEENS0_10empty_typeEEEZNS1_10merge_implIS3_NS0_12zip_iteratorINS5_IJN6thrust23THRUST_200600_302600_NS10device_ptrIiEESE_EEEEESG_SG_PS7_SH_SH_NSC_11hip_rocprim7__merge17predicate_wrapperIiiNSC_4lessIiEEEEEE10hipError_tPvRmT0_T1_T2_T3_T4_T5_mmT6_P12ihipStream_tbEUlT_E0_NS1_11comp_targetILNS1_3genE0ELNS1_11target_archE4294967295ELNS1_3gpuE0ELNS1_3repE0EEENS1_30default_config_static_selectorELNS0_4arch9wavefront6targetE0EEEvSS_.private_seg_size, 0
	.set _ZN7rocprim17ROCPRIM_400000_NS6detail17trampoline_kernelINS0_14default_configENS1_21merge_config_selectorINS0_5tupleIJiiEEENS0_10empty_typeEEEZNS1_10merge_implIS3_NS0_12zip_iteratorINS5_IJN6thrust23THRUST_200600_302600_NS10device_ptrIiEESE_EEEEESG_SG_PS7_SH_SH_NSC_11hip_rocprim7__merge17predicate_wrapperIiiNSC_4lessIiEEEEEE10hipError_tPvRmT0_T1_T2_T3_T4_T5_mmT6_P12ihipStream_tbEUlT_E0_NS1_11comp_targetILNS1_3genE0ELNS1_11target_archE4294967295ELNS1_3gpuE0ELNS1_3repE0EEENS1_30default_config_static_selectorELNS0_4arch9wavefront6targetE0EEEvSS_.uses_vcc, 1
	.set _ZN7rocprim17ROCPRIM_400000_NS6detail17trampoline_kernelINS0_14default_configENS1_21merge_config_selectorINS0_5tupleIJiiEEENS0_10empty_typeEEEZNS1_10merge_implIS3_NS0_12zip_iteratorINS5_IJN6thrust23THRUST_200600_302600_NS10device_ptrIiEESE_EEEEESG_SG_PS7_SH_SH_NSC_11hip_rocprim7__merge17predicate_wrapperIiiNSC_4lessIiEEEEEE10hipError_tPvRmT0_T1_T2_T3_T4_T5_mmT6_P12ihipStream_tbEUlT_E0_NS1_11comp_targetILNS1_3genE0ELNS1_11target_archE4294967295ELNS1_3gpuE0ELNS1_3repE0EEENS1_30default_config_static_selectorELNS0_4arch9wavefront6targetE0EEEvSS_.uses_flat_scratch, 0
	.set _ZN7rocprim17ROCPRIM_400000_NS6detail17trampoline_kernelINS0_14default_configENS1_21merge_config_selectorINS0_5tupleIJiiEEENS0_10empty_typeEEEZNS1_10merge_implIS3_NS0_12zip_iteratorINS5_IJN6thrust23THRUST_200600_302600_NS10device_ptrIiEESE_EEEEESG_SG_PS7_SH_SH_NSC_11hip_rocprim7__merge17predicate_wrapperIiiNSC_4lessIiEEEEEE10hipError_tPvRmT0_T1_T2_T3_T4_T5_mmT6_P12ihipStream_tbEUlT_E0_NS1_11comp_targetILNS1_3genE0ELNS1_11target_archE4294967295ELNS1_3gpuE0ELNS1_3repE0EEENS1_30default_config_static_selectorELNS0_4arch9wavefront6targetE0EEEvSS_.has_dyn_sized_stack, 0
	.set _ZN7rocprim17ROCPRIM_400000_NS6detail17trampoline_kernelINS0_14default_configENS1_21merge_config_selectorINS0_5tupleIJiiEEENS0_10empty_typeEEEZNS1_10merge_implIS3_NS0_12zip_iteratorINS5_IJN6thrust23THRUST_200600_302600_NS10device_ptrIiEESE_EEEEESG_SG_PS7_SH_SH_NSC_11hip_rocprim7__merge17predicate_wrapperIiiNSC_4lessIiEEEEEE10hipError_tPvRmT0_T1_T2_T3_T4_T5_mmT6_P12ihipStream_tbEUlT_E0_NS1_11comp_targetILNS1_3genE0ELNS1_11target_archE4294967295ELNS1_3gpuE0ELNS1_3repE0EEENS1_30default_config_static_selectorELNS0_4arch9wavefront6targetE0EEEvSS_.has_recursion, 0
	.set _ZN7rocprim17ROCPRIM_400000_NS6detail17trampoline_kernelINS0_14default_configENS1_21merge_config_selectorINS0_5tupleIJiiEEENS0_10empty_typeEEEZNS1_10merge_implIS3_NS0_12zip_iteratorINS5_IJN6thrust23THRUST_200600_302600_NS10device_ptrIiEESE_EEEEESG_SG_PS7_SH_SH_NSC_11hip_rocprim7__merge17predicate_wrapperIiiNSC_4lessIiEEEEEE10hipError_tPvRmT0_T1_T2_T3_T4_T5_mmT6_P12ihipStream_tbEUlT_E0_NS1_11comp_targetILNS1_3genE0ELNS1_11target_archE4294967295ELNS1_3gpuE0ELNS1_3repE0EEENS1_30default_config_static_selectorELNS0_4arch9wavefront6targetE0EEEvSS_.has_indirect_call, 0
	.section	.AMDGPU.csdata,"",@progbits
; Kernel info:
; codeLenInByte = 3508
; TotalNumSgprs: 28
; NumVgprs: 35
; ScratchSize: 0
; MemoryBound: 0
; FloatMode: 240
; IeeeMode: 1
; LDSByteSize: 14352 bytes/workgroup (compile time only)
; SGPRBlocks: 0
; VGPRBlocks: 2
; NumSGPRsForWavesPerEU: 28
; NumVGPRsForWavesPerEU: 35
; NamedBarCnt: 0
; Occupancy: 16
; WaveLimiterHint : 1
; COMPUTE_PGM_RSRC2:SCRATCH_EN: 0
; COMPUTE_PGM_RSRC2:USER_SGPR: 2
; COMPUTE_PGM_RSRC2:TRAP_HANDLER: 0
; COMPUTE_PGM_RSRC2:TGID_X_EN: 1
; COMPUTE_PGM_RSRC2:TGID_Y_EN: 0
; COMPUTE_PGM_RSRC2:TGID_Z_EN: 0
; COMPUTE_PGM_RSRC2:TIDIG_COMP_CNT: 0
	.section	.text._ZN7rocprim17ROCPRIM_400000_NS6detail17trampoline_kernelINS0_14default_configENS1_21merge_config_selectorINS0_5tupleIJiiEEENS0_10empty_typeEEEZNS1_10merge_implIS3_NS0_12zip_iteratorINS5_IJN6thrust23THRUST_200600_302600_NS10device_ptrIiEESE_EEEEESG_SG_PS7_SH_SH_NSC_11hip_rocprim7__merge17predicate_wrapperIiiNSC_4lessIiEEEEEE10hipError_tPvRmT0_T1_T2_T3_T4_T5_mmT6_P12ihipStream_tbEUlT_E0_NS1_11comp_targetILNS1_3genE5ELNS1_11target_archE942ELNS1_3gpuE9ELNS1_3repE0EEENS1_30default_config_static_selectorELNS0_4arch9wavefront6targetE0EEEvSS_,"axG",@progbits,_ZN7rocprim17ROCPRIM_400000_NS6detail17trampoline_kernelINS0_14default_configENS1_21merge_config_selectorINS0_5tupleIJiiEEENS0_10empty_typeEEEZNS1_10merge_implIS3_NS0_12zip_iteratorINS5_IJN6thrust23THRUST_200600_302600_NS10device_ptrIiEESE_EEEEESG_SG_PS7_SH_SH_NSC_11hip_rocprim7__merge17predicate_wrapperIiiNSC_4lessIiEEEEEE10hipError_tPvRmT0_T1_T2_T3_T4_T5_mmT6_P12ihipStream_tbEUlT_E0_NS1_11comp_targetILNS1_3genE5ELNS1_11target_archE942ELNS1_3gpuE9ELNS1_3repE0EEENS1_30default_config_static_selectorELNS0_4arch9wavefront6targetE0EEEvSS_,comdat
	.protected	_ZN7rocprim17ROCPRIM_400000_NS6detail17trampoline_kernelINS0_14default_configENS1_21merge_config_selectorINS0_5tupleIJiiEEENS0_10empty_typeEEEZNS1_10merge_implIS3_NS0_12zip_iteratorINS5_IJN6thrust23THRUST_200600_302600_NS10device_ptrIiEESE_EEEEESG_SG_PS7_SH_SH_NSC_11hip_rocprim7__merge17predicate_wrapperIiiNSC_4lessIiEEEEEE10hipError_tPvRmT0_T1_T2_T3_T4_T5_mmT6_P12ihipStream_tbEUlT_E0_NS1_11comp_targetILNS1_3genE5ELNS1_11target_archE942ELNS1_3gpuE9ELNS1_3repE0EEENS1_30default_config_static_selectorELNS0_4arch9wavefront6targetE0EEEvSS_ ; -- Begin function _ZN7rocprim17ROCPRIM_400000_NS6detail17trampoline_kernelINS0_14default_configENS1_21merge_config_selectorINS0_5tupleIJiiEEENS0_10empty_typeEEEZNS1_10merge_implIS3_NS0_12zip_iteratorINS5_IJN6thrust23THRUST_200600_302600_NS10device_ptrIiEESE_EEEEESG_SG_PS7_SH_SH_NSC_11hip_rocprim7__merge17predicate_wrapperIiiNSC_4lessIiEEEEEE10hipError_tPvRmT0_T1_T2_T3_T4_T5_mmT6_P12ihipStream_tbEUlT_E0_NS1_11comp_targetILNS1_3genE5ELNS1_11target_archE942ELNS1_3gpuE9ELNS1_3repE0EEENS1_30default_config_static_selectorELNS0_4arch9wavefront6targetE0EEEvSS_
	.globl	_ZN7rocprim17ROCPRIM_400000_NS6detail17trampoline_kernelINS0_14default_configENS1_21merge_config_selectorINS0_5tupleIJiiEEENS0_10empty_typeEEEZNS1_10merge_implIS3_NS0_12zip_iteratorINS5_IJN6thrust23THRUST_200600_302600_NS10device_ptrIiEESE_EEEEESG_SG_PS7_SH_SH_NSC_11hip_rocprim7__merge17predicate_wrapperIiiNSC_4lessIiEEEEEE10hipError_tPvRmT0_T1_T2_T3_T4_T5_mmT6_P12ihipStream_tbEUlT_E0_NS1_11comp_targetILNS1_3genE5ELNS1_11target_archE942ELNS1_3gpuE9ELNS1_3repE0EEENS1_30default_config_static_selectorELNS0_4arch9wavefront6targetE0EEEvSS_
	.p2align	8
	.type	_ZN7rocprim17ROCPRIM_400000_NS6detail17trampoline_kernelINS0_14default_configENS1_21merge_config_selectorINS0_5tupleIJiiEEENS0_10empty_typeEEEZNS1_10merge_implIS3_NS0_12zip_iteratorINS5_IJN6thrust23THRUST_200600_302600_NS10device_ptrIiEESE_EEEEESG_SG_PS7_SH_SH_NSC_11hip_rocprim7__merge17predicate_wrapperIiiNSC_4lessIiEEEEEE10hipError_tPvRmT0_T1_T2_T3_T4_T5_mmT6_P12ihipStream_tbEUlT_E0_NS1_11comp_targetILNS1_3genE5ELNS1_11target_archE942ELNS1_3gpuE9ELNS1_3repE0EEENS1_30default_config_static_selectorELNS0_4arch9wavefront6targetE0EEEvSS_,@function
_ZN7rocprim17ROCPRIM_400000_NS6detail17trampoline_kernelINS0_14default_configENS1_21merge_config_selectorINS0_5tupleIJiiEEENS0_10empty_typeEEEZNS1_10merge_implIS3_NS0_12zip_iteratorINS5_IJN6thrust23THRUST_200600_302600_NS10device_ptrIiEESE_EEEEESG_SG_PS7_SH_SH_NSC_11hip_rocprim7__merge17predicate_wrapperIiiNSC_4lessIiEEEEEE10hipError_tPvRmT0_T1_T2_T3_T4_T5_mmT6_P12ihipStream_tbEUlT_E0_NS1_11comp_targetILNS1_3genE5ELNS1_11target_archE942ELNS1_3gpuE9ELNS1_3repE0EEENS1_30default_config_static_selectorELNS0_4arch9wavefront6targetE0EEEvSS_: ; @_ZN7rocprim17ROCPRIM_400000_NS6detail17trampoline_kernelINS0_14default_configENS1_21merge_config_selectorINS0_5tupleIJiiEEENS0_10empty_typeEEEZNS1_10merge_implIS3_NS0_12zip_iteratorINS5_IJN6thrust23THRUST_200600_302600_NS10device_ptrIiEESE_EEEEESG_SG_PS7_SH_SH_NSC_11hip_rocprim7__merge17predicate_wrapperIiiNSC_4lessIiEEEEEE10hipError_tPvRmT0_T1_T2_T3_T4_T5_mmT6_P12ihipStream_tbEUlT_E0_NS1_11comp_targetILNS1_3genE5ELNS1_11target_archE942ELNS1_3gpuE9ELNS1_3repE0EEENS1_30default_config_static_selectorELNS0_4arch9wavefront6targetE0EEEvSS_
; %bb.0:
	.section	.rodata,"a",@progbits
	.p2align	6, 0x0
	.amdhsa_kernel _ZN7rocprim17ROCPRIM_400000_NS6detail17trampoline_kernelINS0_14default_configENS1_21merge_config_selectorINS0_5tupleIJiiEEENS0_10empty_typeEEEZNS1_10merge_implIS3_NS0_12zip_iteratorINS5_IJN6thrust23THRUST_200600_302600_NS10device_ptrIiEESE_EEEEESG_SG_PS7_SH_SH_NSC_11hip_rocprim7__merge17predicate_wrapperIiiNSC_4lessIiEEEEEE10hipError_tPvRmT0_T1_T2_T3_T4_T5_mmT6_P12ihipStream_tbEUlT_E0_NS1_11comp_targetILNS1_3genE5ELNS1_11target_archE942ELNS1_3gpuE9ELNS1_3repE0EEENS1_30default_config_static_selectorELNS0_4arch9wavefront6targetE0EEEvSS_
		.amdhsa_group_segment_fixed_size 0
		.amdhsa_private_segment_fixed_size 0
		.amdhsa_kernarg_size 112
		.amdhsa_user_sgpr_count 2
		.amdhsa_user_sgpr_dispatch_ptr 0
		.amdhsa_user_sgpr_queue_ptr 0
		.amdhsa_user_sgpr_kernarg_segment_ptr 1
		.amdhsa_user_sgpr_dispatch_id 0
		.amdhsa_user_sgpr_kernarg_preload_length 0
		.amdhsa_user_sgpr_kernarg_preload_offset 0
		.amdhsa_user_sgpr_private_segment_size 0
		.amdhsa_wavefront_size32 1
		.amdhsa_uses_dynamic_stack 0
		.amdhsa_enable_private_segment 0
		.amdhsa_system_sgpr_workgroup_id_x 1
		.amdhsa_system_sgpr_workgroup_id_y 0
		.amdhsa_system_sgpr_workgroup_id_z 0
		.amdhsa_system_sgpr_workgroup_info 0
		.amdhsa_system_vgpr_workitem_id 0
		.amdhsa_next_free_vgpr 1
		.amdhsa_next_free_sgpr 1
		.amdhsa_named_barrier_count 0
		.amdhsa_reserve_vcc 0
		.amdhsa_float_round_mode_32 0
		.amdhsa_float_round_mode_16_64 0
		.amdhsa_float_denorm_mode_32 3
		.amdhsa_float_denorm_mode_16_64 3
		.amdhsa_fp16_overflow 0
		.amdhsa_memory_ordered 1
		.amdhsa_forward_progress 1
		.amdhsa_inst_pref_size 0
		.amdhsa_round_robin_scheduling 0
		.amdhsa_exception_fp_ieee_invalid_op 0
		.amdhsa_exception_fp_denorm_src 0
		.amdhsa_exception_fp_ieee_div_zero 0
		.amdhsa_exception_fp_ieee_overflow 0
		.amdhsa_exception_fp_ieee_underflow 0
		.amdhsa_exception_fp_ieee_inexact 0
		.amdhsa_exception_int_div_zero 0
	.end_amdhsa_kernel
	.section	.text._ZN7rocprim17ROCPRIM_400000_NS6detail17trampoline_kernelINS0_14default_configENS1_21merge_config_selectorINS0_5tupleIJiiEEENS0_10empty_typeEEEZNS1_10merge_implIS3_NS0_12zip_iteratorINS5_IJN6thrust23THRUST_200600_302600_NS10device_ptrIiEESE_EEEEESG_SG_PS7_SH_SH_NSC_11hip_rocprim7__merge17predicate_wrapperIiiNSC_4lessIiEEEEEE10hipError_tPvRmT0_T1_T2_T3_T4_T5_mmT6_P12ihipStream_tbEUlT_E0_NS1_11comp_targetILNS1_3genE5ELNS1_11target_archE942ELNS1_3gpuE9ELNS1_3repE0EEENS1_30default_config_static_selectorELNS0_4arch9wavefront6targetE0EEEvSS_,"axG",@progbits,_ZN7rocprim17ROCPRIM_400000_NS6detail17trampoline_kernelINS0_14default_configENS1_21merge_config_selectorINS0_5tupleIJiiEEENS0_10empty_typeEEEZNS1_10merge_implIS3_NS0_12zip_iteratorINS5_IJN6thrust23THRUST_200600_302600_NS10device_ptrIiEESE_EEEEESG_SG_PS7_SH_SH_NSC_11hip_rocprim7__merge17predicate_wrapperIiiNSC_4lessIiEEEEEE10hipError_tPvRmT0_T1_T2_T3_T4_T5_mmT6_P12ihipStream_tbEUlT_E0_NS1_11comp_targetILNS1_3genE5ELNS1_11target_archE942ELNS1_3gpuE9ELNS1_3repE0EEENS1_30default_config_static_selectorELNS0_4arch9wavefront6targetE0EEEvSS_,comdat
.Lfunc_end634:
	.size	_ZN7rocprim17ROCPRIM_400000_NS6detail17trampoline_kernelINS0_14default_configENS1_21merge_config_selectorINS0_5tupleIJiiEEENS0_10empty_typeEEEZNS1_10merge_implIS3_NS0_12zip_iteratorINS5_IJN6thrust23THRUST_200600_302600_NS10device_ptrIiEESE_EEEEESG_SG_PS7_SH_SH_NSC_11hip_rocprim7__merge17predicate_wrapperIiiNSC_4lessIiEEEEEE10hipError_tPvRmT0_T1_T2_T3_T4_T5_mmT6_P12ihipStream_tbEUlT_E0_NS1_11comp_targetILNS1_3genE5ELNS1_11target_archE942ELNS1_3gpuE9ELNS1_3repE0EEENS1_30default_config_static_selectorELNS0_4arch9wavefront6targetE0EEEvSS_, .Lfunc_end634-_ZN7rocprim17ROCPRIM_400000_NS6detail17trampoline_kernelINS0_14default_configENS1_21merge_config_selectorINS0_5tupleIJiiEEENS0_10empty_typeEEEZNS1_10merge_implIS3_NS0_12zip_iteratorINS5_IJN6thrust23THRUST_200600_302600_NS10device_ptrIiEESE_EEEEESG_SG_PS7_SH_SH_NSC_11hip_rocprim7__merge17predicate_wrapperIiiNSC_4lessIiEEEEEE10hipError_tPvRmT0_T1_T2_T3_T4_T5_mmT6_P12ihipStream_tbEUlT_E0_NS1_11comp_targetILNS1_3genE5ELNS1_11target_archE942ELNS1_3gpuE9ELNS1_3repE0EEENS1_30default_config_static_selectorELNS0_4arch9wavefront6targetE0EEEvSS_
                                        ; -- End function
	.set _ZN7rocprim17ROCPRIM_400000_NS6detail17trampoline_kernelINS0_14default_configENS1_21merge_config_selectorINS0_5tupleIJiiEEENS0_10empty_typeEEEZNS1_10merge_implIS3_NS0_12zip_iteratorINS5_IJN6thrust23THRUST_200600_302600_NS10device_ptrIiEESE_EEEEESG_SG_PS7_SH_SH_NSC_11hip_rocprim7__merge17predicate_wrapperIiiNSC_4lessIiEEEEEE10hipError_tPvRmT0_T1_T2_T3_T4_T5_mmT6_P12ihipStream_tbEUlT_E0_NS1_11comp_targetILNS1_3genE5ELNS1_11target_archE942ELNS1_3gpuE9ELNS1_3repE0EEENS1_30default_config_static_selectorELNS0_4arch9wavefront6targetE0EEEvSS_.num_vgpr, 0
	.set _ZN7rocprim17ROCPRIM_400000_NS6detail17trampoline_kernelINS0_14default_configENS1_21merge_config_selectorINS0_5tupleIJiiEEENS0_10empty_typeEEEZNS1_10merge_implIS3_NS0_12zip_iteratorINS5_IJN6thrust23THRUST_200600_302600_NS10device_ptrIiEESE_EEEEESG_SG_PS7_SH_SH_NSC_11hip_rocprim7__merge17predicate_wrapperIiiNSC_4lessIiEEEEEE10hipError_tPvRmT0_T1_T2_T3_T4_T5_mmT6_P12ihipStream_tbEUlT_E0_NS1_11comp_targetILNS1_3genE5ELNS1_11target_archE942ELNS1_3gpuE9ELNS1_3repE0EEENS1_30default_config_static_selectorELNS0_4arch9wavefront6targetE0EEEvSS_.num_agpr, 0
	.set _ZN7rocprim17ROCPRIM_400000_NS6detail17trampoline_kernelINS0_14default_configENS1_21merge_config_selectorINS0_5tupleIJiiEEENS0_10empty_typeEEEZNS1_10merge_implIS3_NS0_12zip_iteratorINS5_IJN6thrust23THRUST_200600_302600_NS10device_ptrIiEESE_EEEEESG_SG_PS7_SH_SH_NSC_11hip_rocprim7__merge17predicate_wrapperIiiNSC_4lessIiEEEEEE10hipError_tPvRmT0_T1_T2_T3_T4_T5_mmT6_P12ihipStream_tbEUlT_E0_NS1_11comp_targetILNS1_3genE5ELNS1_11target_archE942ELNS1_3gpuE9ELNS1_3repE0EEENS1_30default_config_static_selectorELNS0_4arch9wavefront6targetE0EEEvSS_.numbered_sgpr, 0
	.set _ZN7rocprim17ROCPRIM_400000_NS6detail17trampoline_kernelINS0_14default_configENS1_21merge_config_selectorINS0_5tupleIJiiEEENS0_10empty_typeEEEZNS1_10merge_implIS3_NS0_12zip_iteratorINS5_IJN6thrust23THRUST_200600_302600_NS10device_ptrIiEESE_EEEEESG_SG_PS7_SH_SH_NSC_11hip_rocprim7__merge17predicate_wrapperIiiNSC_4lessIiEEEEEE10hipError_tPvRmT0_T1_T2_T3_T4_T5_mmT6_P12ihipStream_tbEUlT_E0_NS1_11comp_targetILNS1_3genE5ELNS1_11target_archE942ELNS1_3gpuE9ELNS1_3repE0EEENS1_30default_config_static_selectorELNS0_4arch9wavefront6targetE0EEEvSS_.num_named_barrier, 0
	.set _ZN7rocprim17ROCPRIM_400000_NS6detail17trampoline_kernelINS0_14default_configENS1_21merge_config_selectorINS0_5tupleIJiiEEENS0_10empty_typeEEEZNS1_10merge_implIS3_NS0_12zip_iteratorINS5_IJN6thrust23THRUST_200600_302600_NS10device_ptrIiEESE_EEEEESG_SG_PS7_SH_SH_NSC_11hip_rocprim7__merge17predicate_wrapperIiiNSC_4lessIiEEEEEE10hipError_tPvRmT0_T1_T2_T3_T4_T5_mmT6_P12ihipStream_tbEUlT_E0_NS1_11comp_targetILNS1_3genE5ELNS1_11target_archE942ELNS1_3gpuE9ELNS1_3repE0EEENS1_30default_config_static_selectorELNS0_4arch9wavefront6targetE0EEEvSS_.private_seg_size, 0
	.set _ZN7rocprim17ROCPRIM_400000_NS6detail17trampoline_kernelINS0_14default_configENS1_21merge_config_selectorINS0_5tupleIJiiEEENS0_10empty_typeEEEZNS1_10merge_implIS3_NS0_12zip_iteratorINS5_IJN6thrust23THRUST_200600_302600_NS10device_ptrIiEESE_EEEEESG_SG_PS7_SH_SH_NSC_11hip_rocprim7__merge17predicate_wrapperIiiNSC_4lessIiEEEEEE10hipError_tPvRmT0_T1_T2_T3_T4_T5_mmT6_P12ihipStream_tbEUlT_E0_NS1_11comp_targetILNS1_3genE5ELNS1_11target_archE942ELNS1_3gpuE9ELNS1_3repE0EEENS1_30default_config_static_selectorELNS0_4arch9wavefront6targetE0EEEvSS_.uses_vcc, 0
	.set _ZN7rocprim17ROCPRIM_400000_NS6detail17trampoline_kernelINS0_14default_configENS1_21merge_config_selectorINS0_5tupleIJiiEEENS0_10empty_typeEEEZNS1_10merge_implIS3_NS0_12zip_iteratorINS5_IJN6thrust23THRUST_200600_302600_NS10device_ptrIiEESE_EEEEESG_SG_PS7_SH_SH_NSC_11hip_rocprim7__merge17predicate_wrapperIiiNSC_4lessIiEEEEEE10hipError_tPvRmT0_T1_T2_T3_T4_T5_mmT6_P12ihipStream_tbEUlT_E0_NS1_11comp_targetILNS1_3genE5ELNS1_11target_archE942ELNS1_3gpuE9ELNS1_3repE0EEENS1_30default_config_static_selectorELNS0_4arch9wavefront6targetE0EEEvSS_.uses_flat_scratch, 0
	.set _ZN7rocprim17ROCPRIM_400000_NS6detail17trampoline_kernelINS0_14default_configENS1_21merge_config_selectorINS0_5tupleIJiiEEENS0_10empty_typeEEEZNS1_10merge_implIS3_NS0_12zip_iteratorINS5_IJN6thrust23THRUST_200600_302600_NS10device_ptrIiEESE_EEEEESG_SG_PS7_SH_SH_NSC_11hip_rocprim7__merge17predicate_wrapperIiiNSC_4lessIiEEEEEE10hipError_tPvRmT0_T1_T2_T3_T4_T5_mmT6_P12ihipStream_tbEUlT_E0_NS1_11comp_targetILNS1_3genE5ELNS1_11target_archE942ELNS1_3gpuE9ELNS1_3repE0EEENS1_30default_config_static_selectorELNS0_4arch9wavefront6targetE0EEEvSS_.has_dyn_sized_stack, 0
	.set _ZN7rocprim17ROCPRIM_400000_NS6detail17trampoline_kernelINS0_14default_configENS1_21merge_config_selectorINS0_5tupleIJiiEEENS0_10empty_typeEEEZNS1_10merge_implIS3_NS0_12zip_iteratorINS5_IJN6thrust23THRUST_200600_302600_NS10device_ptrIiEESE_EEEEESG_SG_PS7_SH_SH_NSC_11hip_rocprim7__merge17predicate_wrapperIiiNSC_4lessIiEEEEEE10hipError_tPvRmT0_T1_T2_T3_T4_T5_mmT6_P12ihipStream_tbEUlT_E0_NS1_11comp_targetILNS1_3genE5ELNS1_11target_archE942ELNS1_3gpuE9ELNS1_3repE0EEENS1_30default_config_static_selectorELNS0_4arch9wavefront6targetE0EEEvSS_.has_recursion, 0
	.set _ZN7rocprim17ROCPRIM_400000_NS6detail17trampoline_kernelINS0_14default_configENS1_21merge_config_selectorINS0_5tupleIJiiEEENS0_10empty_typeEEEZNS1_10merge_implIS3_NS0_12zip_iteratorINS5_IJN6thrust23THRUST_200600_302600_NS10device_ptrIiEESE_EEEEESG_SG_PS7_SH_SH_NSC_11hip_rocprim7__merge17predicate_wrapperIiiNSC_4lessIiEEEEEE10hipError_tPvRmT0_T1_T2_T3_T4_T5_mmT6_P12ihipStream_tbEUlT_E0_NS1_11comp_targetILNS1_3genE5ELNS1_11target_archE942ELNS1_3gpuE9ELNS1_3repE0EEENS1_30default_config_static_selectorELNS0_4arch9wavefront6targetE0EEEvSS_.has_indirect_call, 0
	.section	.AMDGPU.csdata,"",@progbits
; Kernel info:
; codeLenInByte = 0
; TotalNumSgprs: 0
; NumVgprs: 0
; ScratchSize: 0
; MemoryBound: 0
; FloatMode: 240
; IeeeMode: 1
; LDSByteSize: 0 bytes/workgroup (compile time only)
; SGPRBlocks: 0
; VGPRBlocks: 0
; NumSGPRsForWavesPerEU: 1
; NumVGPRsForWavesPerEU: 1
; NamedBarCnt: 0
; Occupancy: 16
; WaveLimiterHint : 0
; COMPUTE_PGM_RSRC2:SCRATCH_EN: 0
; COMPUTE_PGM_RSRC2:USER_SGPR: 2
; COMPUTE_PGM_RSRC2:TRAP_HANDLER: 0
; COMPUTE_PGM_RSRC2:TGID_X_EN: 1
; COMPUTE_PGM_RSRC2:TGID_Y_EN: 0
; COMPUTE_PGM_RSRC2:TGID_Z_EN: 0
; COMPUTE_PGM_RSRC2:TIDIG_COMP_CNT: 0
	.section	.text._ZN7rocprim17ROCPRIM_400000_NS6detail17trampoline_kernelINS0_14default_configENS1_21merge_config_selectorINS0_5tupleIJiiEEENS0_10empty_typeEEEZNS1_10merge_implIS3_NS0_12zip_iteratorINS5_IJN6thrust23THRUST_200600_302600_NS10device_ptrIiEESE_EEEEESG_SG_PS7_SH_SH_NSC_11hip_rocprim7__merge17predicate_wrapperIiiNSC_4lessIiEEEEEE10hipError_tPvRmT0_T1_T2_T3_T4_T5_mmT6_P12ihipStream_tbEUlT_E0_NS1_11comp_targetILNS1_3genE4ELNS1_11target_archE910ELNS1_3gpuE8ELNS1_3repE0EEENS1_30default_config_static_selectorELNS0_4arch9wavefront6targetE0EEEvSS_,"axG",@progbits,_ZN7rocprim17ROCPRIM_400000_NS6detail17trampoline_kernelINS0_14default_configENS1_21merge_config_selectorINS0_5tupleIJiiEEENS0_10empty_typeEEEZNS1_10merge_implIS3_NS0_12zip_iteratorINS5_IJN6thrust23THRUST_200600_302600_NS10device_ptrIiEESE_EEEEESG_SG_PS7_SH_SH_NSC_11hip_rocprim7__merge17predicate_wrapperIiiNSC_4lessIiEEEEEE10hipError_tPvRmT0_T1_T2_T3_T4_T5_mmT6_P12ihipStream_tbEUlT_E0_NS1_11comp_targetILNS1_3genE4ELNS1_11target_archE910ELNS1_3gpuE8ELNS1_3repE0EEENS1_30default_config_static_selectorELNS0_4arch9wavefront6targetE0EEEvSS_,comdat
	.protected	_ZN7rocprim17ROCPRIM_400000_NS6detail17trampoline_kernelINS0_14default_configENS1_21merge_config_selectorINS0_5tupleIJiiEEENS0_10empty_typeEEEZNS1_10merge_implIS3_NS0_12zip_iteratorINS5_IJN6thrust23THRUST_200600_302600_NS10device_ptrIiEESE_EEEEESG_SG_PS7_SH_SH_NSC_11hip_rocprim7__merge17predicate_wrapperIiiNSC_4lessIiEEEEEE10hipError_tPvRmT0_T1_T2_T3_T4_T5_mmT6_P12ihipStream_tbEUlT_E0_NS1_11comp_targetILNS1_3genE4ELNS1_11target_archE910ELNS1_3gpuE8ELNS1_3repE0EEENS1_30default_config_static_selectorELNS0_4arch9wavefront6targetE0EEEvSS_ ; -- Begin function _ZN7rocprim17ROCPRIM_400000_NS6detail17trampoline_kernelINS0_14default_configENS1_21merge_config_selectorINS0_5tupleIJiiEEENS0_10empty_typeEEEZNS1_10merge_implIS3_NS0_12zip_iteratorINS5_IJN6thrust23THRUST_200600_302600_NS10device_ptrIiEESE_EEEEESG_SG_PS7_SH_SH_NSC_11hip_rocprim7__merge17predicate_wrapperIiiNSC_4lessIiEEEEEE10hipError_tPvRmT0_T1_T2_T3_T4_T5_mmT6_P12ihipStream_tbEUlT_E0_NS1_11comp_targetILNS1_3genE4ELNS1_11target_archE910ELNS1_3gpuE8ELNS1_3repE0EEENS1_30default_config_static_selectorELNS0_4arch9wavefront6targetE0EEEvSS_
	.globl	_ZN7rocprim17ROCPRIM_400000_NS6detail17trampoline_kernelINS0_14default_configENS1_21merge_config_selectorINS0_5tupleIJiiEEENS0_10empty_typeEEEZNS1_10merge_implIS3_NS0_12zip_iteratorINS5_IJN6thrust23THRUST_200600_302600_NS10device_ptrIiEESE_EEEEESG_SG_PS7_SH_SH_NSC_11hip_rocprim7__merge17predicate_wrapperIiiNSC_4lessIiEEEEEE10hipError_tPvRmT0_T1_T2_T3_T4_T5_mmT6_P12ihipStream_tbEUlT_E0_NS1_11comp_targetILNS1_3genE4ELNS1_11target_archE910ELNS1_3gpuE8ELNS1_3repE0EEENS1_30default_config_static_selectorELNS0_4arch9wavefront6targetE0EEEvSS_
	.p2align	8
	.type	_ZN7rocprim17ROCPRIM_400000_NS6detail17trampoline_kernelINS0_14default_configENS1_21merge_config_selectorINS0_5tupleIJiiEEENS0_10empty_typeEEEZNS1_10merge_implIS3_NS0_12zip_iteratorINS5_IJN6thrust23THRUST_200600_302600_NS10device_ptrIiEESE_EEEEESG_SG_PS7_SH_SH_NSC_11hip_rocprim7__merge17predicate_wrapperIiiNSC_4lessIiEEEEEE10hipError_tPvRmT0_T1_T2_T3_T4_T5_mmT6_P12ihipStream_tbEUlT_E0_NS1_11comp_targetILNS1_3genE4ELNS1_11target_archE910ELNS1_3gpuE8ELNS1_3repE0EEENS1_30default_config_static_selectorELNS0_4arch9wavefront6targetE0EEEvSS_,@function
_ZN7rocprim17ROCPRIM_400000_NS6detail17trampoline_kernelINS0_14default_configENS1_21merge_config_selectorINS0_5tupleIJiiEEENS0_10empty_typeEEEZNS1_10merge_implIS3_NS0_12zip_iteratorINS5_IJN6thrust23THRUST_200600_302600_NS10device_ptrIiEESE_EEEEESG_SG_PS7_SH_SH_NSC_11hip_rocprim7__merge17predicate_wrapperIiiNSC_4lessIiEEEEEE10hipError_tPvRmT0_T1_T2_T3_T4_T5_mmT6_P12ihipStream_tbEUlT_E0_NS1_11comp_targetILNS1_3genE4ELNS1_11target_archE910ELNS1_3gpuE8ELNS1_3repE0EEENS1_30default_config_static_selectorELNS0_4arch9wavefront6targetE0EEEvSS_: ; @_ZN7rocprim17ROCPRIM_400000_NS6detail17trampoline_kernelINS0_14default_configENS1_21merge_config_selectorINS0_5tupleIJiiEEENS0_10empty_typeEEEZNS1_10merge_implIS3_NS0_12zip_iteratorINS5_IJN6thrust23THRUST_200600_302600_NS10device_ptrIiEESE_EEEEESG_SG_PS7_SH_SH_NSC_11hip_rocprim7__merge17predicate_wrapperIiiNSC_4lessIiEEEEEE10hipError_tPvRmT0_T1_T2_T3_T4_T5_mmT6_P12ihipStream_tbEUlT_E0_NS1_11comp_targetILNS1_3genE4ELNS1_11target_archE910ELNS1_3gpuE8ELNS1_3repE0EEENS1_30default_config_static_selectorELNS0_4arch9wavefront6targetE0EEEvSS_
; %bb.0:
	.section	.rodata,"a",@progbits
	.p2align	6, 0x0
	.amdhsa_kernel _ZN7rocprim17ROCPRIM_400000_NS6detail17trampoline_kernelINS0_14default_configENS1_21merge_config_selectorINS0_5tupleIJiiEEENS0_10empty_typeEEEZNS1_10merge_implIS3_NS0_12zip_iteratorINS5_IJN6thrust23THRUST_200600_302600_NS10device_ptrIiEESE_EEEEESG_SG_PS7_SH_SH_NSC_11hip_rocprim7__merge17predicate_wrapperIiiNSC_4lessIiEEEEEE10hipError_tPvRmT0_T1_T2_T3_T4_T5_mmT6_P12ihipStream_tbEUlT_E0_NS1_11comp_targetILNS1_3genE4ELNS1_11target_archE910ELNS1_3gpuE8ELNS1_3repE0EEENS1_30default_config_static_selectorELNS0_4arch9wavefront6targetE0EEEvSS_
		.amdhsa_group_segment_fixed_size 0
		.amdhsa_private_segment_fixed_size 0
		.amdhsa_kernarg_size 112
		.amdhsa_user_sgpr_count 2
		.amdhsa_user_sgpr_dispatch_ptr 0
		.amdhsa_user_sgpr_queue_ptr 0
		.amdhsa_user_sgpr_kernarg_segment_ptr 1
		.amdhsa_user_sgpr_dispatch_id 0
		.amdhsa_user_sgpr_kernarg_preload_length 0
		.amdhsa_user_sgpr_kernarg_preload_offset 0
		.amdhsa_user_sgpr_private_segment_size 0
		.amdhsa_wavefront_size32 1
		.amdhsa_uses_dynamic_stack 0
		.amdhsa_enable_private_segment 0
		.amdhsa_system_sgpr_workgroup_id_x 1
		.amdhsa_system_sgpr_workgroup_id_y 0
		.amdhsa_system_sgpr_workgroup_id_z 0
		.amdhsa_system_sgpr_workgroup_info 0
		.amdhsa_system_vgpr_workitem_id 0
		.amdhsa_next_free_vgpr 1
		.amdhsa_next_free_sgpr 1
		.amdhsa_named_barrier_count 0
		.amdhsa_reserve_vcc 0
		.amdhsa_float_round_mode_32 0
		.amdhsa_float_round_mode_16_64 0
		.amdhsa_float_denorm_mode_32 3
		.amdhsa_float_denorm_mode_16_64 3
		.amdhsa_fp16_overflow 0
		.amdhsa_memory_ordered 1
		.amdhsa_forward_progress 1
		.amdhsa_inst_pref_size 0
		.amdhsa_round_robin_scheduling 0
		.amdhsa_exception_fp_ieee_invalid_op 0
		.amdhsa_exception_fp_denorm_src 0
		.amdhsa_exception_fp_ieee_div_zero 0
		.amdhsa_exception_fp_ieee_overflow 0
		.amdhsa_exception_fp_ieee_underflow 0
		.amdhsa_exception_fp_ieee_inexact 0
		.amdhsa_exception_int_div_zero 0
	.end_amdhsa_kernel
	.section	.text._ZN7rocprim17ROCPRIM_400000_NS6detail17trampoline_kernelINS0_14default_configENS1_21merge_config_selectorINS0_5tupleIJiiEEENS0_10empty_typeEEEZNS1_10merge_implIS3_NS0_12zip_iteratorINS5_IJN6thrust23THRUST_200600_302600_NS10device_ptrIiEESE_EEEEESG_SG_PS7_SH_SH_NSC_11hip_rocprim7__merge17predicate_wrapperIiiNSC_4lessIiEEEEEE10hipError_tPvRmT0_T1_T2_T3_T4_T5_mmT6_P12ihipStream_tbEUlT_E0_NS1_11comp_targetILNS1_3genE4ELNS1_11target_archE910ELNS1_3gpuE8ELNS1_3repE0EEENS1_30default_config_static_selectorELNS0_4arch9wavefront6targetE0EEEvSS_,"axG",@progbits,_ZN7rocprim17ROCPRIM_400000_NS6detail17trampoline_kernelINS0_14default_configENS1_21merge_config_selectorINS0_5tupleIJiiEEENS0_10empty_typeEEEZNS1_10merge_implIS3_NS0_12zip_iteratorINS5_IJN6thrust23THRUST_200600_302600_NS10device_ptrIiEESE_EEEEESG_SG_PS7_SH_SH_NSC_11hip_rocprim7__merge17predicate_wrapperIiiNSC_4lessIiEEEEEE10hipError_tPvRmT0_T1_T2_T3_T4_T5_mmT6_P12ihipStream_tbEUlT_E0_NS1_11comp_targetILNS1_3genE4ELNS1_11target_archE910ELNS1_3gpuE8ELNS1_3repE0EEENS1_30default_config_static_selectorELNS0_4arch9wavefront6targetE0EEEvSS_,comdat
.Lfunc_end635:
	.size	_ZN7rocprim17ROCPRIM_400000_NS6detail17trampoline_kernelINS0_14default_configENS1_21merge_config_selectorINS0_5tupleIJiiEEENS0_10empty_typeEEEZNS1_10merge_implIS3_NS0_12zip_iteratorINS5_IJN6thrust23THRUST_200600_302600_NS10device_ptrIiEESE_EEEEESG_SG_PS7_SH_SH_NSC_11hip_rocprim7__merge17predicate_wrapperIiiNSC_4lessIiEEEEEE10hipError_tPvRmT0_T1_T2_T3_T4_T5_mmT6_P12ihipStream_tbEUlT_E0_NS1_11comp_targetILNS1_3genE4ELNS1_11target_archE910ELNS1_3gpuE8ELNS1_3repE0EEENS1_30default_config_static_selectorELNS0_4arch9wavefront6targetE0EEEvSS_, .Lfunc_end635-_ZN7rocprim17ROCPRIM_400000_NS6detail17trampoline_kernelINS0_14default_configENS1_21merge_config_selectorINS0_5tupleIJiiEEENS0_10empty_typeEEEZNS1_10merge_implIS3_NS0_12zip_iteratorINS5_IJN6thrust23THRUST_200600_302600_NS10device_ptrIiEESE_EEEEESG_SG_PS7_SH_SH_NSC_11hip_rocprim7__merge17predicate_wrapperIiiNSC_4lessIiEEEEEE10hipError_tPvRmT0_T1_T2_T3_T4_T5_mmT6_P12ihipStream_tbEUlT_E0_NS1_11comp_targetILNS1_3genE4ELNS1_11target_archE910ELNS1_3gpuE8ELNS1_3repE0EEENS1_30default_config_static_selectorELNS0_4arch9wavefront6targetE0EEEvSS_
                                        ; -- End function
	.set _ZN7rocprim17ROCPRIM_400000_NS6detail17trampoline_kernelINS0_14default_configENS1_21merge_config_selectorINS0_5tupleIJiiEEENS0_10empty_typeEEEZNS1_10merge_implIS3_NS0_12zip_iteratorINS5_IJN6thrust23THRUST_200600_302600_NS10device_ptrIiEESE_EEEEESG_SG_PS7_SH_SH_NSC_11hip_rocprim7__merge17predicate_wrapperIiiNSC_4lessIiEEEEEE10hipError_tPvRmT0_T1_T2_T3_T4_T5_mmT6_P12ihipStream_tbEUlT_E0_NS1_11comp_targetILNS1_3genE4ELNS1_11target_archE910ELNS1_3gpuE8ELNS1_3repE0EEENS1_30default_config_static_selectorELNS0_4arch9wavefront6targetE0EEEvSS_.num_vgpr, 0
	.set _ZN7rocprim17ROCPRIM_400000_NS6detail17trampoline_kernelINS0_14default_configENS1_21merge_config_selectorINS0_5tupleIJiiEEENS0_10empty_typeEEEZNS1_10merge_implIS3_NS0_12zip_iteratorINS5_IJN6thrust23THRUST_200600_302600_NS10device_ptrIiEESE_EEEEESG_SG_PS7_SH_SH_NSC_11hip_rocprim7__merge17predicate_wrapperIiiNSC_4lessIiEEEEEE10hipError_tPvRmT0_T1_T2_T3_T4_T5_mmT6_P12ihipStream_tbEUlT_E0_NS1_11comp_targetILNS1_3genE4ELNS1_11target_archE910ELNS1_3gpuE8ELNS1_3repE0EEENS1_30default_config_static_selectorELNS0_4arch9wavefront6targetE0EEEvSS_.num_agpr, 0
	.set _ZN7rocprim17ROCPRIM_400000_NS6detail17trampoline_kernelINS0_14default_configENS1_21merge_config_selectorINS0_5tupleIJiiEEENS0_10empty_typeEEEZNS1_10merge_implIS3_NS0_12zip_iteratorINS5_IJN6thrust23THRUST_200600_302600_NS10device_ptrIiEESE_EEEEESG_SG_PS7_SH_SH_NSC_11hip_rocprim7__merge17predicate_wrapperIiiNSC_4lessIiEEEEEE10hipError_tPvRmT0_T1_T2_T3_T4_T5_mmT6_P12ihipStream_tbEUlT_E0_NS1_11comp_targetILNS1_3genE4ELNS1_11target_archE910ELNS1_3gpuE8ELNS1_3repE0EEENS1_30default_config_static_selectorELNS0_4arch9wavefront6targetE0EEEvSS_.numbered_sgpr, 0
	.set _ZN7rocprim17ROCPRIM_400000_NS6detail17trampoline_kernelINS0_14default_configENS1_21merge_config_selectorINS0_5tupleIJiiEEENS0_10empty_typeEEEZNS1_10merge_implIS3_NS0_12zip_iteratorINS5_IJN6thrust23THRUST_200600_302600_NS10device_ptrIiEESE_EEEEESG_SG_PS7_SH_SH_NSC_11hip_rocprim7__merge17predicate_wrapperIiiNSC_4lessIiEEEEEE10hipError_tPvRmT0_T1_T2_T3_T4_T5_mmT6_P12ihipStream_tbEUlT_E0_NS1_11comp_targetILNS1_3genE4ELNS1_11target_archE910ELNS1_3gpuE8ELNS1_3repE0EEENS1_30default_config_static_selectorELNS0_4arch9wavefront6targetE0EEEvSS_.num_named_barrier, 0
	.set _ZN7rocprim17ROCPRIM_400000_NS6detail17trampoline_kernelINS0_14default_configENS1_21merge_config_selectorINS0_5tupleIJiiEEENS0_10empty_typeEEEZNS1_10merge_implIS3_NS0_12zip_iteratorINS5_IJN6thrust23THRUST_200600_302600_NS10device_ptrIiEESE_EEEEESG_SG_PS7_SH_SH_NSC_11hip_rocprim7__merge17predicate_wrapperIiiNSC_4lessIiEEEEEE10hipError_tPvRmT0_T1_T2_T3_T4_T5_mmT6_P12ihipStream_tbEUlT_E0_NS1_11comp_targetILNS1_3genE4ELNS1_11target_archE910ELNS1_3gpuE8ELNS1_3repE0EEENS1_30default_config_static_selectorELNS0_4arch9wavefront6targetE0EEEvSS_.private_seg_size, 0
	.set _ZN7rocprim17ROCPRIM_400000_NS6detail17trampoline_kernelINS0_14default_configENS1_21merge_config_selectorINS0_5tupleIJiiEEENS0_10empty_typeEEEZNS1_10merge_implIS3_NS0_12zip_iteratorINS5_IJN6thrust23THRUST_200600_302600_NS10device_ptrIiEESE_EEEEESG_SG_PS7_SH_SH_NSC_11hip_rocprim7__merge17predicate_wrapperIiiNSC_4lessIiEEEEEE10hipError_tPvRmT0_T1_T2_T3_T4_T5_mmT6_P12ihipStream_tbEUlT_E0_NS1_11comp_targetILNS1_3genE4ELNS1_11target_archE910ELNS1_3gpuE8ELNS1_3repE0EEENS1_30default_config_static_selectorELNS0_4arch9wavefront6targetE0EEEvSS_.uses_vcc, 0
	.set _ZN7rocprim17ROCPRIM_400000_NS6detail17trampoline_kernelINS0_14default_configENS1_21merge_config_selectorINS0_5tupleIJiiEEENS0_10empty_typeEEEZNS1_10merge_implIS3_NS0_12zip_iteratorINS5_IJN6thrust23THRUST_200600_302600_NS10device_ptrIiEESE_EEEEESG_SG_PS7_SH_SH_NSC_11hip_rocprim7__merge17predicate_wrapperIiiNSC_4lessIiEEEEEE10hipError_tPvRmT0_T1_T2_T3_T4_T5_mmT6_P12ihipStream_tbEUlT_E0_NS1_11comp_targetILNS1_3genE4ELNS1_11target_archE910ELNS1_3gpuE8ELNS1_3repE0EEENS1_30default_config_static_selectorELNS0_4arch9wavefront6targetE0EEEvSS_.uses_flat_scratch, 0
	.set _ZN7rocprim17ROCPRIM_400000_NS6detail17trampoline_kernelINS0_14default_configENS1_21merge_config_selectorINS0_5tupleIJiiEEENS0_10empty_typeEEEZNS1_10merge_implIS3_NS0_12zip_iteratorINS5_IJN6thrust23THRUST_200600_302600_NS10device_ptrIiEESE_EEEEESG_SG_PS7_SH_SH_NSC_11hip_rocprim7__merge17predicate_wrapperIiiNSC_4lessIiEEEEEE10hipError_tPvRmT0_T1_T2_T3_T4_T5_mmT6_P12ihipStream_tbEUlT_E0_NS1_11comp_targetILNS1_3genE4ELNS1_11target_archE910ELNS1_3gpuE8ELNS1_3repE0EEENS1_30default_config_static_selectorELNS0_4arch9wavefront6targetE0EEEvSS_.has_dyn_sized_stack, 0
	.set _ZN7rocprim17ROCPRIM_400000_NS6detail17trampoline_kernelINS0_14default_configENS1_21merge_config_selectorINS0_5tupleIJiiEEENS0_10empty_typeEEEZNS1_10merge_implIS3_NS0_12zip_iteratorINS5_IJN6thrust23THRUST_200600_302600_NS10device_ptrIiEESE_EEEEESG_SG_PS7_SH_SH_NSC_11hip_rocprim7__merge17predicate_wrapperIiiNSC_4lessIiEEEEEE10hipError_tPvRmT0_T1_T2_T3_T4_T5_mmT6_P12ihipStream_tbEUlT_E0_NS1_11comp_targetILNS1_3genE4ELNS1_11target_archE910ELNS1_3gpuE8ELNS1_3repE0EEENS1_30default_config_static_selectorELNS0_4arch9wavefront6targetE0EEEvSS_.has_recursion, 0
	.set _ZN7rocprim17ROCPRIM_400000_NS6detail17trampoline_kernelINS0_14default_configENS1_21merge_config_selectorINS0_5tupleIJiiEEENS0_10empty_typeEEEZNS1_10merge_implIS3_NS0_12zip_iteratorINS5_IJN6thrust23THRUST_200600_302600_NS10device_ptrIiEESE_EEEEESG_SG_PS7_SH_SH_NSC_11hip_rocprim7__merge17predicate_wrapperIiiNSC_4lessIiEEEEEE10hipError_tPvRmT0_T1_T2_T3_T4_T5_mmT6_P12ihipStream_tbEUlT_E0_NS1_11comp_targetILNS1_3genE4ELNS1_11target_archE910ELNS1_3gpuE8ELNS1_3repE0EEENS1_30default_config_static_selectorELNS0_4arch9wavefront6targetE0EEEvSS_.has_indirect_call, 0
	.section	.AMDGPU.csdata,"",@progbits
; Kernel info:
; codeLenInByte = 0
; TotalNumSgprs: 0
; NumVgprs: 0
; ScratchSize: 0
; MemoryBound: 0
; FloatMode: 240
; IeeeMode: 1
; LDSByteSize: 0 bytes/workgroup (compile time only)
; SGPRBlocks: 0
; VGPRBlocks: 0
; NumSGPRsForWavesPerEU: 1
; NumVGPRsForWavesPerEU: 1
; NamedBarCnt: 0
; Occupancy: 16
; WaveLimiterHint : 0
; COMPUTE_PGM_RSRC2:SCRATCH_EN: 0
; COMPUTE_PGM_RSRC2:USER_SGPR: 2
; COMPUTE_PGM_RSRC2:TRAP_HANDLER: 0
; COMPUTE_PGM_RSRC2:TGID_X_EN: 1
; COMPUTE_PGM_RSRC2:TGID_Y_EN: 0
; COMPUTE_PGM_RSRC2:TGID_Z_EN: 0
; COMPUTE_PGM_RSRC2:TIDIG_COMP_CNT: 0
	.section	.text._ZN7rocprim17ROCPRIM_400000_NS6detail17trampoline_kernelINS0_14default_configENS1_21merge_config_selectorINS0_5tupleIJiiEEENS0_10empty_typeEEEZNS1_10merge_implIS3_NS0_12zip_iteratorINS5_IJN6thrust23THRUST_200600_302600_NS10device_ptrIiEESE_EEEEESG_SG_PS7_SH_SH_NSC_11hip_rocprim7__merge17predicate_wrapperIiiNSC_4lessIiEEEEEE10hipError_tPvRmT0_T1_T2_T3_T4_T5_mmT6_P12ihipStream_tbEUlT_E0_NS1_11comp_targetILNS1_3genE3ELNS1_11target_archE908ELNS1_3gpuE7ELNS1_3repE0EEENS1_30default_config_static_selectorELNS0_4arch9wavefront6targetE0EEEvSS_,"axG",@progbits,_ZN7rocprim17ROCPRIM_400000_NS6detail17trampoline_kernelINS0_14default_configENS1_21merge_config_selectorINS0_5tupleIJiiEEENS0_10empty_typeEEEZNS1_10merge_implIS3_NS0_12zip_iteratorINS5_IJN6thrust23THRUST_200600_302600_NS10device_ptrIiEESE_EEEEESG_SG_PS7_SH_SH_NSC_11hip_rocprim7__merge17predicate_wrapperIiiNSC_4lessIiEEEEEE10hipError_tPvRmT0_T1_T2_T3_T4_T5_mmT6_P12ihipStream_tbEUlT_E0_NS1_11comp_targetILNS1_3genE3ELNS1_11target_archE908ELNS1_3gpuE7ELNS1_3repE0EEENS1_30default_config_static_selectorELNS0_4arch9wavefront6targetE0EEEvSS_,comdat
	.protected	_ZN7rocprim17ROCPRIM_400000_NS6detail17trampoline_kernelINS0_14default_configENS1_21merge_config_selectorINS0_5tupleIJiiEEENS0_10empty_typeEEEZNS1_10merge_implIS3_NS0_12zip_iteratorINS5_IJN6thrust23THRUST_200600_302600_NS10device_ptrIiEESE_EEEEESG_SG_PS7_SH_SH_NSC_11hip_rocprim7__merge17predicate_wrapperIiiNSC_4lessIiEEEEEE10hipError_tPvRmT0_T1_T2_T3_T4_T5_mmT6_P12ihipStream_tbEUlT_E0_NS1_11comp_targetILNS1_3genE3ELNS1_11target_archE908ELNS1_3gpuE7ELNS1_3repE0EEENS1_30default_config_static_selectorELNS0_4arch9wavefront6targetE0EEEvSS_ ; -- Begin function _ZN7rocprim17ROCPRIM_400000_NS6detail17trampoline_kernelINS0_14default_configENS1_21merge_config_selectorINS0_5tupleIJiiEEENS0_10empty_typeEEEZNS1_10merge_implIS3_NS0_12zip_iteratorINS5_IJN6thrust23THRUST_200600_302600_NS10device_ptrIiEESE_EEEEESG_SG_PS7_SH_SH_NSC_11hip_rocprim7__merge17predicate_wrapperIiiNSC_4lessIiEEEEEE10hipError_tPvRmT0_T1_T2_T3_T4_T5_mmT6_P12ihipStream_tbEUlT_E0_NS1_11comp_targetILNS1_3genE3ELNS1_11target_archE908ELNS1_3gpuE7ELNS1_3repE0EEENS1_30default_config_static_selectorELNS0_4arch9wavefront6targetE0EEEvSS_
	.globl	_ZN7rocprim17ROCPRIM_400000_NS6detail17trampoline_kernelINS0_14default_configENS1_21merge_config_selectorINS0_5tupleIJiiEEENS0_10empty_typeEEEZNS1_10merge_implIS3_NS0_12zip_iteratorINS5_IJN6thrust23THRUST_200600_302600_NS10device_ptrIiEESE_EEEEESG_SG_PS7_SH_SH_NSC_11hip_rocprim7__merge17predicate_wrapperIiiNSC_4lessIiEEEEEE10hipError_tPvRmT0_T1_T2_T3_T4_T5_mmT6_P12ihipStream_tbEUlT_E0_NS1_11comp_targetILNS1_3genE3ELNS1_11target_archE908ELNS1_3gpuE7ELNS1_3repE0EEENS1_30default_config_static_selectorELNS0_4arch9wavefront6targetE0EEEvSS_
	.p2align	8
	.type	_ZN7rocprim17ROCPRIM_400000_NS6detail17trampoline_kernelINS0_14default_configENS1_21merge_config_selectorINS0_5tupleIJiiEEENS0_10empty_typeEEEZNS1_10merge_implIS3_NS0_12zip_iteratorINS5_IJN6thrust23THRUST_200600_302600_NS10device_ptrIiEESE_EEEEESG_SG_PS7_SH_SH_NSC_11hip_rocprim7__merge17predicate_wrapperIiiNSC_4lessIiEEEEEE10hipError_tPvRmT0_T1_T2_T3_T4_T5_mmT6_P12ihipStream_tbEUlT_E0_NS1_11comp_targetILNS1_3genE3ELNS1_11target_archE908ELNS1_3gpuE7ELNS1_3repE0EEENS1_30default_config_static_selectorELNS0_4arch9wavefront6targetE0EEEvSS_,@function
_ZN7rocprim17ROCPRIM_400000_NS6detail17trampoline_kernelINS0_14default_configENS1_21merge_config_selectorINS0_5tupleIJiiEEENS0_10empty_typeEEEZNS1_10merge_implIS3_NS0_12zip_iteratorINS5_IJN6thrust23THRUST_200600_302600_NS10device_ptrIiEESE_EEEEESG_SG_PS7_SH_SH_NSC_11hip_rocprim7__merge17predicate_wrapperIiiNSC_4lessIiEEEEEE10hipError_tPvRmT0_T1_T2_T3_T4_T5_mmT6_P12ihipStream_tbEUlT_E0_NS1_11comp_targetILNS1_3genE3ELNS1_11target_archE908ELNS1_3gpuE7ELNS1_3repE0EEENS1_30default_config_static_selectorELNS0_4arch9wavefront6targetE0EEEvSS_: ; @_ZN7rocprim17ROCPRIM_400000_NS6detail17trampoline_kernelINS0_14default_configENS1_21merge_config_selectorINS0_5tupleIJiiEEENS0_10empty_typeEEEZNS1_10merge_implIS3_NS0_12zip_iteratorINS5_IJN6thrust23THRUST_200600_302600_NS10device_ptrIiEESE_EEEEESG_SG_PS7_SH_SH_NSC_11hip_rocprim7__merge17predicate_wrapperIiiNSC_4lessIiEEEEEE10hipError_tPvRmT0_T1_T2_T3_T4_T5_mmT6_P12ihipStream_tbEUlT_E0_NS1_11comp_targetILNS1_3genE3ELNS1_11target_archE908ELNS1_3gpuE7ELNS1_3repE0EEENS1_30default_config_static_selectorELNS0_4arch9wavefront6targetE0EEEvSS_
; %bb.0:
	.section	.rodata,"a",@progbits
	.p2align	6, 0x0
	.amdhsa_kernel _ZN7rocprim17ROCPRIM_400000_NS6detail17trampoline_kernelINS0_14default_configENS1_21merge_config_selectorINS0_5tupleIJiiEEENS0_10empty_typeEEEZNS1_10merge_implIS3_NS0_12zip_iteratorINS5_IJN6thrust23THRUST_200600_302600_NS10device_ptrIiEESE_EEEEESG_SG_PS7_SH_SH_NSC_11hip_rocprim7__merge17predicate_wrapperIiiNSC_4lessIiEEEEEE10hipError_tPvRmT0_T1_T2_T3_T4_T5_mmT6_P12ihipStream_tbEUlT_E0_NS1_11comp_targetILNS1_3genE3ELNS1_11target_archE908ELNS1_3gpuE7ELNS1_3repE0EEENS1_30default_config_static_selectorELNS0_4arch9wavefront6targetE0EEEvSS_
		.amdhsa_group_segment_fixed_size 0
		.amdhsa_private_segment_fixed_size 0
		.amdhsa_kernarg_size 112
		.amdhsa_user_sgpr_count 2
		.amdhsa_user_sgpr_dispatch_ptr 0
		.amdhsa_user_sgpr_queue_ptr 0
		.amdhsa_user_sgpr_kernarg_segment_ptr 1
		.amdhsa_user_sgpr_dispatch_id 0
		.amdhsa_user_sgpr_kernarg_preload_length 0
		.amdhsa_user_sgpr_kernarg_preload_offset 0
		.amdhsa_user_sgpr_private_segment_size 0
		.amdhsa_wavefront_size32 1
		.amdhsa_uses_dynamic_stack 0
		.amdhsa_enable_private_segment 0
		.amdhsa_system_sgpr_workgroup_id_x 1
		.amdhsa_system_sgpr_workgroup_id_y 0
		.amdhsa_system_sgpr_workgroup_id_z 0
		.amdhsa_system_sgpr_workgroup_info 0
		.amdhsa_system_vgpr_workitem_id 0
		.amdhsa_next_free_vgpr 1
		.amdhsa_next_free_sgpr 1
		.amdhsa_named_barrier_count 0
		.amdhsa_reserve_vcc 0
		.amdhsa_float_round_mode_32 0
		.amdhsa_float_round_mode_16_64 0
		.amdhsa_float_denorm_mode_32 3
		.amdhsa_float_denorm_mode_16_64 3
		.amdhsa_fp16_overflow 0
		.amdhsa_memory_ordered 1
		.amdhsa_forward_progress 1
		.amdhsa_inst_pref_size 0
		.amdhsa_round_robin_scheduling 0
		.amdhsa_exception_fp_ieee_invalid_op 0
		.amdhsa_exception_fp_denorm_src 0
		.amdhsa_exception_fp_ieee_div_zero 0
		.amdhsa_exception_fp_ieee_overflow 0
		.amdhsa_exception_fp_ieee_underflow 0
		.amdhsa_exception_fp_ieee_inexact 0
		.amdhsa_exception_int_div_zero 0
	.end_amdhsa_kernel
	.section	.text._ZN7rocprim17ROCPRIM_400000_NS6detail17trampoline_kernelINS0_14default_configENS1_21merge_config_selectorINS0_5tupleIJiiEEENS0_10empty_typeEEEZNS1_10merge_implIS3_NS0_12zip_iteratorINS5_IJN6thrust23THRUST_200600_302600_NS10device_ptrIiEESE_EEEEESG_SG_PS7_SH_SH_NSC_11hip_rocprim7__merge17predicate_wrapperIiiNSC_4lessIiEEEEEE10hipError_tPvRmT0_T1_T2_T3_T4_T5_mmT6_P12ihipStream_tbEUlT_E0_NS1_11comp_targetILNS1_3genE3ELNS1_11target_archE908ELNS1_3gpuE7ELNS1_3repE0EEENS1_30default_config_static_selectorELNS0_4arch9wavefront6targetE0EEEvSS_,"axG",@progbits,_ZN7rocprim17ROCPRIM_400000_NS6detail17trampoline_kernelINS0_14default_configENS1_21merge_config_selectorINS0_5tupleIJiiEEENS0_10empty_typeEEEZNS1_10merge_implIS3_NS0_12zip_iteratorINS5_IJN6thrust23THRUST_200600_302600_NS10device_ptrIiEESE_EEEEESG_SG_PS7_SH_SH_NSC_11hip_rocprim7__merge17predicate_wrapperIiiNSC_4lessIiEEEEEE10hipError_tPvRmT0_T1_T2_T3_T4_T5_mmT6_P12ihipStream_tbEUlT_E0_NS1_11comp_targetILNS1_3genE3ELNS1_11target_archE908ELNS1_3gpuE7ELNS1_3repE0EEENS1_30default_config_static_selectorELNS0_4arch9wavefront6targetE0EEEvSS_,comdat
.Lfunc_end636:
	.size	_ZN7rocprim17ROCPRIM_400000_NS6detail17trampoline_kernelINS0_14default_configENS1_21merge_config_selectorINS0_5tupleIJiiEEENS0_10empty_typeEEEZNS1_10merge_implIS3_NS0_12zip_iteratorINS5_IJN6thrust23THRUST_200600_302600_NS10device_ptrIiEESE_EEEEESG_SG_PS7_SH_SH_NSC_11hip_rocprim7__merge17predicate_wrapperIiiNSC_4lessIiEEEEEE10hipError_tPvRmT0_T1_T2_T3_T4_T5_mmT6_P12ihipStream_tbEUlT_E0_NS1_11comp_targetILNS1_3genE3ELNS1_11target_archE908ELNS1_3gpuE7ELNS1_3repE0EEENS1_30default_config_static_selectorELNS0_4arch9wavefront6targetE0EEEvSS_, .Lfunc_end636-_ZN7rocprim17ROCPRIM_400000_NS6detail17trampoline_kernelINS0_14default_configENS1_21merge_config_selectorINS0_5tupleIJiiEEENS0_10empty_typeEEEZNS1_10merge_implIS3_NS0_12zip_iteratorINS5_IJN6thrust23THRUST_200600_302600_NS10device_ptrIiEESE_EEEEESG_SG_PS7_SH_SH_NSC_11hip_rocprim7__merge17predicate_wrapperIiiNSC_4lessIiEEEEEE10hipError_tPvRmT0_T1_T2_T3_T4_T5_mmT6_P12ihipStream_tbEUlT_E0_NS1_11comp_targetILNS1_3genE3ELNS1_11target_archE908ELNS1_3gpuE7ELNS1_3repE0EEENS1_30default_config_static_selectorELNS0_4arch9wavefront6targetE0EEEvSS_
                                        ; -- End function
	.set _ZN7rocprim17ROCPRIM_400000_NS6detail17trampoline_kernelINS0_14default_configENS1_21merge_config_selectorINS0_5tupleIJiiEEENS0_10empty_typeEEEZNS1_10merge_implIS3_NS0_12zip_iteratorINS5_IJN6thrust23THRUST_200600_302600_NS10device_ptrIiEESE_EEEEESG_SG_PS7_SH_SH_NSC_11hip_rocprim7__merge17predicate_wrapperIiiNSC_4lessIiEEEEEE10hipError_tPvRmT0_T1_T2_T3_T4_T5_mmT6_P12ihipStream_tbEUlT_E0_NS1_11comp_targetILNS1_3genE3ELNS1_11target_archE908ELNS1_3gpuE7ELNS1_3repE0EEENS1_30default_config_static_selectorELNS0_4arch9wavefront6targetE0EEEvSS_.num_vgpr, 0
	.set _ZN7rocprim17ROCPRIM_400000_NS6detail17trampoline_kernelINS0_14default_configENS1_21merge_config_selectorINS0_5tupleIJiiEEENS0_10empty_typeEEEZNS1_10merge_implIS3_NS0_12zip_iteratorINS5_IJN6thrust23THRUST_200600_302600_NS10device_ptrIiEESE_EEEEESG_SG_PS7_SH_SH_NSC_11hip_rocprim7__merge17predicate_wrapperIiiNSC_4lessIiEEEEEE10hipError_tPvRmT0_T1_T2_T3_T4_T5_mmT6_P12ihipStream_tbEUlT_E0_NS1_11comp_targetILNS1_3genE3ELNS1_11target_archE908ELNS1_3gpuE7ELNS1_3repE0EEENS1_30default_config_static_selectorELNS0_4arch9wavefront6targetE0EEEvSS_.num_agpr, 0
	.set _ZN7rocprim17ROCPRIM_400000_NS6detail17trampoline_kernelINS0_14default_configENS1_21merge_config_selectorINS0_5tupleIJiiEEENS0_10empty_typeEEEZNS1_10merge_implIS3_NS0_12zip_iteratorINS5_IJN6thrust23THRUST_200600_302600_NS10device_ptrIiEESE_EEEEESG_SG_PS7_SH_SH_NSC_11hip_rocprim7__merge17predicate_wrapperIiiNSC_4lessIiEEEEEE10hipError_tPvRmT0_T1_T2_T3_T4_T5_mmT6_P12ihipStream_tbEUlT_E0_NS1_11comp_targetILNS1_3genE3ELNS1_11target_archE908ELNS1_3gpuE7ELNS1_3repE0EEENS1_30default_config_static_selectorELNS0_4arch9wavefront6targetE0EEEvSS_.numbered_sgpr, 0
	.set _ZN7rocprim17ROCPRIM_400000_NS6detail17trampoline_kernelINS0_14default_configENS1_21merge_config_selectorINS0_5tupleIJiiEEENS0_10empty_typeEEEZNS1_10merge_implIS3_NS0_12zip_iteratorINS5_IJN6thrust23THRUST_200600_302600_NS10device_ptrIiEESE_EEEEESG_SG_PS7_SH_SH_NSC_11hip_rocprim7__merge17predicate_wrapperIiiNSC_4lessIiEEEEEE10hipError_tPvRmT0_T1_T2_T3_T4_T5_mmT6_P12ihipStream_tbEUlT_E0_NS1_11comp_targetILNS1_3genE3ELNS1_11target_archE908ELNS1_3gpuE7ELNS1_3repE0EEENS1_30default_config_static_selectorELNS0_4arch9wavefront6targetE0EEEvSS_.num_named_barrier, 0
	.set _ZN7rocprim17ROCPRIM_400000_NS6detail17trampoline_kernelINS0_14default_configENS1_21merge_config_selectorINS0_5tupleIJiiEEENS0_10empty_typeEEEZNS1_10merge_implIS3_NS0_12zip_iteratorINS5_IJN6thrust23THRUST_200600_302600_NS10device_ptrIiEESE_EEEEESG_SG_PS7_SH_SH_NSC_11hip_rocprim7__merge17predicate_wrapperIiiNSC_4lessIiEEEEEE10hipError_tPvRmT0_T1_T2_T3_T4_T5_mmT6_P12ihipStream_tbEUlT_E0_NS1_11comp_targetILNS1_3genE3ELNS1_11target_archE908ELNS1_3gpuE7ELNS1_3repE0EEENS1_30default_config_static_selectorELNS0_4arch9wavefront6targetE0EEEvSS_.private_seg_size, 0
	.set _ZN7rocprim17ROCPRIM_400000_NS6detail17trampoline_kernelINS0_14default_configENS1_21merge_config_selectorINS0_5tupleIJiiEEENS0_10empty_typeEEEZNS1_10merge_implIS3_NS0_12zip_iteratorINS5_IJN6thrust23THRUST_200600_302600_NS10device_ptrIiEESE_EEEEESG_SG_PS7_SH_SH_NSC_11hip_rocprim7__merge17predicate_wrapperIiiNSC_4lessIiEEEEEE10hipError_tPvRmT0_T1_T2_T3_T4_T5_mmT6_P12ihipStream_tbEUlT_E0_NS1_11comp_targetILNS1_3genE3ELNS1_11target_archE908ELNS1_3gpuE7ELNS1_3repE0EEENS1_30default_config_static_selectorELNS0_4arch9wavefront6targetE0EEEvSS_.uses_vcc, 0
	.set _ZN7rocprim17ROCPRIM_400000_NS6detail17trampoline_kernelINS0_14default_configENS1_21merge_config_selectorINS0_5tupleIJiiEEENS0_10empty_typeEEEZNS1_10merge_implIS3_NS0_12zip_iteratorINS5_IJN6thrust23THRUST_200600_302600_NS10device_ptrIiEESE_EEEEESG_SG_PS7_SH_SH_NSC_11hip_rocprim7__merge17predicate_wrapperIiiNSC_4lessIiEEEEEE10hipError_tPvRmT0_T1_T2_T3_T4_T5_mmT6_P12ihipStream_tbEUlT_E0_NS1_11comp_targetILNS1_3genE3ELNS1_11target_archE908ELNS1_3gpuE7ELNS1_3repE0EEENS1_30default_config_static_selectorELNS0_4arch9wavefront6targetE0EEEvSS_.uses_flat_scratch, 0
	.set _ZN7rocprim17ROCPRIM_400000_NS6detail17trampoline_kernelINS0_14default_configENS1_21merge_config_selectorINS0_5tupleIJiiEEENS0_10empty_typeEEEZNS1_10merge_implIS3_NS0_12zip_iteratorINS5_IJN6thrust23THRUST_200600_302600_NS10device_ptrIiEESE_EEEEESG_SG_PS7_SH_SH_NSC_11hip_rocprim7__merge17predicate_wrapperIiiNSC_4lessIiEEEEEE10hipError_tPvRmT0_T1_T2_T3_T4_T5_mmT6_P12ihipStream_tbEUlT_E0_NS1_11comp_targetILNS1_3genE3ELNS1_11target_archE908ELNS1_3gpuE7ELNS1_3repE0EEENS1_30default_config_static_selectorELNS0_4arch9wavefront6targetE0EEEvSS_.has_dyn_sized_stack, 0
	.set _ZN7rocprim17ROCPRIM_400000_NS6detail17trampoline_kernelINS0_14default_configENS1_21merge_config_selectorINS0_5tupleIJiiEEENS0_10empty_typeEEEZNS1_10merge_implIS3_NS0_12zip_iteratorINS5_IJN6thrust23THRUST_200600_302600_NS10device_ptrIiEESE_EEEEESG_SG_PS7_SH_SH_NSC_11hip_rocprim7__merge17predicate_wrapperIiiNSC_4lessIiEEEEEE10hipError_tPvRmT0_T1_T2_T3_T4_T5_mmT6_P12ihipStream_tbEUlT_E0_NS1_11comp_targetILNS1_3genE3ELNS1_11target_archE908ELNS1_3gpuE7ELNS1_3repE0EEENS1_30default_config_static_selectorELNS0_4arch9wavefront6targetE0EEEvSS_.has_recursion, 0
	.set _ZN7rocprim17ROCPRIM_400000_NS6detail17trampoline_kernelINS0_14default_configENS1_21merge_config_selectorINS0_5tupleIJiiEEENS0_10empty_typeEEEZNS1_10merge_implIS3_NS0_12zip_iteratorINS5_IJN6thrust23THRUST_200600_302600_NS10device_ptrIiEESE_EEEEESG_SG_PS7_SH_SH_NSC_11hip_rocprim7__merge17predicate_wrapperIiiNSC_4lessIiEEEEEE10hipError_tPvRmT0_T1_T2_T3_T4_T5_mmT6_P12ihipStream_tbEUlT_E0_NS1_11comp_targetILNS1_3genE3ELNS1_11target_archE908ELNS1_3gpuE7ELNS1_3repE0EEENS1_30default_config_static_selectorELNS0_4arch9wavefront6targetE0EEEvSS_.has_indirect_call, 0
	.section	.AMDGPU.csdata,"",@progbits
; Kernel info:
; codeLenInByte = 0
; TotalNumSgprs: 0
; NumVgprs: 0
; ScratchSize: 0
; MemoryBound: 0
; FloatMode: 240
; IeeeMode: 1
; LDSByteSize: 0 bytes/workgroup (compile time only)
; SGPRBlocks: 0
; VGPRBlocks: 0
; NumSGPRsForWavesPerEU: 1
; NumVGPRsForWavesPerEU: 1
; NamedBarCnt: 0
; Occupancy: 16
; WaveLimiterHint : 0
; COMPUTE_PGM_RSRC2:SCRATCH_EN: 0
; COMPUTE_PGM_RSRC2:USER_SGPR: 2
; COMPUTE_PGM_RSRC2:TRAP_HANDLER: 0
; COMPUTE_PGM_RSRC2:TGID_X_EN: 1
; COMPUTE_PGM_RSRC2:TGID_Y_EN: 0
; COMPUTE_PGM_RSRC2:TGID_Z_EN: 0
; COMPUTE_PGM_RSRC2:TIDIG_COMP_CNT: 0
	.section	.text._ZN7rocprim17ROCPRIM_400000_NS6detail17trampoline_kernelINS0_14default_configENS1_21merge_config_selectorINS0_5tupleIJiiEEENS0_10empty_typeEEEZNS1_10merge_implIS3_NS0_12zip_iteratorINS5_IJN6thrust23THRUST_200600_302600_NS10device_ptrIiEESE_EEEEESG_SG_PS7_SH_SH_NSC_11hip_rocprim7__merge17predicate_wrapperIiiNSC_4lessIiEEEEEE10hipError_tPvRmT0_T1_T2_T3_T4_T5_mmT6_P12ihipStream_tbEUlT_E0_NS1_11comp_targetILNS1_3genE2ELNS1_11target_archE906ELNS1_3gpuE6ELNS1_3repE0EEENS1_30default_config_static_selectorELNS0_4arch9wavefront6targetE0EEEvSS_,"axG",@progbits,_ZN7rocprim17ROCPRIM_400000_NS6detail17trampoline_kernelINS0_14default_configENS1_21merge_config_selectorINS0_5tupleIJiiEEENS0_10empty_typeEEEZNS1_10merge_implIS3_NS0_12zip_iteratorINS5_IJN6thrust23THRUST_200600_302600_NS10device_ptrIiEESE_EEEEESG_SG_PS7_SH_SH_NSC_11hip_rocprim7__merge17predicate_wrapperIiiNSC_4lessIiEEEEEE10hipError_tPvRmT0_T1_T2_T3_T4_T5_mmT6_P12ihipStream_tbEUlT_E0_NS1_11comp_targetILNS1_3genE2ELNS1_11target_archE906ELNS1_3gpuE6ELNS1_3repE0EEENS1_30default_config_static_selectorELNS0_4arch9wavefront6targetE0EEEvSS_,comdat
	.protected	_ZN7rocprim17ROCPRIM_400000_NS6detail17trampoline_kernelINS0_14default_configENS1_21merge_config_selectorINS0_5tupleIJiiEEENS0_10empty_typeEEEZNS1_10merge_implIS3_NS0_12zip_iteratorINS5_IJN6thrust23THRUST_200600_302600_NS10device_ptrIiEESE_EEEEESG_SG_PS7_SH_SH_NSC_11hip_rocprim7__merge17predicate_wrapperIiiNSC_4lessIiEEEEEE10hipError_tPvRmT0_T1_T2_T3_T4_T5_mmT6_P12ihipStream_tbEUlT_E0_NS1_11comp_targetILNS1_3genE2ELNS1_11target_archE906ELNS1_3gpuE6ELNS1_3repE0EEENS1_30default_config_static_selectorELNS0_4arch9wavefront6targetE0EEEvSS_ ; -- Begin function _ZN7rocprim17ROCPRIM_400000_NS6detail17trampoline_kernelINS0_14default_configENS1_21merge_config_selectorINS0_5tupleIJiiEEENS0_10empty_typeEEEZNS1_10merge_implIS3_NS0_12zip_iteratorINS5_IJN6thrust23THRUST_200600_302600_NS10device_ptrIiEESE_EEEEESG_SG_PS7_SH_SH_NSC_11hip_rocprim7__merge17predicate_wrapperIiiNSC_4lessIiEEEEEE10hipError_tPvRmT0_T1_T2_T3_T4_T5_mmT6_P12ihipStream_tbEUlT_E0_NS1_11comp_targetILNS1_3genE2ELNS1_11target_archE906ELNS1_3gpuE6ELNS1_3repE0EEENS1_30default_config_static_selectorELNS0_4arch9wavefront6targetE0EEEvSS_
	.globl	_ZN7rocprim17ROCPRIM_400000_NS6detail17trampoline_kernelINS0_14default_configENS1_21merge_config_selectorINS0_5tupleIJiiEEENS0_10empty_typeEEEZNS1_10merge_implIS3_NS0_12zip_iteratorINS5_IJN6thrust23THRUST_200600_302600_NS10device_ptrIiEESE_EEEEESG_SG_PS7_SH_SH_NSC_11hip_rocprim7__merge17predicate_wrapperIiiNSC_4lessIiEEEEEE10hipError_tPvRmT0_T1_T2_T3_T4_T5_mmT6_P12ihipStream_tbEUlT_E0_NS1_11comp_targetILNS1_3genE2ELNS1_11target_archE906ELNS1_3gpuE6ELNS1_3repE0EEENS1_30default_config_static_selectorELNS0_4arch9wavefront6targetE0EEEvSS_
	.p2align	8
	.type	_ZN7rocprim17ROCPRIM_400000_NS6detail17trampoline_kernelINS0_14default_configENS1_21merge_config_selectorINS0_5tupleIJiiEEENS0_10empty_typeEEEZNS1_10merge_implIS3_NS0_12zip_iteratorINS5_IJN6thrust23THRUST_200600_302600_NS10device_ptrIiEESE_EEEEESG_SG_PS7_SH_SH_NSC_11hip_rocprim7__merge17predicate_wrapperIiiNSC_4lessIiEEEEEE10hipError_tPvRmT0_T1_T2_T3_T4_T5_mmT6_P12ihipStream_tbEUlT_E0_NS1_11comp_targetILNS1_3genE2ELNS1_11target_archE906ELNS1_3gpuE6ELNS1_3repE0EEENS1_30default_config_static_selectorELNS0_4arch9wavefront6targetE0EEEvSS_,@function
_ZN7rocprim17ROCPRIM_400000_NS6detail17trampoline_kernelINS0_14default_configENS1_21merge_config_selectorINS0_5tupleIJiiEEENS0_10empty_typeEEEZNS1_10merge_implIS3_NS0_12zip_iteratorINS5_IJN6thrust23THRUST_200600_302600_NS10device_ptrIiEESE_EEEEESG_SG_PS7_SH_SH_NSC_11hip_rocprim7__merge17predicate_wrapperIiiNSC_4lessIiEEEEEE10hipError_tPvRmT0_T1_T2_T3_T4_T5_mmT6_P12ihipStream_tbEUlT_E0_NS1_11comp_targetILNS1_3genE2ELNS1_11target_archE906ELNS1_3gpuE6ELNS1_3repE0EEENS1_30default_config_static_selectorELNS0_4arch9wavefront6targetE0EEEvSS_: ; @_ZN7rocprim17ROCPRIM_400000_NS6detail17trampoline_kernelINS0_14default_configENS1_21merge_config_selectorINS0_5tupleIJiiEEENS0_10empty_typeEEEZNS1_10merge_implIS3_NS0_12zip_iteratorINS5_IJN6thrust23THRUST_200600_302600_NS10device_ptrIiEESE_EEEEESG_SG_PS7_SH_SH_NSC_11hip_rocprim7__merge17predicate_wrapperIiiNSC_4lessIiEEEEEE10hipError_tPvRmT0_T1_T2_T3_T4_T5_mmT6_P12ihipStream_tbEUlT_E0_NS1_11comp_targetILNS1_3genE2ELNS1_11target_archE906ELNS1_3gpuE6ELNS1_3repE0EEENS1_30default_config_static_selectorELNS0_4arch9wavefront6targetE0EEEvSS_
; %bb.0:
	.section	.rodata,"a",@progbits
	.p2align	6, 0x0
	.amdhsa_kernel _ZN7rocprim17ROCPRIM_400000_NS6detail17trampoline_kernelINS0_14default_configENS1_21merge_config_selectorINS0_5tupleIJiiEEENS0_10empty_typeEEEZNS1_10merge_implIS3_NS0_12zip_iteratorINS5_IJN6thrust23THRUST_200600_302600_NS10device_ptrIiEESE_EEEEESG_SG_PS7_SH_SH_NSC_11hip_rocprim7__merge17predicate_wrapperIiiNSC_4lessIiEEEEEE10hipError_tPvRmT0_T1_T2_T3_T4_T5_mmT6_P12ihipStream_tbEUlT_E0_NS1_11comp_targetILNS1_3genE2ELNS1_11target_archE906ELNS1_3gpuE6ELNS1_3repE0EEENS1_30default_config_static_selectorELNS0_4arch9wavefront6targetE0EEEvSS_
		.amdhsa_group_segment_fixed_size 0
		.amdhsa_private_segment_fixed_size 0
		.amdhsa_kernarg_size 112
		.amdhsa_user_sgpr_count 2
		.amdhsa_user_sgpr_dispatch_ptr 0
		.amdhsa_user_sgpr_queue_ptr 0
		.amdhsa_user_sgpr_kernarg_segment_ptr 1
		.amdhsa_user_sgpr_dispatch_id 0
		.amdhsa_user_sgpr_kernarg_preload_length 0
		.amdhsa_user_sgpr_kernarg_preload_offset 0
		.amdhsa_user_sgpr_private_segment_size 0
		.amdhsa_wavefront_size32 1
		.amdhsa_uses_dynamic_stack 0
		.amdhsa_enable_private_segment 0
		.amdhsa_system_sgpr_workgroup_id_x 1
		.amdhsa_system_sgpr_workgroup_id_y 0
		.amdhsa_system_sgpr_workgroup_id_z 0
		.amdhsa_system_sgpr_workgroup_info 0
		.amdhsa_system_vgpr_workitem_id 0
		.amdhsa_next_free_vgpr 1
		.amdhsa_next_free_sgpr 1
		.amdhsa_named_barrier_count 0
		.amdhsa_reserve_vcc 0
		.amdhsa_float_round_mode_32 0
		.amdhsa_float_round_mode_16_64 0
		.amdhsa_float_denorm_mode_32 3
		.amdhsa_float_denorm_mode_16_64 3
		.amdhsa_fp16_overflow 0
		.amdhsa_memory_ordered 1
		.amdhsa_forward_progress 1
		.amdhsa_inst_pref_size 0
		.amdhsa_round_robin_scheduling 0
		.amdhsa_exception_fp_ieee_invalid_op 0
		.amdhsa_exception_fp_denorm_src 0
		.amdhsa_exception_fp_ieee_div_zero 0
		.amdhsa_exception_fp_ieee_overflow 0
		.amdhsa_exception_fp_ieee_underflow 0
		.amdhsa_exception_fp_ieee_inexact 0
		.amdhsa_exception_int_div_zero 0
	.end_amdhsa_kernel
	.section	.text._ZN7rocprim17ROCPRIM_400000_NS6detail17trampoline_kernelINS0_14default_configENS1_21merge_config_selectorINS0_5tupleIJiiEEENS0_10empty_typeEEEZNS1_10merge_implIS3_NS0_12zip_iteratorINS5_IJN6thrust23THRUST_200600_302600_NS10device_ptrIiEESE_EEEEESG_SG_PS7_SH_SH_NSC_11hip_rocprim7__merge17predicate_wrapperIiiNSC_4lessIiEEEEEE10hipError_tPvRmT0_T1_T2_T3_T4_T5_mmT6_P12ihipStream_tbEUlT_E0_NS1_11comp_targetILNS1_3genE2ELNS1_11target_archE906ELNS1_3gpuE6ELNS1_3repE0EEENS1_30default_config_static_selectorELNS0_4arch9wavefront6targetE0EEEvSS_,"axG",@progbits,_ZN7rocprim17ROCPRIM_400000_NS6detail17trampoline_kernelINS0_14default_configENS1_21merge_config_selectorINS0_5tupleIJiiEEENS0_10empty_typeEEEZNS1_10merge_implIS3_NS0_12zip_iteratorINS5_IJN6thrust23THRUST_200600_302600_NS10device_ptrIiEESE_EEEEESG_SG_PS7_SH_SH_NSC_11hip_rocprim7__merge17predicate_wrapperIiiNSC_4lessIiEEEEEE10hipError_tPvRmT0_T1_T2_T3_T4_T5_mmT6_P12ihipStream_tbEUlT_E0_NS1_11comp_targetILNS1_3genE2ELNS1_11target_archE906ELNS1_3gpuE6ELNS1_3repE0EEENS1_30default_config_static_selectorELNS0_4arch9wavefront6targetE0EEEvSS_,comdat
.Lfunc_end637:
	.size	_ZN7rocprim17ROCPRIM_400000_NS6detail17trampoline_kernelINS0_14default_configENS1_21merge_config_selectorINS0_5tupleIJiiEEENS0_10empty_typeEEEZNS1_10merge_implIS3_NS0_12zip_iteratorINS5_IJN6thrust23THRUST_200600_302600_NS10device_ptrIiEESE_EEEEESG_SG_PS7_SH_SH_NSC_11hip_rocprim7__merge17predicate_wrapperIiiNSC_4lessIiEEEEEE10hipError_tPvRmT0_T1_T2_T3_T4_T5_mmT6_P12ihipStream_tbEUlT_E0_NS1_11comp_targetILNS1_3genE2ELNS1_11target_archE906ELNS1_3gpuE6ELNS1_3repE0EEENS1_30default_config_static_selectorELNS0_4arch9wavefront6targetE0EEEvSS_, .Lfunc_end637-_ZN7rocprim17ROCPRIM_400000_NS6detail17trampoline_kernelINS0_14default_configENS1_21merge_config_selectorINS0_5tupleIJiiEEENS0_10empty_typeEEEZNS1_10merge_implIS3_NS0_12zip_iteratorINS5_IJN6thrust23THRUST_200600_302600_NS10device_ptrIiEESE_EEEEESG_SG_PS7_SH_SH_NSC_11hip_rocprim7__merge17predicate_wrapperIiiNSC_4lessIiEEEEEE10hipError_tPvRmT0_T1_T2_T3_T4_T5_mmT6_P12ihipStream_tbEUlT_E0_NS1_11comp_targetILNS1_3genE2ELNS1_11target_archE906ELNS1_3gpuE6ELNS1_3repE0EEENS1_30default_config_static_selectorELNS0_4arch9wavefront6targetE0EEEvSS_
                                        ; -- End function
	.set _ZN7rocprim17ROCPRIM_400000_NS6detail17trampoline_kernelINS0_14default_configENS1_21merge_config_selectorINS0_5tupleIJiiEEENS0_10empty_typeEEEZNS1_10merge_implIS3_NS0_12zip_iteratorINS5_IJN6thrust23THRUST_200600_302600_NS10device_ptrIiEESE_EEEEESG_SG_PS7_SH_SH_NSC_11hip_rocprim7__merge17predicate_wrapperIiiNSC_4lessIiEEEEEE10hipError_tPvRmT0_T1_T2_T3_T4_T5_mmT6_P12ihipStream_tbEUlT_E0_NS1_11comp_targetILNS1_3genE2ELNS1_11target_archE906ELNS1_3gpuE6ELNS1_3repE0EEENS1_30default_config_static_selectorELNS0_4arch9wavefront6targetE0EEEvSS_.num_vgpr, 0
	.set _ZN7rocprim17ROCPRIM_400000_NS6detail17trampoline_kernelINS0_14default_configENS1_21merge_config_selectorINS0_5tupleIJiiEEENS0_10empty_typeEEEZNS1_10merge_implIS3_NS0_12zip_iteratorINS5_IJN6thrust23THRUST_200600_302600_NS10device_ptrIiEESE_EEEEESG_SG_PS7_SH_SH_NSC_11hip_rocprim7__merge17predicate_wrapperIiiNSC_4lessIiEEEEEE10hipError_tPvRmT0_T1_T2_T3_T4_T5_mmT6_P12ihipStream_tbEUlT_E0_NS1_11comp_targetILNS1_3genE2ELNS1_11target_archE906ELNS1_3gpuE6ELNS1_3repE0EEENS1_30default_config_static_selectorELNS0_4arch9wavefront6targetE0EEEvSS_.num_agpr, 0
	.set _ZN7rocprim17ROCPRIM_400000_NS6detail17trampoline_kernelINS0_14default_configENS1_21merge_config_selectorINS0_5tupleIJiiEEENS0_10empty_typeEEEZNS1_10merge_implIS3_NS0_12zip_iteratorINS5_IJN6thrust23THRUST_200600_302600_NS10device_ptrIiEESE_EEEEESG_SG_PS7_SH_SH_NSC_11hip_rocprim7__merge17predicate_wrapperIiiNSC_4lessIiEEEEEE10hipError_tPvRmT0_T1_T2_T3_T4_T5_mmT6_P12ihipStream_tbEUlT_E0_NS1_11comp_targetILNS1_3genE2ELNS1_11target_archE906ELNS1_3gpuE6ELNS1_3repE0EEENS1_30default_config_static_selectorELNS0_4arch9wavefront6targetE0EEEvSS_.numbered_sgpr, 0
	.set _ZN7rocprim17ROCPRIM_400000_NS6detail17trampoline_kernelINS0_14default_configENS1_21merge_config_selectorINS0_5tupleIJiiEEENS0_10empty_typeEEEZNS1_10merge_implIS3_NS0_12zip_iteratorINS5_IJN6thrust23THRUST_200600_302600_NS10device_ptrIiEESE_EEEEESG_SG_PS7_SH_SH_NSC_11hip_rocprim7__merge17predicate_wrapperIiiNSC_4lessIiEEEEEE10hipError_tPvRmT0_T1_T2_T3_T4_T5_mmT6_P12ihipStream_tbEUlT_E0_NS1_11comp_targetILNS1_3genE2ELNS1_11target_archE906ELNS1_3gpuE6ELNS1_3repE0EEENS1_30default_config_static_selectorELNS0_4arch9wavefront6targetE0EEEvSS_.num_named_barrier, 0
	.set _ZN7rocprim17ROCPRIM_400000_NS6detail17trampoline_kernelINS0_14default_configENS1_21merge_config_selectorINS0_5tupleIJiiEEENS0_10empty_typeEEEZNS1_10merge_implIS3_NS0_12zip_iteratorINS5_IJN6thrust23THRUST_200600_302600_NS10device_ptrIiEESE_EEEEESG_SG_PS7_SH_SH_NSC_11hip_rocprim7__merge17predicate_wrapperIiiNSC_4lessIiEEEEEE10hipError_tPvRmT0_T1_T2_T3_T4_T5_mmT6_P12ihipStream_tbEUlT_E0_NS1_11comp_targetILNS1_3genE2ELNS1_11target_archE906ELNS1_3gpuE6ELNS1_3repE0EEENS1_30default_config_static_selectorELNS0_4arch9wavefront6targetE0EEEvSS_.private_seg_size, 0
	.set _ZN7rocprim17ROCPRIM_400000_NS6detail17trampoline_kernelINS0_14default_configENS1_21merge_config_selectorINS0_5tupleIJiiEEENS0_10empty_typeEEEZNS1_10merge_implIS3_NS0_12zip_iteratorINS5_IJN6thrust23THRUST_200600_302600_NS10device_ptrIiEESE_EEEEESG_SG_PS7_SH_SH_NSC_11hip_rocprim7__merge17predicate_wrapperIiiNSC_4lessIiEEEEEE10hipError_tPvRmT0_T1_T2_T3_T4_T5_mmT6_P12ihipStream_tbEUlT_E0_NS1_11comp_targetILNS1_3genE2ELNS1_11target_archE906ELNS1_3gpuE6ELNS1_3repE0EEENS1_30default_config_static_selectorELNS0_4arch9wavefront6targetE0EEEvSS_.uses_vcc, 0
	.set _ZN7rocprim17ROCPRIM_400000_NS6detail17trampoline_kernelINS0_14default_configENS1_21merge_config_selectorINS0_5tupleIJiiEEENS0_10empty_typeEEEZNS1_10merge_implIS3_NS0_12zip_iteratorINS5_IJN6thrust23THRUST_200600_302600_NS10device_ptrIiEESE_EEEEESG_SG_PS7_SH_SH_NSC_11hip_rocprim7__merge17predicate_wrapperIiiNSC_4lessIiEEEEEE10hipError_tPvRmT0_T1_T2_T3_T4_T5_mmT6_P12ihipStream_tbEUlT_E0_NS1_11comp_targetILNS1_3genE2ELNS1_11target_archE906ELNS1_3gpuE6ELNS1_3repE0EEENS1_30default_config_static_selectorELNS0_4arch9wavefront6targetE0EEEvSS_.uses_flat_scratch, 0
	.set _ZN7rocprim17ROCPRIM_400000_NS6detail17trampoline_kernelINS0_14default_configENS1_21merge_config_selectorINS0_5tupleIJiiEEENS0_10empty_typeEEEZNS1_10merge_implIS3_NS0_12zip_iteratorINS5_IJN6thrust23THRUST_200600_302600_NS10device_ptrIiEESE_EEEEESG_SG_PS7_SH_SH_NSC_11hip_rocprim7__merge17predicate_wrapperIiiNSC_4lessIiEEEEEE10hipError_tPvRmT0_T1_T2_T3_T4_T5_mmT6_P12ihipStream_tbEUlT_E0_NS1_11comp_targetILNS1_3genE2ELNS1_11target_archE906ELNS1_3gpuE6ELNS1_3repE0EEENS1_30default_config_static_selectorELNS0_4arch9wavefront6targetE0EEEvSS_.has_dyn_sized_stack, 0
	.set _ZN7rocprim17ROCPRIM_400000_NS6detail17trampoline_kernelINS0_14default_configENS1_21merge_config_selectorINS0_5tupleIJiiEEENS0_10empty_typeEEEZNS1_10merge_implIS3_NS0_12zip_iteratorINS5_IJN6thrust23THRUST_200600_302600_NS10device_ptrIiEESE_EEEEESG_SG_PS7_SH_SH_NSC_11hip_rocprim7__merge17predicate_wrapperIiiNSC_4lessIiEEEEEE10hipError_tPvRmT0_T1_T2_T3_T4_T5_mmT6_P12ihipStream_tbEUlT_E0_NS1_11comp_targetILNS1_3genE2ELNS1_11target_archE906ELNS1_3gpuE6ELNS1_3repE0EEENS1_30default_config_static_selectorELNS0_4arch9wavefront6targetE0EEEvSS_.has_recursion, 0
	.set _ZN7rocprim17ROCPRIM_400000_NS6detail17trampoline_kernelINS0_14default_configENS1_21merge_config_selectorINS0_5tupleIJiiEEENS0_10empty_typeEEEZNS1_10merge_implIS3_NS0_12zip_iteratorINS5_IJN6thrust23THRUST_200600_302600_NS10device_ptrIiEESE_EEEEESG_SG_PS7_SH_SH_NSC_11hip_rocprim7__merge17predicate_wrapperIiiNSC_4lessIiEEEEEE10hipError_tPvRmT0_T1_T2_T3_T4_T5_mmT6_P12ihipStream_tbEUlT_E0_NS1_11comp_targetILNS1_3genE2ELNS1_11target_archE906ELNS1_3gpuE6ELNS1_3repE0EEENS1_30default_config_static_selectorELNS0_4arch9wavefront6targetE0EEEvSS_.has_indirect_call, 0
	.section	.AMDGPU.csdata,"",@progbits
; Kernel info:
; codeLenInByte = 0
; TotalNumSgprs: 0
; NumVgprs: 0
; ScratchSize: 0
; MemoryBound: 0
; FloatMode: 240
; IeeeMode: 1
; LDSByteSize: 0 bytes/workgroup (compile time only)
; SGPRBlocks: 0
; VGPRBlocks: 0
; NumSGPRsForWavesPerEU: 1
; NumVGPRsForWavesPerEU: 1
; NamedBarCnt: 0
; Occupancy: 16
; WaveLimiterHint : 0
; COMPUTE_PGM_RSRC2:SCRATCH_EN: 0
; COMPUTE_PGM_RSRC2:USER_SGPR: 2
; COMPUTE_PGM_RSRC2:TRAP_HANDLER: 0
; COMPUTE_PGM_RSRC2:TGID_X_EN: 1
; COMPUTE_PGM_RSRC2:TGID_Y_EN: 0
; COMPUTE_PGM_RSRC2:TGID_Z_EN: 0
; COMPUTE_PGM_RSRC2:TIDIG_COMP_CNT: 0
	.section	.text._ZN7rocprim17ROCPRIM_400000_NS6detail17trampoline_kernelINS0_14default_configENS1_21merge_config_selectorINS0_5tupleIJiiEEENS0_10empty_typeEEEZNS1_10merge_implIS3_NS0_12zip_iteratorINS5_IJN6thrust23THRUST_200600_302600_NS10device_ptrIiEESE_EEEEESG_SG_PS7_SH_SH_NSC_11hip_rocprim7__merge17predicate_wrapperIiiNSC_4lessIiEEEEEE10hipError_tPvRmT0_T1_T2_T3_T4_T5_mmT6_P12ihipStream_tbEUlT_E0_NS1_11comp_targetILNS1_3genE10ELNS1_11target_archE1201ELNS1_3gpuE5ELNS1_3repE0EEENS1_30default_config_static_selectorELNS0_4arch9wavefront6targetE0EEEvSS_,"axG",@progbits,_ZN7rocprim17ROCPRIM_400000_NS6detail17trampoline_kernelINS0_14default_configENS1_21merge_config_selectorINS0_5tupleIJiiEEENS0_10empty_typeEEEZNS1_10merge_implIS3_NS0_12zip_iteratorINS5_IJN6thrust23THRUST_200600_302600_NS10device_ptrIiEESE_EEEEESG_SG_PS7_SH_SH_NSC_11hip_rocprim7__merge17predicate_wrapperIiiNSC_4lessIiEEEEEE10hipError_tPvRmT0_T1_T2_T3_T4_T5_mmT6_P12ihipStream_tbEUlT_E0_NS1_11comp_targetILNS1_3genE10ELNS1_11target_archE1201ELNS1_3gpuE5ELNS1_3repE0EEENS1_30default_config_static_selectorELNS0_4arch9wavefront6targetE0EEEvSS_,comdat
	.protected	_ZN7rocprim17ROCPRIM_400000_NS6detail17trampoline_kernelINS0_14default_configENS1_21merge_config_selectorINS0_5tupleIJiiEEENS0_10empty_typeEEEZNS1_10merge_implIS3_NS0_12zip_iteratorINS5_IJN6thrust23THRUST_200600_302600_NS10device_ptrIiEESE_EEEEESG_SG_PS7_SH_SH_NSC_11hip_rocprim7__merge17predicate_wrapperIiiNSC_4lessIiEEEEEE10hipError_tPvRmT0_T1_T2_T3_T4_T5_mmT6_P12ihipStream_tbEUlT_E0_NS1_11comp_targetILNS1_3genE10ELNS1_11target_archE1201ELNS1_3gpuE5ELNS1_3repE0EEENS1_30default_config_static_selectorELNS0_4arch9wavefront6targetE0EEEvSS_ ; -- Begin function _ZN7rocprim17ROCPRIM_400000_NS6detail17trampoline_kernelINS0_14default_configENS1_21merge_config_selectorINS0_5tupleIJiiEEENS0_10empty_typeEEEZNS1_10merge_implIS3_NS0_12zip_iteratorINS5_IJN6thrust23THRUST_200600_302600_NS10device_ptrIiEESE_EEEEESG_SG_PS7_SH_SH_NSC_11hip_rocprim7__merge17predicate_wrapperIiiNSC_4lessIiEEEEEE10hipError_tPvRmT0_T1_T2_T3_T4_T5_mmT6_P12ihipStream_tbEUlT_E0_NS1_11comp_targetILNS1_3genE10ELNS1_11target_archE1201ELNS1_3gpuE5ELNS1_3repE0EEENS1_30default_config_static_selectorELNS0_4arch9wavefront6targetE0EEEvSS_
	.globl	_ZN7rocprim17ROCPRIM_400000_NS6detail17trampoline_kernelINS0_14default_configENS1_21merge_config_selectorINS0_5tupleIJiiEEENS0_10empty_typeEEEZNS1_10merge_implIS3_NS0_12zip_iteratorINS5_IJN6thrust23THRUST_200600_302600_NS10device_ptrIiEESE_EEEEESG_SG_PS7_SH_SH_NSC_11hip_rocprim7__merge17predicate_wrapperIiiNSC_4lessIiEEEEEE10hipError_tPvRmT0_T1_T2_T3_T4_T5_mmT6_P12ihipStream_tbEUlT_E0_NS1_11comp_targetILNS1_3genE10ELNS1_11target_archE1201ELNS1_3gpuE5ELNS1_3repE0EEENS1_30default_config_static_selectorELNS0_4arch9wavefront6targetE0EEEvSS_
	.p2align	8
	.type	_ZN7rocprim17ROCPRIM_400000_NS6detail17trampoline_kernelINS0_14default_configENS1_21merge_config_selectorINS0_5tupleIJiiEEENS0_10empty_typeEEEZNS1_10merge_implIS3_NS0_12zip_iteratorINS5_IJN6thrust23THRUST_200600_302600_NS10device_ptrIiEESE_EEEEESG_SG_PS7_SH_SH_NSC_11hip_rocprim7__merge17predicate_wrapperIiiNSC_4lessIiEEEEEE10hipError_tPvRmT0_T1_T2_T3_T4_T5_mmT6_P12ihipStream_tbEUlT_E0_NS1_11comp_targetILNS1_3genE10ELNS1_11target_archE1201ELNS1_3gpuE5ELNS1_3repE0EEENS1_30default_config_static_selectorELNS0_4arch9wavefront6targetE0EEEvSS_,@function
_ZN7rocprim17ROCPRIM_400000_NS6detail17trampoline_kernelINS0_14default_configENS1_21merge_config_selectorINS0_5tupleIJiiEEENS0_10empty_typeEEEZNS1_10merge_implIS3_NS0_12zip_iteratorINS5_IJN6thrust23THRUST_200600_302600_NS10device_ptrIiEESE_EEEEESG_SG_PS7_SH_SH_NSC_11hip_rocprim7__merge17predicate_wrapperIiiNSC_4lessIiEEEEEE10hipError_tPvRmT0_T1_T2_T3_T4_T5_mmT6_P12ihipStream_tbEUlT_E0_NS1_11comp_targetILNS1_3genE10ELNS1_11target_archE1201ELNS1_3gpuE5ELNS1_3repE0EEENS1_30default_config_static_selectorELNS0_4arch9wavefront6targetE0EEEvSS_: ; @_ZN7rocprim17ROCPRIM_400000_NS6detail17trampoline_kernelINS0_14default_configENS1_21merge_config_selectorINS0_5tupleIJiiEEENS0_10empty_typeEEEZNS1_10merge_implIS3_NS0_12zip_iteratorINS5_IJN6thrust23THRUST_200600_302600_NS10device_ptrIiEESE_EEEEESG_SG_PS7_SH_SH_NSC_11hip_rocprim7__merge17predicate_wrapperIiiNSC_4lessIiEEEEEE10hipError_tPvRmT0_T1_T2_T3_T4_T5_mmT6_P12ihipStream_tbEUlT_E0_NS1_11comp_targetILNS1_3genE10ELNS1_11target_archE1201ELNS1_3gpuE5ELNS1_3repE0EEENS1_30default_config_static_selectorELNS0_4arch9wavefront6targetE0EEEvSS_
; %bb.0:
	.section	.rodata,"a",@progbits
	.p2align	6, 0x0
	.amdhsa_kernel _ZN7rocprim17ROCPRIM_400000_NS6detail17trampoline_kernelINS0_14default_configENS1_21merge_config_selectorINS0_5tupleIJiiEEENS0_10empty_typeEEEZNS1_10merge_implIS3_NS0_12zip_iteratorINS5_IJN6thrust23THRUST_200600_302600_NS10device_ptrIiEESE_EEEEESG_SG_PS7_SH_SH_NSC_11hip_rocprim7__merge17predicate_wrapperIiiNSC_4lessIiEEEEEE10hipError_tPvRmT0_T1_T2_T3_T4_T5_mmT6_P12ihipStream_tbEUlT_E0_NS1_11comp_targetILNS1_3genE10ELNS1_11target_archE1201ELNS1_3gpuE5ELNS1_3repE0EEENS1_30default_config_static_selectorELNS0_4arch9wavefront6targetE0EEEvSS_
		.amdhsa_group_segment_fixed_size 0
		.amdhsa_private_segment_fixed_size 0
		.amdhsa_kernarg_size 112
		.amdhsa_user_sgpr_count 2
		.amdhsa_user_sgpr_dispatch_ptr 0
		.amdhsa_user_sgpr_queue_ptr 0
		.amdhsa_user_sgpr_kernarg_segment_ptr 1
		.amdhsa_user_sgpr_dispatch_id 0
		.amdhsa_user_sgpr_kernarg_preload_length 0
		.amdhsa_user_sgpr_kernarg_preload_offset 0
		.amdhsa_user_sgpr_private_segment_size 0
		.amdhsa_wavefront_size32 1
		.amdhsa_uses_dynamic_stack 0
		.amdhsa_enable_private_segment 0
		.amdhsa_system_sgpr_workgroup_id_x 1
		.amdhsa_system_sgpr_workgroup_id_y 0
		.amdhsa_system_sgpr_workgroup_id_z 0
		.amdhsa_system_sgpr_workgroup_info 0
		.amdhsa_system_vgpr_workitem_id 0
		.amdhsa_next_free_vgpr 1
		.amdhsa_next_free_sgpr 1
		.amdhsa_named_barrier_count 0
		.amdhsa_reserve_vcc 0
		.amdhsa_float_round_mode_32 0
		.amdhsa_float_round_mode_16_64 0
		.amdhsa_float_denorm_mode_32 3
		.amdhsa_float_denorm_mode_16_64 3
		.amdhsa_fp16_overflow 0
		.amdhsa_memory_ordered 1
		.amdhsa_forward_progress 1
		.amdhsa_inst_pref_size 0
		.amdhsa_round_robin_scheduling 0
		.amdhsa_exception_fp_ieee_invalid_op 0
		.amdhsa_exception_fp_denorm_src 0
		.amdhsa_exception_fp_ieee_div_zero 0
		.amdhsa_exception_fp_ieee_overflow 0
		.amdhsa_exception_fp_ieee_underflow 0
		.amdhsa_exception_fp_ieee_inexact 0
		.amdhsa_exception_int_div_zero 0
	.end_amdhsa_kernel
	.section	.text._ZN7rocprim17ROCPRIM_400000_NS6detail17trampoline_kernelINS0_14default_configENS1_21merge_config_selectorINS0_5tupleIJiiEEENS0_10empty_typeEEEZNS1_10merge_implIS3_NS0_12zip_iteratorINS5_IJN6thrust23THRUST_200600_302600_NS10device_ptrIiEESE_EEEEESG_SG_PS7_SH_SH_NSC_11hip_rocprim7__merge17predicate_wrapperIiiNSC_4lessIiEEEEEE10hipError_tPvRmT0_T1_T2_T3_T4_T5_mmT6_P12ihipStream_tbEUlT_E0_NS1_11comp_targetILNS1_3genE10ELNS1_11target_archE1201ELNS1_3gpuE5ELNS1_3repE0EEENS1_30default_config_static_selectorELNS0_4arch9wavefront6targetE0EEEvSS_,"axG",@progbits,_ZN7rocprim17ROCPRIM_400000_NS6detail17trampoline_kernelINS0_14default_configENS1_21merge_config_selectorINS0_5tupleIJiiEEENS0_10empty_typeEEEZNS1_10merge_implIS3_NS0_12zip_iteratorINS5_IJN6thrust23THRUST_200600_302600_NS10device_ptrIiEESE_EEEEESG_SG_PS7_SH_SH_NSC_11hip_rocprim7__merge17predicate_wrapperIiiNSC_4lessIiEEEEEE10hipError_tPvRmT0_T1_T2_T3_T4_T5_mmT6_P12ihipStream_tbEUlT_E0_NS1_11comp_targetILNS1_3genE10ELNS1_11target_archE1201ELNS1_3gpuE5ELNS1_3repE0EEENS1_30default_config_static_selectorELNS0_4arch9wavefront6targetE0EEEvSS_,comdat
.Lfunc_end638:
	.size	_ZN7rocprim17ROCPRIM_400000_NS6detail17trampoline_kernelINS0_14default_configENS1_21merge_config_selectorINS0_5tupleIJiiEEENS0_10empty_typeEEEZNS1_10merge_implIS3_NS0_12zip_iteratorINS5_IJN6thrust23THRUST_200600_302600_NS10device_ptrIiEESE_EEEEESG_SG_PS7_SH_SH_NSC_11hip_rocprim7__merge17predicate_wrapperIiiNSC_4lessIiEEEEEE10hipError_tPvRmT0_T1_T2_T3_T4_T5_mmT6_P12ihipStream_tbEUlT_E0_NS1_11comp_targetILNS1_3genE10ELNS1_11target_archE1201ELNS1_3gpuE5ELNS1_3repE0EEENS1_30default_config_static_selectorELNS0_4arch9wavefront6targetE0EEEvSS_, .Lfunc_end638-_ZN7rocprim17ROCPRIM_400000_NS6detail17trampoline_kernelINS0_14default_configENS1_21merge_config_selectorINS0_5tupleIJiiEEENS0_10empty_typeEEEZNS1_10merge_implIS3_NS0_12zip_iteratorINS5_IJN6thrust23THRUST_200600_302600_NS10device_ptrIiEESE_EEEEESG_SG_PS7_SH_SH_NSC_11hip_rocprim7__merge17predicate_wrapperIiiNSC_4lessIiEEEEEE10hipError_tPvRmT0_T1_T2_T3_T4_T5_mmT6_P12ihipStream_tbEUlT_E0_NS1_11comp_targetILNS1_3genE10ELNS1_11target_archE1201ELNS1_3gpuE5ELNS1_3repE0EEENS1_30default_config_static_selectorELNS0_4arch9wavefront6targetE0EEEvSS_
                                        ; -- End function
	.set _ZN7rocprim17ROCPRIM_400000_NS6detail17trampoline_kernelINS0_14default_configENS1_21merge_config_selectorINS0_5tupleIJiiEEENS0_10empty_typeEEEZNS1_10merge_implIS3_NS0_12zip_iteratorINS5_IJN6thrust23THRUST_200600_302600_NS10device_ptrIiEESE_EEEEESG_SG_PS7_SH_SH_NSC_11hip_rocprim7__merge17predicate_wrapperIiiNSC_4lessIiEEEEEE10hipError_tPvRmT0_T1_T2_T3_T4_T5_mmT6_P12ihipStream_tbEUlT_E0_NS1_11comp_targetILNS1_3genE10ELNS1_11target_archE1201ELNS1_3gpuE5ELNS1_3repE0EEENS1_30default_config_static_selectorELNS0_4arch9wavefront6targetE0EEEvSS_.num_vgpr, 0
	.set _ZN7rocprim17ROCPRIM_400000_NS6detail17trampoline_kernelINS0_14default_configENS1_21merge_config_selectorINS0_5tupleIJiiEEENS0_10empty_typeEEEZNS1_10merge_implIS3_NS0_12zip_iteratorINS5_IJN6thrust23THRUST_200600_302600_NS10device_ptrIiEESE_EEEEESG_SG_PS7_SH_SH_NSC_11hip_rocprim7__merge17predicate_wrapperIiiNSC_4lessIiEEEEEE10hipError_tPvRmT0_T1_T2_T3_T4_T5_mmT6_P12ihipStream_tbEUlT_E0_NS1_11comp_targetILNS1_3genE10ELNS1_11target_archE1201ELNS1_3gpuE5ELNS1_3repE0EEENS1_30default_config_static_selectorELNS0_4arch9wavefront6targetE0EEEvSS_.num_agpr, 0
	.set _ZN7rocprim17ROCPRIM_400000_NS6detail17trampoline_kernelINS0_14default_configENS1_21merge_config_selectorINS0_5tupleIJiiEEENS0_10empty_typeEEEZNS1_10merge_implIS3_NS0_12zip_iteratorINS5_IJN6thrust23THRUST_200600_302600_NS10device_ptrIiEESE_EEEEESG_SG_PS7_SH_SH_NSC_11hip_rocprim7__merge17predicate_wrapperIiiNSC_4lessIiEEEEEE10hipError_tPvRmT0_T1_T2_T3_T4_T5_mmT6_P12ihipStream_tbEUlT_E0_NS1_11comp_targetILNS1_3genE10ELNS1_11target_archE1201ELNS1_3gpuE5ELNS1_3repE0EEENS1_30default_config_static_selectorELNS0_4arch9wavefront6targetE0EEEvSS_.numbered_sgpr, 0
	.set _ZN7rocprim17ROCPRIM_400000_NS6detail17trampoline_kernelINS0_14default_configENS1_21merge_config_selectorINS0_5tupleIJiiEEENS0_10empty_typeEEEZNS1_10merge_implIS3_NS0_12zip_iteratorINS5_IJN6thrust23THRUST_200600_302600_NS10device_ptrIiEESE_EEEEESG_SG_PS7_SH_SH_NSC_11hip_rocprim7__merge17predicate_wrapperIiiNSC_4lessIiEEEEEE10hipError_tPvRmT0_T1_T2_T3_T4_T5_mmT6_P12ihipStream_tbEUlT_E0_NS1_11comp_targetILNS1_3genE10ELNS1_11target_archE1201ELNS1_3gpuE5ELNS1_3repE0EEENS1_30default_config_static_selectorELNS0_4arch9wavefront6targetE0EEEvSS_.num_named_barrier, 0
	.set _ZN7rocprim17ROCPRIM_400000_NS6detail17trampoline_kernelINS0_14default_configENS1_21merge_config_selectorINS0_5tupleIJiiEEENS0_10empty_typeEEEZNS1_10merge_implIS3_NS0_12zip_iteratorINS5_IJN6thrust23THRUST_200600_302600_NS10device_ptrIiEESE_EEEEESG_SG_PS7_SH_SH_NSC_11hip_rocprim7__merge17predicate_wrapperIiiNSC_4lessIiEEEEEE10hipError_tPvRmT0_T1_T2_T3_T4_T5_mmT6_P12ihipStream_tbEUlT_E0_NS1_11comp_targetILNS1_3genE10ELNS1_11target_archE1201ELNS1_3gpuE5ELNS1_3repE0EEENS1_30default_config_static_selectorELNS0_4arch9wavefront6targetE0EEEvSS_.private_seg_size, 0
	.set _ZN7rocprim17ROCPRIM_400000_NS6detail17trampoline_kernelINS0_14default_configENS1_21merge_config_selectorINS0_5tupleIJiiEEENS0_10empty_typeEEEZNS1_10merge_implIS3_NS0_12zip_iteratorINS5_IJN6thrust23THRUST_200600_302600_NS10device_ptrIiEESE_EEEEESG_SG_PS7_SH_SH_NSC_11hip_rocprim7__merge17predicate_wrapperIiiNSC_4lessIiEEEEEE10hipError_tPvRmT0_T1_T2_T3_T4_T5_mmT6_P12ihipStream_tbEUlT_E0_NS1_11comp_targetILNS1_3genE10ELNS1_11target_archE1201ELNS1_3gpuE5ELNS1_3repE0EEENS1_30default_config_static_selectorELNS0_4arch9wavefront6targetE0EEEvSS_.uses_vcc, 0
	.set _ZN7rocprim17ROCPRIM_400000_NS6detail17trampoline_kernelINS0_14default_configENS1_21merge_config_selectorINS0_5tupleIJiiEEENS0_10empty_typeEEEZNS1_10merge_implIS3_NS0_12zip_iteratorINS5_IJN6thrust23THRUST_200600_302600_NS10device_ptrIiEESE_EEEEESG_SG_PS7_SH_SH_NSC_11hip_rocprim7__merge17predicate_wrapperIiiNSC_4lessIiEEEEEE10hipError_tPvRmT0_T1_T2_T3_T4_T5_mmT6_P12ihipStream_tbEUlT_E0_NS1_11comp_targetILNS1_3genE10ELNS1_11target_archE1201ELNS1_3gpuE5ELNS1_3repE0EEENS1_30default_config_static_selectorELNS0_4arch9wavefront6targetE0EEEvSS_.uses_flat_scratch, 0
	.set _ZN7rocprim17ROCPRIM_400000_NS6detail17trampoline_kernelINS0_14default_configENS1_21merge_config_selectorINS0_5tupleIJiiEEENS0_10empty_typeEEEZNS1_10merge_implIS3_NS0_12zip_iteratorINS5_IJN6thrust23THRUST_200600_302600_NS10device_ptrIiEESE_EEEEESG_SG_PS7_SH_SH_NSC_11hip_rocprim7__merge17predicate_wrapperIiiNSC_4lessIiEEEEEE10hipError_tPvRmT0_T1_T2_T3_T4_T5_mmT6_P12ihipStream_tbEUlT_E0_NS1_11comp_targetILNS1_3genE10ELNS1_11target_archE1201ELNS1_3gpuE5ELNS1_3repE0EEENS1_30default_config_static_selectorELNS0_4arch9wavefront6targetE0EEEvSS_.has_dyn_sized_stack, 0
	.set _ZN7rocprim17ROCPRIM_400000_NS6detail17trampoline_kernelINS0_14default_configENS1_21merge_config_selectorINS0_5tupleIJiiEEENS0_10empty_typeEEEZNS1_10merge_implIS3_NS0_12zip_iteratorINS5_IJN6thrust23THRUST_200600_302600_NS10device_ptrIiEESE_EEEEESG_SG_PS7_SH_SH_NSC_11hip_rocprim7__merge17predicate_wrapperIiiNSC_4lessIiEEEEEE10hipError_tPvRmT0_T1_T2_T3_T4_T5_mmT6_P12ihipStream_tbEUlT_E0_NS1_11comp_targetILNS1_3genE10ELNS1_11target_archE1201ELNS1_3gpuE5ELNS1_3repE0EEENS1_30default_config_static_selectorELNS0_4arch9wavefront6targetE0EEEvSS_.has_recursion, 0
	.set _ZN7rocprim17ROCPRIM_400000_NS6detail17trampoline_kernelINS0_14default_configENS1_21merge_config_selectorINS0_5tupleIJiiEEENS0_10empty_typeEEEZNS1_10merge_implIS3_NS0_12zip_iteratorINS5_IJN6thrust23THRUST_200600_302600_NS10device_ptrIiEESE_EEEEESG_SG_PS7_SH_SH_NSC_11hip_rocprim7__merge17predicate_wrapperIiiNSC_4lessIiEEEEEE10hipError_tPvRmT0_T1_T2_T3_T4_T5_mmT6_P12ihipStream_tbEUlT_E0_NS1_11comp_targetILNS1_3genE10ELNS1_11target_archE1201ELNS1_3gpuE5ELNS1_3repE0EEENS1_30default_config_static_selectorELNS0_4arch9wavefront6targetE0EEEvSS_.has_indirect_call, 0
	.section	.AMDGPU.csdata,"",@progbits
; Kernel info:
; codeLenInByte = 0
; TotalNumSgprs: 0
; NumVgprs: 0
; ScratchSize: 0
; MemoryBound: 0
; FloatMode: 240
; IeeeMode: 1
; LDSByteSize: 0 bytes/workgroup (compile time only)
; SGPRBlocks: 0
; VGPRBlocks: 0
; NumSGPRsForWavesPerEU: 1
; NumVGPRsForWavesPerEU: 1
; NamedBarCnt: 0
; Occupancy: 16
; WaveLimiterHint : 0
; COMPUTE_PGM_RSRC2:SCRATCH_EN: 0
; COMPUTE_PGM_RSRC2:USER_SGPR: 2
; COMPUTE_PGM_RSRC2:TRAP_HANDLER: 0
; COMPUTE_PGM_RSRC2:TGID_X_EN: 1
; COMPUTE_PGM_RSRC2:TGID_Y_EN: 0
; COMPUTE_PGM_RSRC2:TGID_Z_EN: 0
; COMPUTE_PGM_RSRC2:TIDIG_COMP_CNT: 0
	.section	.text._ZN7rocprim17ROCPRIM_400000_NS6detail17trampoline_kernelINS0_14default_configENS1_21merge_config_selectorINS0_5tupleIJiiEEENS0_10empty_typeEEEZNS1_10merge_implIS3_NS0_12zip_iteratorINS5_IJN6thrust23THRUST_200600_302600_NS10device_ptrIiEESE_EEEEESG_SG_PS7_SH_SH_NSC_11hip_rocprim7__merge17predicate_wrapperIiiNSC_4lessIiEEEEEE10hipError_tPvRmT0_T1_T2_T3_T4_T5_mmT6_P12ihipStream_tbEUlT_E0_NS1_11comp_targetILNS1_3genE10ELNS1_11target_archE1200ELNS1_3gpuE4ELNS1_3repE0EEENS1_30default_config_static_selectorELNS0_4arch9wavefront6targetE0EEEvSS_,"axG",@progbits,_ZN7rocprim17ROCPRIM_400000_NS6detail17trampoline_kernelINS0_14default_configENS1_21merge_config_selectorINS0_5tupleIJiiEEENS0_10empty_typeEEEZNS1_10merge_implIS3_NS0_12zip_iteratorINS5_IJN6thrust23THRUST_200600_302600_NS10device_ptrIiEESE_EEEEESG_SG_PS7_SH_SH_NSC_11hip_rocprim7__merge17predicate_wrapperIiiNSC_4lessIiEEEEEE10hipError_tPvRmT0_T1_T2_T3_T4_T5_mmT6_P12ihipStream_tbEUlT_E0_NS1_11comp_targetILNS1_3genE10ELNS1_11target_archE1200ELNS1_3gpuE4ELNS1_3repE0EEENS1_30default_config_static_selectorELNS0_4arch9wavefront6targetE0EEEvSS_,comdat
	.protected	_ZN7rocprim17ROCPRIM_400000_NS6detail17trampoline_kernelINS0_14default_configENS1_21merge_config_selectorINS0_5tupleIJiiEEENS0_10empty_typeEEEZNS1_10merge_implIS3_NS0_12zip_iteratorINS5_IJN6thrust23THRUST_200600_302600_NS10device_ptrIiEESE_EEEEESG_SG_PS7_SH_SH_NSC_11hip_rocprim7__merge17predicate_wrapperIiiNSC_4lessIiEEEEEE10hipError_tPvRmT0_T1_T2_T3_T4_T5_mmT6_P12ihipStream_tbEUlT_E0_NS1_11comp_targetILNS1_3genE10ELNS1_11target_archE1200ELNS1_3gpuE4ELNS1_3repE0EEENS1_30default_config_static_selectorELNS0_4arch9wavefront6targetE0EEEvSS_ ; -- Begin function _ZN7rocprim17ROCPRIM_400000_NS6detail17trampoline_kernelINS0_14default_configENS1_21merge_config_selectorINS0_5tupleIJiiEEENS0_10empty_typeEEEZNS1_10merge_implIS3_NS0_12zip_iteratorINS5_IJN6thrust23THRUST_200600_302600_NS10device_ptrIiEESE_EEEEESG_SG_PS7_SH_SH_NSC_11hip_rocprim7__merge17predicate_wrapperIiiNSC_4lessIiEEEEEE10hipError_tPvRmT0_T1_T2_T3_T4_T5_mmT6_P12ihipStream_tbEUlT_E0_NS1_11comp_targetILNS1_3genE10ELNS1_11target_archE1200ELNS1_3gpuE4ELNS1_3repE0EEENS1_30default_config_static_selectorELNS0_4arch9wavefront6targetE0EEEvSS_
	.globl	_ZN7rocprim17ROCPRIM_400000_NS6detail17trampoline_kernelINS0_14default_configENS1_21merge_config_selectorINS0_5tupleIJiiEEENS0_10empty_typeEEEZNS1_10merge_implIS3_NS0_12zip_iteratorINS5_IJN6thrust23THRUST_200600_302600_NS10device_ptrIiEESE_EEEEESG_SG_PS7_SH_SH_NSC_11hip_rocprim7__merge17predicate_wrapperIiiNSC_4lessIiEEEEEE10hipError_tPvRmT0_T1_T2_T3_T4_T5_mmT6_P12ihipStream_tbEUlT_E0_NS1_11comp_targetILNS1_3genE10ELNS1_11target_archE1200ELNS1_3gpuE4ELNS1_3repE0EEENS1_30default_config_static_selectorELNS0_4arch9wavefront6targetE0EEEvSS_
	.p2align	8
	.type	_ZN7rocprim17ROCPRIM_400000_NS6detail17trampoline_kernelINS0_14default_configENS1_21merge_config_selectorINS0_5tupleIJiiEEENS0_10empty_typeEEEZNS1_10merge_implIS3_NS0_12zip_iteratorINS5_IJN6thrust23THRUST_200600_302600_NS10device_ptrIiEESE_EEEEESG_SG_PS7_SH_SH_NSC_11hip_rocprim7__merge17predicate_wrapperIiiNSC_4lessIiEEEEEE10hipError_tPvRmT0_T1_T2_T3_T4_T5_mmT6_P12ihipStream_tbEUlT_E0_NS1_11comp_targetILNS1_3genE10ELNS1_11target_archE1200ELNS1_3gpuE4ELNS1_3repE0EEENS1_30default_config_static_selectorELNS0_4arch9wavefront6targetE0EEEvSS_,@function
_ZN7rocprim17ROCPRIM_400000_NS6detail17trampoline_kernelINS0_14default_configENS1_21merge_config_selectorINS0_5tupleIJiiEEENS0_10empty_typeEEEZNS1_10merge_implIS3_NS0_12zip_iteratorINS5_IJN6thrust23THRUST_200600_302600_NS10device_ptrIiEESE_EEEEESG_SG_PS7_SH_SH_NSC_11hip_rocprim7__merge17predicate_wrapperIiiNSC_4lessIiEEEEEE10hipError_tPvRmT0_T1_T2_T3_T4_T5_mmT6_P12ihipStream_tbEUlT_E0_NS1_11comp_targetILNS1_3genE10ELNS1_11target_archE1200ELNS1_3gpuE4ELNS1_3repE0EEENS1_30default_config_static_selectorELNS0_4arch9wavefront6targetE0EEEvSS_: ; @_ZN7rocprim17ROCPRIM_400000_NS6detail17trampoline_kernelINS0_14default_configENS1_21merge_config_selectorINS0_5tupleIJiiEEENS0_10empty_typeEEEZNS1_10merge_implIS3_NS0_12zip_iteratorINS5_IJN6thrust23THRUST_200600_302600_NS10device_ptrIiEESE_EEEEESG_SG_PS7_SH_SH_NSC_11hip_rocprim7__merge17predicate_wrapperIiiNSC_4lessIiEEEEEE10hipError_tPvRmT0_T1_T2_T3_T4_T5_mmT6_P12ihipStream_tbEUlT_E0_NS1_11comp_targetILNS1_3genE10ELNS1_11target_archE1200ELNS1_3gpuE4ELNS1_3repE0EEENS1_30default_config_static_selectorELNS0_4arch9wavefront6targetE0EEEvSS_
; %bb.0:
	.section	.rodata,"a",@progbits
	.p2align	6, 0x0
	.amdhsa_kernel _ZN7rocprim17ROCPRIM_400000_NS6detail17trampoline_kernelINS0_14default_configENS1_21merge_config_selectorINS0_5tupleIJiiEEENS0_10empty_typeEEEZNS1_10merge_implIS3_NS0_12zip_iteratorINS5_IJN6thrust23THRUST_200600_302600_NS10device_ptrIiEESE_EEEEESG_SG_PS7_SH_SH_NSC_11hip_rocprim7__merge17predicate_wrapperIiiNSC_4lessIiEEEEEE10hipError_tPvRmT0_T1_T2_T3_T4_T5_mmT6_P12ihipStream_tbEUlT_E0_NS1_11comp_targetILNS1_3genE10ELNS1_11target_archE1200ELNS1_3gpuE4ELNS1_3repE0EEENS1_30default_config_static_selectorELNS0_4arch9wavefront6targetE0EEEvSS_
		.amdhsa_group_segment_fixed_size 0
		.amdhsa_private_segment_fixed_size 0
		.amdhsa_kernarg_size 112
		.amdhsa_user_sgpr_count 2
		.amdhsa_user_sgpr_dispatch_ptr 0
		.amdhsa_user_sgpr_queue_ptr 0
		.amdhsa_user_sgpr_kernarg_segment_ptr 1
		.amdhsa_user_sgpr_dispatch_id 0
		.amdhsa_user_sgpr_kernarg_preload_length 0
		.amdhsa_user_sgpr_kernarg_preload_offset 0
		.amdhsa_user_sgpr_private_segment_size 0
		.amdhsa_wavefront_size32 1
		.amdhsa_uses_dynamic_stack 0
		.amdhsa_enable_private_segment 0
		.amdhsa_system_sgpr_workgroup_id_x 1
		.amdhsa_system_sgpr_workgroup_id_y 0
		.amdhsa_system_sgpr_workgroup_id_z 0
		.amdhsa_system_sgpr_workgroup_info 0
		.amdhsa_system_vgpr_workitem_id 0
		.amdhsa_next_free_vgpr 1
		.amdhsa_next_free_sgpr 1
		.amdhsa_named_barrier_count 0
		.amdhsa_reserve_vcc 0
		.amdhsa_float_round_mode_32 0
		.amdhsa_float_round_mode_16_64 0
		.amdhsa_float_denorm_mode_32 3
		.amdhsa_float_denorm_mode_16_64 3
		.amdhsa_fp16_overflow 0
		.amdhsa_memory_ordered 1
		.amdhsa_forward_progress 1
		.amdhsa_inst_pref_size 0
		.amdhsa_round_robin_scheduling 0
		.amdhsa_exception_fp_ieee_invalid_op 0
		.amdhsa_exception_fp_denorm_src 0
		.amdhsa_exception_fp_ieee_div_zero 0
		.amdhsa_exception_fp_ieee_overflow 0
		.amdhsa_exception_fp_ieee_underflow 0
		.amdhsa_exception_fp_ieee_inexact 0
		.amdhsa_exception_int_div_zero 0
	.end_amdhsa_kernel
	.section	.text._ZN7rocprim17ROCPRIM_400000_NS6detail17trampoline_kernelINS0_14default_configENS1_21merge_config_selectorINS0_5tupleIJiiEEENS0_10empty_typeEEEZNS1_10merge_implIS3_NS0_12zip_iteratorINS5_IJN6thrust23THRUST_200600_302600_NS10device_ptrIiEESE_EEEEESG_SG_PS7_SH_SH_NSC_11hip_rocprim7__merge17predicate_wrapperIiiNSC_4lessIiEEEEEE10hipError_tPvRmT0_T1_T2_T3_T4_T5_mmT6_P12ihipStream_tbEUlT_E0_NS1_11comp_targetILNS1_3genE10ELNS1_11target_archE1200ELNS1_3gpuE4ELNS1_3repE0EEENS1_30default_config_static_selectorELNS0_4arch9wavefront6targetE0EEEvSS_,"axG",@progbits,_ZN7rocprim17ROCPRIM_400000_NS6detail17trampoline_kernelINS0_14default_configENS1_21merge_config_selectorINS0_5tupleIJiiEEENS0_10empty_typeEEEZNS1_10merge_implIS3_NS0_12zip_iteratorINS5_IJN6thrust23THRUST_200600_302600_NS10device_ptrIiEESE_EEEEESG_SG_PS7_SH_SH_NSC_11hip_rocprim7__merge17predicate_wrapperIiiNSC_4lessIiEEEEEE10hipError_tPvRmT0_T1_T2_T3_T4_T5_mmT6_P12ihipStream_tbEUlT_E0_NS1_11comp_targetILNS1_3genE10ELNS1_11target_archE1200ELNS1_3gpuE4ELNS1_3repE0EEENS1_30default_config_static_selectorELNS0_4arch9wavefront6targetE0EEEvSS_,comdat
.Lfunc_end639:
	.size	_ZN7rocprim17ROCPRIM_400000_NS6detail17trampoline_kernelINS0_14default_configENS1_21merge_config_selectorINS0_5tupleIJiiEEENS0_10empty_typeEEEZNS1_10merge_implIS3_NS0_12zip_iteratorINS5_IJN6thrust23THRUST_200600_302600_NS10device_ptrIiEESE_EEEEESG_SG_PS7_SH_SH_NSC_11hip_rocprim7__merge17predicate_wrapperIiiNSC_4lessIiEEEEEE10hipError_tPvRmT0_T1_T2_T3_T4_T5_mmT6_P12ihipStream_tbEUlT_E0_NS1_11comp_targetILNS1_3genE10ELNS1_11target_archE1200ELNS1_3gpuE4ELNS1_3repE0EEENS1_30default_config_static_selectorELNS0_4arch9wavefront6targetE0EEEvSS_, .Lfunc_end639-_ZN7rocprim17ROCPRIM_400000_NS6detail17trampoline_kernelINS0_14default_configENS1_21merge_config_selectorINS0_5tupleIJiiEEENS0_10empty_typeEEEZNS1_10merge_implIS3_NS0_12zip_iteratorINS5_IJN6thrust23THRUST_200600_302600_NS10device_ptrIiEESE_EEEEESG_SG_PS7_SH_SH_NSC_11hip_rocprim7__merge17predicate_wrapperIiiNSC_4lessIiEEEEEE10hipError_tPvRmT0_T1_T2_T3_T4_T5_mmT6_P12ihipStream_tbEUlT_E0_NS1_11comp_targetILNS1_3genE10ELNS1_11target_archE1200ELNS1_3gpuE4ELNS1_3repE0EEENS1_30default_config_static_selectorELNS0_4arch9wavefront6targetE0EEEvSS_
                                        ; -- End function
	.set _ZN7rocprim17ROCPRIM_400000_NS6detail17trampoline_kernelINS0_14default_configENS1_21merge_config_selectorINS0_5tupleIJiiEEENS0_10empty_typeEEEZNS1_10merge_implIS3_NS0_12zip_iteratorINS5_IJN6thrust23THRUST_200600_302600_NS10device_ptrIiEESE_EEEEESG_SG_PS7_SH_SH_NSC_11hip_rocprim7__merge17predicate_wrapperIiiNSC_4lessIiEEEEEE10hipError_tPvRmT0_T1_T2_T3_T4_T5_mmT6_P12ihipStream_tbEUlT_E0_NS1_11comp_targetILNS1_3genE10ELNS1_11target_archE1200ELNS1_3gpuE4ELNS1_3repE0EEENS1_30default_config_static_selectorELNS0_4arch9wavefront6targetE0EEEvSS_.num_vgpr, 0
	.set _ZN7rocprim17ROCPRIM_400000_NS6detail17trampoline_kernelINS0_14default_configENS1_21merge_config_selectorINS0_5tupleIJiiEEENS0_10empty_typeEEEZNS1_10merge_implIS3_NS0_12zip_iteratorINS5_IJN6thrust23THRUST_200600_302600_NS10device_ptrIiEESE_EEEEESG_SG_PS7_SH_SH_NSC_11hip_rocprim7__merge17predicate_wrapperIiiNSC_4lessIiEEEEEE10hipError_tPvRmT0_T1_T2_T3_T4_T5_mmT6_P12ihipStream_tbEUlT_E0_NS1_11comp_targetILNS1_3genE10ELNS1_11target_archE1200ELNS1_3gpuE4ELNS1_3repE0EEENS1_30default_config_static_selectorELNS0_4arch9wavefront6targetE0EEEvSS_.num_agpr, 0
	.set _ZN7rocprim17ROCPRIM_400000_NS6detail17trampoline_kernelINS0_14default_configENS1_21merge_config_selectorINS0_5tupleIJiiEEENS0_10empty_typeEEEZNS1_10merge_implIS3_NS0_12zip_iteratorINS5_IJN6thrust23THRUST_200600_302600_NS10device_ptrIiEESE_EEEEESG_SG_PS7_SH_SH_NSC_11hip_rocprim7__merge17predicate_wrapperIiiNSC_4lessIiEEEEEE10hipError_tPvRmT0_T1_T2_T3_T4_T5_mmT6_P12ihipStream_tbEUlT_E0_NS1_11comp_targetILNS1_3genE10ELNS1_11target_archE1200ELNS1_3gpuE4ELNS1_3repE0EEENS1_30default_config_static_selectorELNS0_4arch9wavefront6targetE0EEEvSS_.numbered_sgpr, 0
	.set _ZN7rocprim17ROCPRIM_400000_NS6detail17trampoline_kernelINS0_14default_configENS1_21merge_config_selectorINS0_5tupleIJiiEEENS0_10empty_typeEEEZNS1_10merge_implIS3_NS0_12zip_iteratorINS5_IJN6thrust23THRUST_200600_302600_NS10device_ptrIiEESE_EEEEESG_SG_PS7_SH_SH_NSC_11hip_rocprim7__merge17predicate_wrapperIiiNSC_4lessIiEEEEEE10hipError_tPvRmT0_T1_T2_T3_T4_T5_mmT6_P12ihipStream_tbEUlT_E0_NS1_11comp_targetILNS1_3genE10ELNS1_11target_archE1200ELNS1_3gpuE4ELNS1_3repE0EEENS1_30default_config_static_selectorELNS0_4arch9wavefront6targetE0EEEvSS_.num_named_barrier, 0
	.set _ZN7rocprim17ROCPRIM_400000_NS6detail17trampoline_kernelINS0_14default_configENS1_21merge_config_selectorINS0_5tupleIJiiEEENS0_10empty_typeEEEZNS1_10merge_implIS3_NS0_12zip_iteratorINS5_IJN6thrust23THRUST_200600_302600_NS10device_ptrIiEESE_EEEEESG_SG_PS7_SH_SH_NSC_11hip_rocprim7__merge17predicate_wrapperIiiNSC_4lessIiEEEEEE10hipError_tPvRmT0_T1_T2_T3_T4_T5_mmT6_P12ihipStream_tbEUlT_E0_NS1_11comp_targetILNS1_3genE10ELNS1_11target_archE1200ELNS1_3gpuE4ELNS1_3repE0EEENS1_30default_config_static_selectorELNS0_4arch9wavefront6targetE0EEEvSS_.private_seg_size, 0
	.set _ZN7rocprim17ROCPRIM_400000_NS6detail17trampoline_kernelINS0_14default_configENS1_21merge_config_selectorINS0_5tupleIJiiEEENS0_10empty_typeEEEZNS1_10merge_implIS3_NS0_12zip_iteratorINS5_IJN6thrust23THRUST_200600_302600_NS10device_ptrIiEESE_EEEEESG_SG_PS7_SH_SH_NSC_11hip_rocprim7__merge17predicate_wrapperIiiNSC_4lessIiEEEEEE10hipError_tPvRmT0_T1_T2_T3_T4_T5_mmT6_P12ihipStream_tbEUlT_E0_NS1_11comp_targetILNS1_3genE10ELNS1_11target_archE1200ELNS1_3gpuE4ELNS1_3repE0EEENS1_30default_config_static_selectorELNS0_4arch9wavefront6targetE0EEEvSS_.uses_vcc, 0
	.set _ZN7rocprim17ROCPRIM_400000_NS6detail17trampoline_kernelINS0_14default_configENS1_21merge_config_selectorINS0_5tupleIJiiEEENS0_10empty_typeEEEZNS1_10merge_implIS3_NS0_12zip_iteratorINS5_IJN6thrust23THRUST_200600_302600_NS10device_ptrIiEESE_EEEEESG_SG_PS7_SH_SH_NSC_11hip_rocprim7__merge17predicate_wrapperIiiNSC_4lessIiEEEEEE10hipError_tPvRmT0_T1_T2_T3_T4_T5_mmT6_P12ihipStream_tbEUlT_E0_NS1_11comp_targetILNS1_3genE10ELNS1_11target_archE1200ELNS1_3gpuE4ELNS1_3repE0EEENS1_30default_config_static_selectorELNS0_4arch9wavefront6targetE0EEEvSS_.uses_flat_scratch, 0
	.set _ZN7rocprim17ROCPRIM_400000_NS6detail17trampoline_kernelINS0_14default_configENS1_21merge_config_selectorINS0_5tupleIJiiEEENS0_10empty_typeEEEZNS1_10merge_implIS3_NS0_12zip_iteratorINS5_IJN6thrust23THRUST_200600_302600_NS10device_ptrIiEESE_EEEEESG_SG_PS7_SH_SH_NSC_11hip_rocprim7__merge17predicate_wrapperIiiNSC_4lessIiEEEEEE10hipError_tPvRmT0_T1_T2_T3_T4_T5_mmT6_P12ihipStream_tbEUlT_E0_NS1_11comp_targetILNS1_3genE10ELNS1_11target_archE1200ELNS1_3gpuE4ELNS1_3repE0EEENS1_30default_config_static_selectorELNS0_4arch9wavefront6targetE0EEEvSS_.has_dyn_sized_stack, 0
	.set _ZN7rocprim17ROCPRIM_400000_NS6detail17trampoline_kernelINS0_14default_configENS1_21merge_config_selectorINS0_5tupleIJiiEEENS0_10empty_typeEEEZNS1_10merge_implIS3_NS0_12zip_iteratorINS5_IJN6thrust23THRUST_200600_302600_NS10device_ptrIiEESE_EEEEESG_SG_PS7_SH_SH_NSC_11hip_rocprim7__merge17predicate_wrapperIiiNSC_4lessIiEEEEEE10hipError_tPvRmT0_T1_T2_T3_T4_T5_mmT6_P12ihipStream_tbEUlT_E0_NS1_11comp_targetILNS1_3genE10ELNS1_11target_archE1200ELNS1_3gpuE4ELNS1_3repE0EEENS1_30default_config_static_selectorELNS0_4arch9wavefront6targetE0EEEvSS_.has_recursion, 0
	.set _ZN7rocprim17ROCPRIM_400000_NS6detail17trampoline_kernelINS0_14default_configENS1_21merge_config_selectorINS0_5tupleIJiiEEENS0_10empty_typeEEEZNS1_10merge_implIS3_NS0_12zip_iteratorINS5_IJN6thrust23THRUST_200600_302600_NS10device_ptrIiEESE_EEEEESG_SG_PS7_SH_SH_NSC_11hip_rocprim7__merge17predicate_wrapperIiiNSC_4lessIiEEEEEE10hipError_tPvRmT0_T1_T2_T3_T4_T5_mmT6_P12ihipStream_tbEUlT_E0_NS1_11comp_targetILNS1_3genE10ELNS1_11target_archE1200ELNS1_3gpuE4ELNS1_3repE0EEENS1_30default_config_static_selectorELNS0_4arch9wavefront6targetE0EEEvSS_.has_indirect_call, 0
	.section	.AMDGPU.csdata,"",@progbits
; Kernel info:
; codeLenInByte = 0
; TotalNumSgprs: 0
; NumVgprs: 0
; ScratchSize: 0
; MemoryBound: 0
; FloatMode: 240
; IeeeMode: 1
; LDSByteSize: 0 bytes/workgroup (compile time only)
; SGPRBlocks: 0
; VGPRBlocks: 0
; NumSGPRsForWavesPerEU: 1
; NumVGPRsForWavesPerEU: 1
; NamedBarCnt: 0
; Occupancy: 16
; WaveLimiterHint : 0
; COMPUTE_PGM_RSRC2:SCRATCH_EN: 0
; COMPUTE_PGM_RSRC2:USER_SGPR: 2
; COMPUTE_PGM_RSRC2:TRAP_HANDLER: 0
; COMPUTE_PGM_RSRC2:TGID_X_EN: 1
; COMPUTE_PGM_RSRC2:TGID_Y_EN: 0
; COMPUTE_PGM_RSRC2:TGID_Z_EN: 0
; COMPUTE_PGM_RSRC2:TIDIG_COMP_CNT: 0
	.section	.text._ZN7rocprim17ROCPRIM_400000_NS6detail17trampoline_kernelINS0_14default_configENS1_21merge_config_selectorINS0_5tupleIJiiEEENS0_10empty_typeEEEZNS1_10merge_implIS3_NS0_12zip_iteratorINS5_IJN6thrust23THRUST_200600_302600_NS10device_ptrIiEESE_EEEEESG_SG_PS7_SH_SH_NSC_11hip_rocprim7__merge17predicate_wrapperIiiNSC_4lessIiEEEEEE10hipError_tPvRmT0_T1_T2_T3_T4_T5_mmT6_P12ihipStream_tbEUlT_E0_NS1_11comp_targetILNS1_3genE9ELNS1_11target_archE1100ELNS1_3gpuE3ELNS1_3repE0EEENS1_30default_config_static_selectorELNS0_4arch9wavefront6targetE0EEEvSS_,"axG",@progbits,_ZN7rocprim17ROCPRIM_400000_NS6detail17trampoline_kernelINS0_14default_configENS1_21merge_config_selectorINS0_5tupleIJiiEEENS0_10empty_typeEEEZNS1_10merge_implIS3_NS0_12zip_iteratorINS5_IJN6thrust23THRUST_200600_302600_NS10device_ptrIiEESE_EEEEESG_SG_PS7_SH_SH_NSC_11hip_rocprim7__merge17predicate_wrapperIiiNSC_4lessIiEEEEEE10hipError_tPvRmT0_T1_T2_T3_T4_T5_mmT6_P12ihipStream_tbEUlT_E0_NS1_11comp_targetILNS1_3genE9ELNS1_11target_archE1100ELNS1_3gpuE3ELNS1_3repE0EEENS1_30default_config_static_selectorELNS0_4arch9wavefront6targetE0EEEvSS_,comdat
	.protected	_ZN7rocprim17ROCPRIM_400000_NS6detail17trampoline_kernelINS0_14default_configENS1_21merge_config_selectorINS0_5tupleIJiiEEENS0_10empty_typeEEEZNS1_10merge_implIS3_NS0_12zip_iteratorINS5_IJN6thrust23THRUST_200600_302600_NS10device_ptrIiEESE_EEEEESG_SG_PS7_SH_SH_NSC_11hip_rocprim7__merge17predicate_wrapperIiiNSC_4lessIiEEEEEE10hipError_tPvRmT0_T1_T2_T3_T4_T5_mmT6_P12ihipStream_tbEUlT_E0_NS1_11comp_targetILNS1_3genE9ELNS1_11target_archE1100ELNS1_3gpuE3ELNS1_3repE0EEENS1_30default_config_static_selectorELNS0_4arch9wavefront6targetE0EEEvSS_ ; -- Begin function _ZN7rocprim17ROCPRIM_400000_NS6detail17trampoline_kernelINS0_14default_configENS1_21merge_config_selectorINS0_5tupleIJiiEEENS0_10empty_typeEEEZNS1_10merge_implIS3_NS0_12zip_iteratorINS5_IJN6thrust23THRUST_200600_302600_NS10device_ptrIiEESE_EEEEESG_SG_PS7_SH_SH_NSC_11hip_rocprim7__merge17predicate_wrapperIiiNSC_4lessIiEEEEEE10hipError_tPvRmT0_T1_T2_T3_T4_T5_mmT6_P12ihipStream_tbEUlT_E0_NS1_11comp_targetILNS1_3genE9ELNS1_11target_archE1100ELNS1_3gpuE3ELNS1_3repE0EEENS1_30default_config_static_selectorELNS0_4arch9wavefront6targetE0EEEvSS_
	.globl	_ZN7rocprim17ROCPRIM_400000_NS6detail17trampoline_kernelINS0_14default_configENS1_21merge_config_selectorINS0_5tupleIJiiEEENS0_10empty_typeEEEZNS1_10merge_implIS3_NS0_12zip_iteratorINS5_IJN6thrust23THRUST_200600_302600_NS10device_ptrIiEESE_EEEEESG_SG_PS7_SH_SH_NSC_11hip_rocprim7__merge17predicate_wrapperIiiNSC_4lessIiEEEEEE10hipError_tPvRmT0_T1_T2_T3_T4_T5_mmT6_P12ihipStream_tbEUlT_E0_NS1_11comp_targetILNS1_3genE9ELNS1_11target_archE1100ELNS1_3gpuE3ELNS1_3repE0EEENS1_30default_config_static_selectorELNS0_4arch9wavefront6targetE0EEEvSS_
	.p2align	8
	.type	_ZN7rocprim17ROCPRIM_400000_NS6detail17trampoline_kernelINS0_14default_configENS1_21merge_config_selectorINS0_5tupleIJiiEEENS0_10empty_typeEEEZNS1_10merge_implIS3_NS0_12zip_iteratorINS5_IJN6thrust23THRUST_200600_302600_NS10device_ptrIiEESE_EEEEESG_SG_PS7_SH_SH_NSC_11hip_rocprim7__merge17predicate_wrapperIiiNSC_4lessIiEEEEEE10hipError_tPvRmT0_T1_T2_T3_T4_T5_mmT6_P12ihipStream_tbEUlT_E0_NS1_11comp_targetILNS1_3genE9ELNS1_11target_archE1100ELNS1_3gpuE3ELNS1_3repE0EEENS1_30default_config_static_selectorELNS0_4arch9wavefront6targetE0EEEvSS_,@function
_ZN7rocprim17ROCPRIM_400000_NS6detail17trampoline_kernelINS0_14default_configENS1_21merge_config_selectorINS0_5tupleIJiiEEENS0_10empty_typeEEEZNS1_10merge_implIS3_NS0_12zip_iteratorINS5_IJN6thrust23THRUST_200600_302600_NS10device_ptrIiEESE_EEEEESG_SG_PS7_SH_SH_NSC_11hip_rocprim7__merge17predicate_wrapperIiiNSC_4lessIiEEEEEE10hipError_tPvRmT0_T1_T2_T3_T4_T5_mmT6_P12ihipStream_tbEUlT_E0_NS1_11comp_targetILNS1_3genE9ELNS1_11target_archE1100ELNS1_3gpuE3ELNS1_3repE0EEENS1_30default_config_static_selectorELNS0_4arch9wavefront6targetE0EEEvSS_: ; @_ZN7rocprim17ROCPRIM_400000_NS6detail17trampoline_kernelINS0_14default_configENS1_21merge_config_selectorINS0_5tupleIJiiEEENS0_10empty_typeEEEZNS1_10merge_implIS3_NS0_12zip_iteratorINS5_IJN6thrust23THRUST_200600_302600_NS10device_ptrIiEESE_EEEEESG_SG_PS7_SH_SH_NSC_11hip_rocprim7__merge17predicate_wrapperIiiNSC_4lessIiEEEEEE10hipError_tPvRmT0_T1_T2_T3_T4_T5_mmT6_P12ihipStream_tbEUlT_E0_NS1_11comp_targetILNS1_3genE9ELNS1_11target_archE1100ELNS1_3gpuE3ELNS1_3repE0EEENS1_30default_config_static_selectorELNS0_4arch9wavefront6targetE0EEEvSS_
; %bb.0:
	.section	.rodata,"a",@progbits
	.p2align	6, 0x0
	.amdhsa_kernel _ZN7rocprim17ROCPRIM_400000_NS6detail17trampoline_kernelINS0_14default_configENS1_21merge_config_selectorINS0_5tupleIJiiEEENS0_10empty_typeEEEZNS1_10merge_implIS3_NS0_12zip_iteratorINS5_IJN6thrust23THRUST_200600_302600_NS10device_ptrIiEESE_EEEEESG_SG_PS7_SH_SH_NSC_11hip_rocprim7__merge17predicate_wrapperIiiNSC_4lessIiEEEEEE10hipError_tPvRmT0_T1_T2_T3_T4_T5_mmT6_P12ihipStream_tbEUlT_E0_NS1_11comp_targetILNS1_3genE9ELNS1_11target_archE1100ELNS1_3gpuE3ELNS1_3repE0EEENS1_30default_config_static_selectorELNS0_4arch9wavefront6targetE0EEEvSS_
		.amdhsa_group_segment_fixed_size 0
		.amdhsa_private_segment_fixed_size 0
		.amdhsa_kernarg_size 112
		.amdhsa_user_sgpr_count 2
		.amdhsa_user_sgpr_dispatch_ptr 0
		.amdhsa_user_sgpr_queue_ptr 0
		.amdhsa_user_sgpr_kernarg_segment_ptr 1
		.amdhsa_user_sgpr_dispatch_id 0
		.amdhsa_user_sgpr_kernarg_preload_length 0
		.amdhsa_user_sgpr_kernarg_preload_offset 0
		.amdhsa_user_sgpr_private_segment_size 0
		.amdhsa_wavefront_size32 1
		.amdhsa_uses_dynamic_stack 0
		.amdhsa_enable_private_segment 0
		.amdhsa_system_sgpr_workgroup_id_x 1
		.amdhsa_system_sgpr_workgroup_id_y 0
		.amdhsa_system_sgpr_workgroup_id_z 0
		.amdhsa_system_sgpr_workgroup_info 0
		.amdhsa_system_vgpr_workitem_id 0
		.amdhsa_next_free_vgpr 1
		.amdhsa_next_free_sgpr 1
		.amdhsa_named_barrier_count 0
		.amdhsa_reserve_vcc 0
		.amdhsa_float_round_mode_32 0
		.amdhsa_float_round_mode_16_64 0
		.amdhsa_float_denorm_mode_32 3
		.amdhsa_float_denorm_mode_16_64 3
		.amdhsa_fp16_overflow 0
		.amdhsa_memory_ordered 1
		.amdhsa_forward_progress 1
		.amdhsa_inst_pref_size 0
		.amdhsa_round_robin_scheduling 0
		.amdhsa_exception_fp_ieee_invalid_op 0
		.amdhsa_exception_fp_denorm_src 0
		.amdhsa_exception_fp_ieee_div_zero 0
		.amdhsa_exception_fp_ieee_overflow 0
		.amdhsa_exception_fp_ieee_underflow 0
		.amdhsa_exception_fp_ieee_inexact 0
		.amdhsa_exception_int_div_zero 0
	.end_amdhsa_kernel
	.section	.text._ZN7rocprim17ROCPRIM_400000_NS6detail17trampoline_kernelINS0_14default_configENS1_21merge_config_selectorINS0_5tupleIJiiEEENS0_10empty_typeEEEZNS1_10merge_implIS3_NS0_12zip_iteratorINS5_IJN6thrust23THRUST_200600_302600_NS10device_ptrIiEESE_EEEEESG_SG_PS7_SH_SH_NSC_11hip_rocprim7__merge17predicate_wrapperIiiNSC_4lessIiEEEEEE10hipError_tPvRmT0_T1_T2_T3_T4_T5_mmT6_P12ihipStream_tbEUlT_E0_NS1_11comp_targetILNS1_3genE9ELNS1_11target_archE1100ELNS1_3gpuE3ELNS1_3repE0EEENS1_30default_config_static_selectorELNS0_4arch9wavefront6targetE0EEEvSS_,"axG",@progbits,_ZN7rocprim17ROCPRIM_400000_NS6detail17trampoline_kernelINS0_14default_configENS1_21merge_config_selectorINS0_5tupleIJiiEEENS0_10empty_typeEEEZNS1_10merge_implIS3_NS0_12zip_iteratorINS5_IJN6thrust23THRUST_200600_302600_NS10device_ptrIiEESE_EEEEESG_SG_PS7_SH_SH_NSC_11hip_rocprim7__merge17predicate_wrapperIiiNSC_4lessIiEEEEEE10hipError_tPvRmT0_T1_T2_T3_T4_T5_mmT6_P12ihipStream_tbEUlT_E0_NS1_11comp_targetILNS1_3genE9ELNS1_11target_archE1100ELNS1_3gpuE3ELNS1_3repE0EEENS1_30default_config_static_selectorELNS0_4arch9wavefront6targetE0EEEvSS_,comdat
.Lfunc_end640:
	.size	_ZN7rocprim17ROCPRIM_400000_NS6detail17trampoline_kernelINS0_14default_configENS1_21merge_config_selectorINS0_5tupleIJiiEEENS0_10empty_typeEEEZNS1_10merge_implIS3_NS0_12zip_iteratorINS5_IJN6thrust23THRUST_200600_302600_NS10device_ptrIiEESE_EEEEESG_SG_PS7_SH_SH_NSC_11hip_rocprim7__merge17predicate_wrapperIiiNSC_4lessIiEEEEEE10hipError_tPvRmT0_T1_T2_T3_T4_T5_mmT6_P12ihipStream_tbEUlT_E0_NS1_11comp_targetILNS1_3genE9ELNS1_11target_archE1100ELNS1_3gpuE3ELNS1_3repE0EEENS1_30default_config_static_selectorELNS0_4arch9wavefront6targetE0EEEvSS_, .Lfunc_end640-_ZN7rocprim17ROCPRIM_400000_NS6detail17trampoline_kernelINS0_14default_configENS1_21merge_config_selectorINS0_5tupleIJiiEEENS0_10empty_typeEEEZNS1_10merge_implIS3_NS0_12zip_iteratorINS5_IJN6thrust23THRUST_200600_302600_NS10device_ptrIiEESE_EEEEESG_SG_PS7_SH_SH_NSC_11hip_rocprim7__merge17predicate_wrapperIiiNSC_4lessIiEEEEEE10hipError_tPvRmT0_T1_T2_T3_T4_T5_mmT6_P12ihipStream_tbEUlT_E0_NS1_11comp_targetILNS1_3genE9ELNS1_11target_archE1100ELNS1_3gpuE3ELNS1_3repE0EEENS1_30default_config_static_selectorELNS0_4arch9wavefront6targetE0EEEvSS_
                                        ; -- End function
	.set _ZN7rocprim17ROCPRIM_400000_NS6detail17trampoline_kernelINS0_14default_configENS1_21merge_config_selectorINS0_5tupleIJiiEEENS0_10empty_typeEEEZNS1_10merge_implIS3_NS0_12zip_iteratorINS5_IJN6thrust23THRUST_200600_302600_NS10device_ptrIiEESE_EEEEESG_SG_PS7_SH_SH_NSC_11hip_rocprim7__merge17predicate_wrapperIiiNSC_4lessIiEEEEEE10hipError_tPvRmT0_T1_T2_T3_T4_T5_mmT6_P12ihipStream_tbEUlT_E0_NS1_11comp_targetILNS1_3genE9ELNS1_11target_archE1100ELNS1_3gpuE3ELNS1_3repE0EEENS1_30default_config_static_selectorELNS0_4arch9wavefront6targetE0EEEvSS_.num_vgpr, 0
	.set _ZN7rocprim17ROCPRIM_400000_NS6detail17trampoline_kernelINS0_14default_configENS1_21merge_config_selectorINS0_5tupleIJiiEEENS0_10empty_typeEEEZNS1_10merge_implIS3_NS0_12zip_iteratorINS5_IJN6thrust23THRUST_200600_302600_NS10device_ptrIiEESE_EEEEESG_SG_PS7_SH_SH_NSC_11hip_rocprim7__merge17predicate_wrapperIiiNSC_4lessIiEEEEEE10hipError_tPvRmT0_T1_T2_T3_T4_T5_mmT6_P12ihipStream_tbEUlT_E0_NS1_11comp_targetILNS1_3genE9ELNS1_11target_archE1100ELNS1_3gpuE3ELNS1_3repE0EEENS1_30default_config_static_selectorELNS0_4arch9wavefront6targetE0EEEvSS_.num_agpr, 0
	.set _ZN7rocprim17ROCPRIM_400000_NS6detail17trampoline_kernelINS0_14default_configENS1_21merge_config_selectorINS0_5tupleIJiiEEENS0_10empty_typeEEEZNS1_10merge_implIS3_NS0_12zip_iteratorINS5_IJN6thrust23THRUST_200600_302600_NS10device_ptrIiEESE_EEEEESG_SG_PS7_SH_SH_NSC_11hip_rocprim7__merge17predicate_wrapperIiiNSC_4lessIiEEEEEE10hipError_tPvRmT0_T1_T2_T3_T4_T5_mmT6_P12ihipStream_tbEUlT_E0_NS1_11comp_targetILNS1_3genE9ELNS1_11target_archE1100ELNS1_3gpuE3ELNS1_3repE0EEENS1_30default_config_static_selectorELNS0_4arch9wavefront6targetE0EEEvSS_.numbered_sgpr, 0
	.set _ZN7rocprim17ROCPRIM_400000_NS6detail17trampoline_kernelINS0_14default_configENS1_21merge_config_selectorINS0_5tupleIJiiEEENS0_10empty_typeEEEZNS1_10merge_implIS3_NS0_12zip_iteratorINS5_IJN6thrust23THRUST_200600_302600_NS10device_ptrIiEESE_EEEEESG_SG_PS7_SH_SH_NSC_11hip_rocprim7__merge17predicate_wrapperIiiNSC_4lessIiEEEEEE10hipError_tPvRmT0_T1_T2_T3_T4_T5_mmT6_P12ihipStream_tbEUlT_E0_NS1_11comp_targetILNS1_3genE9ELNS1_11target_archE1100ELNS1_3gpuE3ELNS1_3repE0EEENS1_30default_config_static_selectorELNS0_4arch9wavefront6targetE0EEEvSS_.num_named_barrier, 0
	.set _ZN7rocprim17ROCPRIM_400000_NS6detail17trampoline_kernelINS0_14default_configENS1_21merge_config_selectorINS0_5tupleIJiiEEENS0_10empty_typeEEEZNS1_10merge_implIS3_NS0_12zip_iteratorINS5_IJN6thrust23THRUST_200600_302600_NS10device_ptrIiEESE_EEEEESG_SG_PS7_SH_SH_NSC_11hip_rocprim7__merge17predicate_wrapperIiiNSC_4lessIiEEEEEE10hipError_tPvRmT0_T1_T2_T3_T4_T5_mmT6_P12ihipStream_tbEUlT_E0_NS1_11comp_targetILNS1_3genE9ELNS1_11target_archE1100ELNS1_3gpuE3ELNS1_3repE0EEENS1_30default_config_static_selectorELNS0_4arch9wavefront6targetE0EEEvSS_.private_seg_size, 0
	.set _ZN7rocprim17ROCPRIM_400000_NS6detail17trampoline_kernelINS0_14default_configENS1_21merge_config_selectorINS0_5tupleIJiiEEENS0_10empty_typeEEEZNS1_10merge_implIS3_NS0_12zip_iteratorINS5_IJN6thrust23THRUST_200600_302600_NS10device_ptrIiEESE_EEEEESG_SG_PS7_SH_SH_NSC_11hip_rocprim7__merge17predicate_wrapperIiiNSC_4lessIiEEEEEE10hipError_tPvRmT0_T1_T2_T3_T4_T5_mmT6_P12ihipStream_tbEUlT_E0_NS1_11comp_targetILNS1_3genE9ELNS1_11target_archE1100ELNS1_3gpuE3ELNS1_3repE0EEENS1_30default_config_static_selectorELNS0_4arch9wavefront6targetE0EEEvSS_.uses_vcc, 0
	.set _ZN7rocprim17ROCPRIM_400000_NS6detail17trampoline_kernelINS0_14default_configENS1_21merge_config_selectorINS0_5tupleIJiiEEENS0_10empty_typeEEEZNS1_10merge_implIS3_NS0_12zip_iteratorINS5_IJN6thrust23THRUST_200600_302600_NS10device_ptrIiEESE_EEEEESG_SG_PS7_SH_SH_NSC_11hip_rocprim7__merge17predicate_wrapperIiiNSC_4lessIiEEEEEE10hipError_tPvRmT0_T1_T2_T3_T4_T5_mmT6_P12ihipStream_tbEUlT_E0_NS1_11comp_targetILNS1_3genE9ELNS1_11target_archE1100ELNS1_3gpuE3ELNS1_3repE0EEENS1_30default_config_static_selectorELNS0_4arch9wavefront6targetE0EEEvSS_.uses_flat_scratch, 0
	.set _ZN7rocprim17ROCPRIM_400000_NS6detail17trampoline_kernelINS0_14default_configENS1_21merge_config_selectorINS0_5tupleIJiiEEENS0_10empty_typeEEEZNS1_10merge_implIS3_NS0_12zip_iteratorINS5_IJN6thrust23THRUST_200600_302600_NS10device_ptrIiEESE_EEEEESG_SG_PS7_SH_SH_NSC_11hip_rocprim7__merge17predicate_wrapperIiiNSC_4lessIiEEEEEE10hipError_tPvRmT0_T1_T2_T3_T4_T5_mmT6_P12ihipStream_tbEUlT_E0_NS1_11comp_targetILNS1_3genE9ELNS1_11target_archE1100ELNS1_3gpuE3ELNS1_3repE0EEENS1_30default_config_static_selectorELNS0_4arch9wavefront6targetE0EEEvSS_.has_dyn_sized_stack, 0
	.set _ZN7rocprim17ROCPRIM_400000_NS6detail17trampoline_kernelINS0_14default_configENS1_21merge_config_selectorINS0_5tupleIJiiEEENS0_10empty_typeEEEZNS1_10merge_implIS3_NS0_12zip_iteratorINS5_IJN6thrust23THRUST_200600_302600_NS10device_ptrIiEESE_EEEEESG_SG_PS7_SH_SH_NSC_11hip_rocprim7__merge17predicate_wrapperIiiNSC_4lessIiEEEEEE10hipError_tPvRmT0_T1_T2_T3_T4_T5_mmT6_P12ihipStream_tbEUlT_E0_NS1_11comp_targetILNS1_3genE9ELNS1_11target_archE1100ELNS1_3gpuE3ELNS1_3repE0EEENS1_30default_config_static_selectorELNS0_4arch9wavefront6targetE0EEEvSS_.has_recursion, 0
	.set _ZN7rocprim17ROCPRIM_400000_NS6detail17trampoline_kernelINS0_14default_configENS1_21merge_config_selectorINS0_5tupleIJiiEEENS0_10empty_typeEEEZNS1_10merge_implIS3_NS0_12zip_iteratorINS5_IJN6thrust23THRUST_200600_302600_NS10device_ptrIiEESE_EEEEESG_SG_PS7_SH_SH_NSC_11hip_rocprim7__merge17predicate_wrapperIiiNSC_4lessIiEEEEEE10hipError_tPvRmT0_T1_T2_T3_T4_T5_mmT6_P12ihipStream_tbEUlT_E0_NS1_11comp_targetILNS1_3genE9ELNS1_11target_archE1100ELNS1_3gpuE3ELNS1_3repE0EEENS1_30default_config_static_selectorELNS0_4arch9wavefront6targetE0EEEvSS_.has_indirect_call, 0
	.section	.AMDGPU.csdata,"",@progbits
; Kernel info:
; codeLenInByte = 0
; TotalNumSgprs: 0
; NumVgprs: 0
; ScratchSize: 0
; MemoryBound: 0
; FloatMode: 240
; IeeeMode: 1
; LDSByteSize: 0 bytes/workgroup (compile time only)
; SGPRBlocks: 0
; VGPRBlocks: 0
; NumSGPRsForWavesPerEU: 1
; NumVGPRsForWavesPerEU: 1
; NamedBarCnt: 0
; Occupancy: 16
; WaveLimiterHint : 0
; COMPUTE_PGM_RSRC2:SCRATCH_EN: 0
; COMPUTE_PGM_RSRC2:USER_SGPR: 2
; COMPUTE_PGM_RSRC2:TRAP_HANDLER: 0
; COMPUTE_PGM_RSRC2:TGID_X_EN: 1
; COMPUTE_PGM_RSRC2:TGID_Y_EN: 0
; COMPUTE_PGM_RSRC2:TGID_Z_EN: 0
; COMPUTE_PGM_RSRC2:TIDIG_COMP_CNT: 0
	.section	.text._ZN7rocprim17ROCPRIM_400000_NS6detail17trampoline_kernelINS0_14default_configENS1_21merge_config_selectorINS0_5tupleIJiiEEENS0_10empty_typeEEEZNS1_10merge_implIS3_NS0_12zip_iteratorINS5_IJN6thrust23THRUST_200600_302600_NS10device_ptrIiEESE_EEEEESG_SG_PS7_SH_SH_NSC_11hip_rocprim7__merge17predicate_wrapperIiiNSC_4lessIiEEEEEE10hipError_tPvRmT0_T1_T2_T3_T4_T5_mmT6_P12ihipStream_tbEUlT_E0_NS1_11comp_targetILNS1_3genE8ELNS1_11target_archE1030ELNS1_3gpuE2ELNS1_3repE0EEENS1_30default_config_static_selectorELNS0_4arch9wavefront6targetE0EEEvSS_,"axG",@progbits,_ZN7rocprim17ROCPRIM_400000_NS6detail17trampoline_kernelINS0_14default_configENS1_21merge_config_selectorINS0_5tupleIJiiEEENS0_10empty_typeEEEZNS1_10merge_implIS3_NS0_12zip_iteratorINS5_IJN6thrust23THRUST_200600_302600_NS10device_ptrIiEESE_EEEEESG_SG_PS7_SH_SH_NSC_11hip_rocprim7__merge17predicate_wrapperIiiNSC_4lessIiEEEEEE10hipError_tPvRmT0_T1_T2_T3_T4_T5_mmT6_P12ihipStream_tbEUlT_E0_NS1_11comp_targetILNS1_3genE8ELNS1_11target_archE1030ELNS1_3gpuE2ELNS1_3repE0EEENS1_30default_config_static_selectorELNS0_4arch9wavefront6targetE0EEEvSS_,comdat
	.protected	_ZN7rocprim17ROCPRIM_400000_NS6detail17trampoline_kernelINS0_14default_configENS1_21merge_config_selectorINS0_5tupleIJiiEEENS0_10empty_typeEEEZNS1_10merge_implIS3_NS0_12zip_iteratorINS5_IJN6thrust23THRUST_200600_302600_NS10device_ptrIiEESE_EEEEESG_SG_PS7_SH_SH_NSC_11hip_rocprim7__merge17predicate_wrapperIiiNSC_4lessIiEEEEEE10hipError_tPvRmT0_T1_T2_T3_T4_T5_mmT6_P12ihipStream_tbEUlT_E0_NS1_11comp_targetILNS1_3genE8ELNS1_11target_archE1030ELNS1_3gpuE2ELNS1_3repE0EEENS1_30default_config_static_selectorELNS0_4arch9wavefront6targetE0EEEvSS_ ; -- Begin function _ZN7rocprim17ROCPRIM_400000_NS6detail17trampoline_kernelINS0_14default_configENS1_21merge_config_selectorINS0_5tupleIJiiEEENS0_10empty_typeEEEZNS1_10merge_implIS3_NS0_12zip_iteratorINS5_IJN6thrust23THRUST_200600_302600_NS10device_ptrIiEESE_EEEEESG_SG_PS7_SH_SH_NSC_11hip_rocprim7__merge17predicate_wrapperIiiNSC_4lessIiEEEEEE10hipError_tPvRmT0_T1_T2_T3_T4_T5_mmT6_P12ihipStream_tbEUlT_E0_NS1_11comp_targetILNS1_3genE8ELNS1_11target_archE1030ELNS1_3gpuE2ELNS1_3repE0EEENS1_30default_config_static_selectorELNS0_4arch9wavefront6targetE0EEEvSS_
	.globl	_ZN7rocprim17ROCPRIM_400000_NS6detail17trampoline_kernelINS0_14default_configENS1_21merge_config_selectorINS0_5tupleIJiiEEENS0_10empty_typeEEEZNS1_10merge_implIS3_NS0_12zip_iteratorINS5_IJN6thrust23THRUST_200600_302600_NS10device_ptrIiEESE_EEEEESG_SG_PS7_SH_SH_NSC_11hip_rocprim7__merge17predicate_wrapperIiiNSC_4lessIiEEEEEE10hipError_tPvRmT0_T1_T2_T3_T4_T5_mmT6_P12ihipStream_tbEUlT_E0_NS1_11comp_targetILNS1_3genE8ELNS1_11target_archE1030ELNS1_3gpuE2ELNS1_3repE0EEENS1_30default_config_static_selectorELNS0_4arch9wavefront6targetE0EEEvSS_
	.p2align	8
	.type	_ZN7rocprim17ROCPRIM_400000_NS6detail17trampoline_kernelINS0_14default_configENS1_21merge_config_selectorINS0_5tupleIJiiEEENS0_10empty_typeEEEZNS1_10merge_implIS3_NS0_12zip_iteratorINS5_IJN6thrust23THRUST_200600_302600_NS10device_ptrIiEESE_EEEEESG_SG_PS7_SH_SH_NSC_11hip_rocprim7__merge17predicate_wrapperIiiNSC_4lessIiEEEEEE10hipError_tPvRmT0_T1_T2_T3_T4_T5_mmT6_P12ihipStream_tbEUlT_E0_NS1_11comp_targetILNS1_3genE8ELNS1_11target_archE1030ELNS1_3gpuE2ELNS1_3repE0EEENS1_30default_config_static_selectorELNS0_4arch9wavefront6targetE0EEEvSS_,@function
_ZN7rocprim17ROCPRIM_400000_NS6detail17trampoline_kernelINS0_14default_configENS1_21merge_config_selectorINS0_5tupleIJiiEEENS0_10empty_typeEEEZNS1_10merge_implIS3_NS0_12zip_iteratorINS5_IJN6thrust23THRUST_200600_302600_NS10device_ptrIiEESE_EEEEESG_SG_PS7_SH_SH_NSC_11hip_rocprim7__merge17predicate_wrapperIiiNSC_4lessIiEEEEEE10hipError_tPvRmT0_T1_T2_T3_T4_T5_mmT6_P12ihipStream_tbEUlT_E0_NS1_11comp_targetILNS1_3genE8ELNS1_11target_archE1030ELNS1_3gpuE2ELNS1_3repE0EEENS1_30default_config_static_selectorELNS0_4arch9wavefront6targetE0EEEvSS_: ; @_ZN7rocprim17ROCPRIM_400000_NS6detail17trampoline_kernelINS0_14default_configENS1_21merge_config_selectorINS0_5tupleIJiiEEENS0_10empty_typeEEEZNS1_10merge_implIS3_NS0_12zip_iteratorINS5_IJN6thrust23THRUST_200600_302600_NS10device_ptrIiEESE_EEEEESG_SG_PS7_SH_SH_NSC_11hip_rocprim7__merge17predicate_wrapperIiiNSC_4lessIiEEEEEE10hipError_tPvRmT0_T1_T2_T3_T4_T5_mmT6_P12ihipStream_tbEUlT_E0_NS1_11comp_targetILNS1_3genE8ELNS1_11target_archE1030ELNS1_3gpuE2ELNS1_3repE0EEENS1_30default_config_static_selectorELNS0_4arch9wavefront6targetE0EEEvSS_
; %bb.0:
	.section	.rodata,"a",@progbits
	.p2align	6, 0x0
	.amdhsa_kernel _ZN7rocprim17ROCPRIM_400000_NS6detail17trampoline_kernelINS0_14default_configENS1_21merge_config_selectorINS0_5tupleIJiiEEENS0_10empty_typeEEEZNS1_10merge_implIS3_NS0_12zip_iteratorINS5_IJN6thrust23THRUST_200600_302600_NS10device_ptrIiEESE_EEEEESG_SG_PS7_SH_SH_NSC_11hip_rocprim7__merge17predicate_wrapperIiiNSC_4lessIiEEEEEE10hipError_tPvRmT0_T1_T2_T3_T4_T5_mmT6_P12ihipStream_tbEUlT_E0_NS1_11comp_targetILNS1_3genE8ELNS1_11target_archE1030ELNS1_3gpuE2ELNS1_3repE0EEENS1_30default_config_static_selectorELNS0_4arch9wavefront6targetE0EEEvSS_
		.amdhsa_group_segment_fixed_size 0
		.amdhsa_private_segment_fixed_size 0
		.amdhsa_kernarg_size 112
		.amdhsa_user_sgpr_count 2
		.amdhsa_user_sgpr_dispatch_ptr 0
		.amdhsa_user_sgpr_queue_ptr 0
		.amdhsa_user_sgpr_kernarg_segment_ptr 1
		.amdhsa_user_sgpr_dispatch_id 0
		.amdhsa_user_sgpr_kernarg_preload_length 0
		.amdhsa_user_sgpr_kernarg_preload_offset 0
		.amdhsa_user_sgpr_private_segment_size 0
		.amdhsa_wavefront_size32 1
		.amdhsa_uses_dynamic_stack 0
		.amdhsa_enable_private_segment 0
		.amdhsa_system_sgpr_workgroup_id_x 1
		.amdhsa_system_sgpr_workgroup_id_y 0
		.amdhsa_system_sgpr_workgroup_id_z 0
		.amdhsa_system_sgpr_workgroup_info 0
		.amdhsa_system_vgpr_workitem_id 0
		.amdhsa_next_free_vgpr 1
		.amdhsa_next_free_sgpr 1
		.amdhsa_named_barrier_count 0
		.amdhsa_reserve_vcc 0
		.amdhsa_float_round_mode_32 0
		.amdhsa_float_round_mode_16_64 0
		.amdhsa_float_denorm_mode_32 3
		.amdhsa_float_denorm_mode_16_64 3
		.amdhsa_fp16_overflow 0
		.amdhsa_memory_ordered 1
		.amdhsa_forward_progress 1
		.amdhsa_inst_pref_size 0
		.amdhsa_round_robin_scheduling 0
		.amdhsa_exception_fp_ieee_invalid_op 0
		.amdhsa_exception_fp_denorm_src 0
		.amdhsa_exception_fp_ieee_div_zero 0
		.amdhsa_exception_fp_ieee_overflow 0
		.amdhsa_exception_fp_ieee_underflow 0
		.amdhsa_exception_fp_ieee_inexact 0
		.amdhsa_exception_int_div_zero 0
	.end_amdhsa_kernel
	.section	.text._ZN7rocprim17ROCPRIM_400000_NS6detail17trampoline_kernelINS0_14default_configENS1_21merge_config_selectorINS0_5tupleIJiiEEENS0_10empty_typeEEEZNS1_10merge_implIS3_NS0_12zip_iteratorINS5_IJN6thrust23THRUST_200600_302600_NS10device_ptrIiEESE_EEEEESG_SG_PS7_SH_SH_NSC_11hip_rocprim7__merge17predicate_wrapperIiiNSC_4lessIiEEEEEE10hipError_tPvRmT0_T1_T2_T3_T4_T5_mmT6_P12ihipStream_tbEUlT_E0_NS1_11comp_targetILNS1_3genE8ELNS1_11target_archE1030ELNS1_3gpuE2ELNS1_3repE0EEENS1_30default_config_static_selectorELNS0_4arch9wavefront6targetE0EEEvSS_,"axG",@progbits,_ZN7rocprim17ROCPRIM_400000_NS6detail17trampoline_kernelINS0_14default_configENS1_21merge_config_selectorINS0_5tupleIJiiEEENS0_10empty_typeEEEZNS1_10merge_implIS3_NS0_12zip_iteratorINS5_IJN6thrust23THRUST_200600_302600_NS10device_ptrIiEESE_EEEEESG_SG_PS7_SH_SH_NSC_11hip_rocprim7__merge17predicate_wrapperIiiNSC_4lessIiEEEEEE10hipError_tPvRmT0_T1_T2_T3_T4_T5_mmT6_P12ihipStream_tbEUlT_E0_NS1_11comp_targetILNS1_3genE8ELNS1_11target_archE1030ELNS1_3gpuE2ELNS1_3repE0EEENS1_30default_config_static_selectorELNS0_4arch9wavefront6targetE0EEEvSS_,comdat
.Lfunc_end641:
	.size	_ZN7rocprim17ROCPRIM_400000_NS6detail17trampoline_kernelINS0_14default_configENS1_21merge_config_selectorINS0_5tupleIJiiEEENS0_10empty_typeEEEZNS1_10merge_implIS3_NS0_12zip_iteratorINS5_IJN6thrust23THRUST_200600_302600_NS10device_ptrIiEESE_EEEEESG_SG_PS7_SH_SH_NSC_11hip_rocprim7__merge17predicate_wrapperIiiNSC_4lessIiEEEEEE10hipError_tPvRmT0_T1_T2_T3_T4_T5_mmT6_P12ihipStream_tbEUlT_E0_NS1_11comp_targetILNS1_3genE8ELNS1_11target_archE1030ELNS1_3gpuE2ELNS1_3repE0EEENS1_30default_config_static_selectorELNS0_4arch9wavefront6targetE0EEEvSS_, .Lfunc_end641-_ZN7rocprim17ROCPRIM_400000_NS6detail17trampoline_kernelINS0_14default_configENS1_21merge_config_selectorINS0_5tupleIJiiEEENS0_10empty_typeEEEZNS1_10merge_implIS3_NS0_12zip_iteratorINS5_IJN6thrust23THRUST_200600_302600_NS10device_ptrIiEESE_EEEEESG_SG_PS7_SH_SH_NSC_11hip_rocprim7__merge17predicate_wrapperIiiNSC_4lessIiEEEEEE10hipError_tPvRmT0_T1_T2_T3_T4_T5_mmT6_P12ihipStream_tbEUlT_E0_NS1_11comp_targetILNS1_3genE8ELNS1_11target_archE1030ELNS1_3gpuE2ELNS1_3repE0EEENS1_30default_config_static_selectorELNS0_4arch9wavefront6targetE0EEEvSS_
                                        ; -- End function
	.set _ZN7rocprim17ROCPRIM_400000_NS6detail17trampoline_kernelINS0_14default_configENS1_21merge_config_selectorINS0_5tupleIJiiEEENS0_10empty_typeEEEZNS1_10merge_implIS3_NS0_12zip_iteratorINS5_IJN6thrust23THRUST_200600_302600_NS10device_ptrIiEESE_EEEEESG_SG_PS7_SH_SH_NSC_11hip_rocprim7__merge17predicate_wrapperIiiNSC_4lessIiEEEEEE10hipError_tPvRmT0_T1_T2_T3_T4_T5_mmT6_P12ihipStream_tbEUlT_E0_NS1_11comp_targetILNS1_3genE8ELNS1_11target_archE1030ELNS1_3gpuE2ELNS1_3repE0EEENS1_30default_config_static_selectorELNS0_4arch9wavefront6targetE0EEEvSS_.num_vgpr, 0
	.set _ZN7rocprim17ROCPRIM_400000_NS6detail17trampoline_kernelINS0_14default_configENS1_21merge_config_selectorINS0_5tupleIJiiEEENS0_10empty_typeEEEZNS1_10merge_implIS3_NS0_12zip_iteratorINS5_IJN6thrust23THRUST_200600_302600_NS10device_ptrIiEESE_EEEEESG_SG_PS7_SH_SH_NSC_11hip_rocprim7__merge17predicate_wrapperIiiNSC_4lessIiEEEEEE10hipError_tPvRmT0_T1_T2_T3_T4_T5_mmT6_P12ihipStream_tbEUlT_E0_NS1_11comp_targetILNS1_3genE8ELNS1_11target_archE1030ELNS1_3gpuE2ELNS1_3repE0EEENS1_30default_config_static_selectorELNS0_4arch9wavefront6targetE0EEEvSS_.num_agpr, 0
	.set _ZN7rocprim17ROCPRIM_400000_NS6detail17trampoline_kernelINS0_14default_configENS1_21merge_config_selectorINS0_5tupleIJiiEEENS0_10empty_typeEEEZNS1_10merge_implIS3_NS0_12zip_iteratorINS5_IJN6thrust23THRUST_200600_302600_NS10device_ptrIiEESE_EEEEESG_SG_PS7_SH_SH_NSC_11hip_rocprim7__merge17predicate_wrapperIiiNSC_4lessIiEEEEEE10hipError_tPvRmT0_T1_T2_T3_T4_T5_mmT6_P12ihipStream_tbEUlT_E0_NS1_11comp_targetILNS1_3genE8ELNS1_11target_archE1030ELNS1_3gpuE2ELNS1_3repE0EEENS1_30default_config_static_selectorELNS0_4arch9wavefront6targetE0EEEvSS_.numbered_sgpr, 0
	.set _ZN7rocprim17ROCPRIM_400000_NS6detail17trampoline_kernelINS0_14default_configENS1_21merge_config_selectorINS0_5tupleIJiiEEENS0_10empty_typeEEEZNS1_10merge_implIS3_NS0_12zip_iteratorINS5_IJN6thrust23THRUST_200600_302600_NS10device_ptrIiEESE_EEEEESG_SG_PS7_SH_SH_NSC_11hip_rocprim7__merge17predicate_wrapperIiiNSC_4lessIiEEEEEE10hipError_tPvRmT0_T1_T2_T3_T4_T5_mmT6_P12ihipStream_tbEUlT_E0_NS1_11comp_targetILNS1_3genE8ELNS1_11target_archE1030ELNS1_3gpuE2ELNS1_3repE0EEENS1_30default_config_static_selectorELNS0_4arch9wavefront6targetE0EEEvSS_.num_named_barrier, 0
	.set _ZN7rocprim17ROCPRIM_400000_NS6detail17trampoline_kernelINS0_14default_configENS1_21merge_config_selectorINS0_5tupleIJiiEEENS0_10empty_typeEEEZNS1_10merge_implIS3_NS0_12zip_iteratorINS5_IJN6thrust23THRUST_200600_302600_NS10device_ptrIiEESE_EEEEESG_SG_PS7_SH_SH_NSC_11hip_rocprim7__merge17predicate_wrapperIiiNSC_4lessIiEEEEEE10hipError_tPvRmT0_T1_T2_T3_T4_T5_mmT6_P12ihipStream_tbEUlT_E0_NS1_11comp_targetILNS1_3genE8ELNS1_11target_archE1030ELNS1_3gpuE2ELNS1_3repE0EEENS1_30default_config_static_selectorELNS0_4arch9wavefront6targetE0EEEvSS_.private_seg_size, 0
	.set _ZN7rocprim17ROCPRIM_400000_NS6detail17trampoline_kernelINS0_14default_configENS1_21merge_config_selectorINS0_5tupleIJiiEEENS0_10empty_typeEEEZNS1_10merge_implIS3_NS0_12zip_iteratorINS5_IJN6thrust23THRUST_200600_302600_NS10device_ptrIiEESE_EEEEESG_SG_PS7_SH_SH_NSC_11hip_rocprim7__merge17predicate_wrapperIiiNSC_4lessIiEEEEEE10hipError_tPvRmT0_T1_T2_T3_T4_T5_mmT6_P12ihipStream_tbEUlT_E0_NS1_11comp_targetILNS1_3genE8ELNS1_11target_archE1030ELNS1_3gpuE2ELNS1_3repE0EEENS1_30default_config_static_selectorELNS0_4arch9wavefront6targetE0EEEvSS_.uses_vcc, 0
	.set _ZN7rocprim17ROCPRIM_400000_NS6detail17trampoline_kernelINS0_14default_configENS1_21merge_config_selectorINS0_5tupleIJiiEEENS0_10empty_typeEEEZNS1_10merge_implIS3_NS0_12zip_iteratorINS5_IJN6thrust23THRUST_200600_302600_NS10device_ptrIiEESE_EEEEESG_SG_PS7_SH_SH_NSC_11hip_rocprim7__merge17predicate_wrapperIiiNSC_4lessIiEEEEEE10hipError_tPvRmT0_T1_T2_T3_T4_T5_mmT6_P12ihipStream_tbEUlT_E0_NS1_11comp_targetILNS1_3genE8ELNS1_11target_archE1030ELNS1_3gpuE2ELNS1_3repE0EEENS1_30default_config_static_selectorELNS0_4arch9wavefront6targetE0EEEvSS_.uses_flat_scratch, 0
	.set _ZN7rocprim17ROCPRIM_400000_NS6detail17trampoline_kernelINS0_14default_configENS1_21merge_config_selectorINS0_5tupleIJiiEEENS0_10empty_typeEEEZNS1_10merge_implIS3_NS0_12zip_iteratorINS5_IJN6thrust23THRUST_200600_302600_NS10device_ptrIiEESE_EEEEESG_SG_PS7_SH_SH_NSC_11hip_rocprim7__merge17predicate_wrapperIiiNSC_4lessIiEEEEEE10hipError_tPvRmT0_T1_T2_T3_T4_T5_mmT6_P12ihipStream_tbEUlT_E0_NS1_11comp_targetILNS1_3genE8ELNS1_11target_archE1030ELNS1_3gpuE2ELNS1_3repE0EEENS1_30default_config_static_selectorELNS0_4arch9wavefront6targetE0EEEvSS_.has_dyn_sized_stack, 0
	.set _ZN7rocprim17ROCPRIM_400000_NS6detail17trampoline_kernelINS0_14default_configENS1_21merge_config_selectorINS0_5tupleIJiiEEENS0_10empty_typeEEEZNS1_10merge_implIS3_NS0_12zip_iteratorINS5_IJN6thrust23THRUST_200600_302600_NS10device_ptrIiEESE_EEEEESG_SG_PS7_SH_SH_NSC_11hip_rocprim7__merge17predicate_wrapperIiiNSC_4lessIiEEEEEE10hipError_tPvRmT0_T1_T2_T3_T4_T5_mmT6_P12ihipStream_tbEUlT_E0_NS1_11comp_targetILNS1_3genE8ELNS1_11target_archE1030ELNS1_3gpuE2ELNS1_3repE0EEENS1_30default_config_static_selectorELNS0_4arch9wavefront6targetE0EEEvSS_.has_recursion, 0
	.set _ZN7rocprim17ROCPRIM_400000_NS6detail17trampoline_kernelINS0_14default_configENS1_21merge_config_selectorINS0_5tupleIJiiEEENS0_10empty_typeEEEZNS1_10merge_implIS3_NS0_12zip_iteratorINS5_IJN6thrust23THRUST_200600_302600_NS10device_ptrIiEESE_EEEEESG_SG_PS7_SH_SH_NSC_11hip_rocprim7__merge17predicate_wrapperIiiNSC_4lessIiEEEEEE10hipError_tPvRmT0_T1_T2_T3_T4_T5_mmT6_P12ihipStream_tbEUlT_E0_NS1_11comp_targetILNS1_3genE8ELNS1_11target_archE1030ELNS1_3gpuE2ELNS1_3repE0EEENS1_30default_config_static_selectorELNS0_4arch9wavefront6targetE0EEEvSS_.has_indirect_call, 0
	.section	.AMDGPU.csdata,"",@progbits
; Kernel info:
; codeLenInByte = 0
; TotalNumSgprs: 0
; NumVgprs: 0
; ScratchSize: 0
; MemoryBound: 0
; FloatMode: 240
; IeeeMode: 1
; LDSByteSize: 0 bytes/workgroup (compile time only)
; SGPRBlocks: 0
; VGPRBlocks: 0
; NumSGPRsForWavesPerEU: 1
; NumVGPRsForWavesPerEU: 1
; NamedBarCnt: 0
; Occupancy: 16
; WaveLimiterHint : 0
; COMPUTE_PGM_RSRC2:SCRATCH_EN: 0
; COMPUTE_PGM_RSRC2:USER_SGPR: 2
; COMPUTE_PGM_RSRC2:TRAP_HANDLER: 0
; COMPUTE_PGM_RSRC2:TGID_X_EN: 1
; COMPUTE_PGM_RSRC2:TGID_Y_EN: 0
; COMPUTE_PGM_RSRC2:TGID_Z_EN: 0
; COMPUTE_PGM_RSRC2:TIDIG_COMP_CNT: 0
	.section	.AMDGPU.gpr_maximums,"",@progbits
	.set amdgpu.max_num_vgpr, 0
	.set amdgpu.max_num_agpr, 0
	.set amdgpu.max_num_sgpr, 0
	.section	.AMDGPU.csdata,"",@progbits
	.type	__hip_cuid_93df0c689e1865b8,@object ; @__hip_cuid_93df0c689e1865b8
	.section	.bss,"aw",@nobits
	.globl	__hip_cuid_93df0c689e1865b8
__hip_cuid_93df0c689e1865b8:
	.byte	0                               ; 0x0
	.size	__hip_cuid_93df0c689e1865b8, 1

	.ident	"AMD clang version 22.0.0git (https://github.com/RadeonOpenCompute/llvm-project roc-7.2.4 26084 f58b06dce1f9c15707c5f808fd002e18c2accf7e)"
	.section	".note.GNU-stack","",@progbits
	.addrsig
	.addrsig_sym __hip_cuid_93df0c689e1865b8
	.amdgpu_metadata
---
amdhsa.kernels:
  - .args:
      - .offset:         0
        .size:           16
        .value_kind:     by_value
      - .offset:         16
        .size:           8
        .value_kind:     by_value
      - .offset:         24
        .size:           8
        .value_kind:     by_value
    .group_segment_fixed_size: 0
    .kernarg_segment_align: 8
    .kernarg_segment_size: 32
    .language:       OpenCL C
    .language_version:
      - 2
      - 0
    .max_flat_workgroup_size: 256
    .name:           _ZN6thrust23THRUST_200600_302600_NS11hip_rocprim14__parallel_for6kernelILj256ENS1_20__uninitialized_fill7functorINS0_10device_ptrIdEEdEEmLj1EEEvT0_T1_SA_
    .private_segment_fixed_size: 0
    .sgpr_count:     14
    .sgpr_spill_count: 0
    .symbol:         _ZN6thrust23THRUST_200600_302600_NS11hip_rocprim14__parallel_for6kernelILj256ENS1_20__uninitialized_fill7functorINS0_10device_ptrIdEEdEEmLj1EEEvT0_T1_SA_.kd
    .uniform_work_group_size: 1
    .uses_dynamic_stack: false
    .vgpr_count:     4
    .vgpr_spill_count: 0
    .wavefront_size: 32
  - .args:
      - .offset:         0
        .size:           64
        .value_kind:     by_value
      - .offset:         64
        .size:           4
        .value_kind:     hidden_block_count_x
      - .offset:         68
        .size:           4
        .value_kind:     hidden_block_count_y
      - .offset:         72
        .size:           4
        .value_kind:     hidden_block_count_z
      - .offset:         76
        .size:           2
        .value_kind:     hidden_group_size_x
      - .offset:         78
        .size:           2
        .value_kind:     hidden_group_size_y
      - .offset:         80
        .size:           2
        .value_kind:     hidden_group_size_z
      - .offset:         82
        .size:           2
        .value_kind:     hidden_remainder_x
      - .offset:         84
        .size:           2
        .value_kind:     hidden_remainder_y
      - .offset:         86
        .size:           2
        .value_kind:     hidden_remainder_z
      - .offset:         104
        .size:           8
        .value_kind:     hidden_global_offset_x
      - .offset:         112
        .size:           8
        .value_kind:     hidden_global_offset_y
      - .offset:         120
        .size:           8
        .value_kind:     hidden_global_offset_z
      - .offset:         128
        .size:           2
        .value_kind:     hidden_grid_dims
    .group_segment_fixed_size: 0
    .kernarg_segment_align: 8
    .kernarg_segment_size: 320
    .language:       OpenCL C
    .language_version:
      - 2
      - 0
    .max_flat_workgroup_size: 512
    .name:           _ZN7rocprim17ROCPRIM_400000_NS6detail17trampoline_kernelINS0_14default_configENS1_21merge_config_selectorINS0_5tupleIJddEEENS0_10empty_typeEEEZNS1_10merge_implIS3_NS0_12zip_iteratorINS5_IJN6thrust23THRUST_200600_302600_NS6detail15normal_iteratorINSC_10device_ptrIKdEEEESI_EEEEESK_NSA_INS5_IJNSE_INSF_IdEEEESM_EEEEEPS7_SP_SP_NSC_11hip_rocprim7__merge17predicate_wrapperIddNSC_4lessIdEEEEEE10hipError_tPvRmT0_T1_T2_T3_T4_T5_mmT6_P12ihipStream_tbEUlT_E_NS1_11comp_targetILNS1_3genE0ELNS1_11target_archE4294967295ELNS1_3gpuE0ELNS1_3repE0EEENS1_30default_config_static_selectorELNS0_4arch9wavefront6targetE0EEEvS10_
    .private_segment_fixed_size: 0
    .sgpr_count:     16
    .sgpr_spill_count: 0
    .symbol:         _ZN7rocprim17ROCPRIM_400000_NS6detail17trampoline_kernelINS0_14default_configENS1_21merge_config_selectorINS0_5tupleIJddEEENS0_10empty_typeEEEZNS1_10merge_implIS3_NS0_12zip_iteratorINS5_IJN6thrust23THRUST_200600_302600_NS6detail15normal_iteratorINSC_10device_ptrIKdEEEESI_EEEEESK_NSA_INS5_IJNSE_INSF_IdEEEESM_EEEEEPS7_SP_SP_NSC_11hip_rocprim7__merge17predicate_wrapperIddNSC_4lessIdEEEEEE10hipError_tPvRmT0_T1_T2_T3_T4_T5_mmT6_P12ihipStream_tbEUlT_E_NS1_11comp_targetILNS1_3genE0ELNS1_11target_archE4294967295ELNS1_3gpuE0ELNS1_3repE0EEENS1_30default_config_static_selectorELNS0_4arch9wavefront6targetE0EEEvS10_.kd
    .uniform_work_group_size: 1
    .uses_dynamic_stack: false
    .vgpr_count:     18
    .vgpr_spill_count: 0
    .wavefront_size: 32
  - .args:
      - .offset:         0
        .size:           64
        .value_kind:     by_value
    .group_segment_fixed_size: 0
    .kernarg_segment_align: 8
    .kernarg_segment_size: 64
    .language:       OpenCL C
    .language_version:
      - 2
      - 0
    .max_flat_workgroup_size: 256
    .name:           _ZN7rocprim17ROCPRIM_400000_NS6detail17trampoline_kernelINS0_14default_configENS1_21merge_config_selectorINS0_5tupleIJddEEENS0_10empty_typeEEEZNS1_10merge_implIS3_NS0_12zip_iteratorINS5_IJN6thrust23THRUST_200600_302600_NS6detail15normal_iteratorINSC_10device_ptrIKdEEEESI_EEEEESK_NSA_INS5_IJNSE_INSF_IdEEEESM_EEEEEPS7_SP_SP_NSC_11hip_rocprim7__merge17predicate_wrapperIddNSC_4lessIdEEEEEE10hipError_tPvRmT0_T1_T2_T3_T4_T5_mmT6_P12ihipStream_tbEUlT_E_NS1_11comp_targetILNS1_3genE5ELNS1_11target_archE942ELNS1_3gpuE9ELNS1_3repE0EEENS1_30default_config_static_selectorELNS0_4arch9wavefront6targetE0EEEvS10_
    .private_segment_fixed_size: 0
    .sgpr_count:     0
    .sgpr_spill_count: 0
    .symbol:         _ZN7rocprim17ROCPRIM_400000_NS6detail17trampoline_kernelINS0_14default_configENS1_21merge_config_selectorINS0_5tupleIJddEEENS0_10empty_typeEEEZNS1_10merge_implIS3_NS0_12zip_iteratorINS5_IJN6thrust23THRUST_200600_302600_NS6detail15normal_iteratorINSC_10device_ptrIKdEEEESI_EEEEESK_NSA_INS5_IJNSE_INSF_IdEEEESM_EEEEEPS7_SP_SP_NSC_11hip_rocprim7__merge17predicate_wrapperIddNSC_4lessIdEEEEEE10hipError_tPvRmT0_T1_T2_T3_T4_T5_mmT6_P12ihipStream_tbEUlT_E_NS1_11comp_targetILNS1_3genE5ELNS1_11target_archE942ELNS1_3gpuE9ELNS1_3repE0EEENS1_30default_config_static_selectorELNS0_4arch9wavefront6targetE0EEEvS10_.kd
    .uniform_work_group_size: 1
    .uses_dynamic_stack: false
    .vgpr_count:     0
    .vgpr_spill_count: 0
    .wavefront_size: 32
  - .args:
      - .offset:         0
        .size:           64
        .value_kind:     by_value
    .group_segment_fixed_size: 0
    .kernarg_segment_align: 8
    .kernarg_segment_size: 64
    .language:       OpenCL C
    .language_version:
      - 2
      - 0
    .max_flat_workgroup_size: 512
    .name:           _ZN7rocprim17ROCPRIM_400000_NS6detail17trampoline_kernelINS0_14default_configENS1_21merge_config_selectorINS0_5tupleIJddEEENS0_10empty_typeEEEZNS1_10merge_implIS3_NS0_12zip_iteratorINS5_IJN6thrust23THRUST_200600_302600_NS6detail15normal_iteratorINSC_10device_ptrIKdEEEESI_EEEEESK_NSA_INS5_IJNSE_INSF_IdEEEESM_EEEEEPS7_SP_SP_NSC_11hip_rocprim7__merge17predicate_wrapperIddNSC_4lessIdEEEEEE10hipError_tPvRmT0_T1_T2_T3_T4_T5_mmT6_P12ihipStream_tbEUlT_E_NS1_11comp_targetILNS1_3genE4ELNS1_11target_archE910ELNS1_3gpuE8ELNS1_3repE0EEENS1_30default_config_static_selectorELNS0_4arch9wavefront6targetE0EEEvS10_
    .private_segment_fixed_size: 0
    .sgpr_count:     0
    .sgpr_spill_count: 0
    .symbol:         _ZN7rocprim17ROCPRIM_400000_NS6detail17trampoline_kernelINS0_14default_configENS1_21merge_config_selectorINS0_5tupleIJddEEENS0_10empty_typeEEEZNS1_10merge_implIS3_NS0_12zip_iteratorINS5_IJN6thrust23THRUST_200600_302600_NS6detail15normal_iteratorINSC_10device_ptrIKdEEEESI_EEEEESK_NSA_INS5_IJNSE_INSF_IdEEEESM_EEEEEPS7_SP_SP_NSC_11hip_rocprim7__merge17predicate_wrapperIddNSC_4lessIdEEEEEE10hipError_tPvRmT0_T1_T2_T3_T4_T5_mmT6_P12ihipStream_tbEUlT_E_NS1_11comp_targetILNS1_3genE4ELNS1_11target_archE910ELNS1_3gpuE8ELNS1_3repE0EEENS1_30default_config_static_selectorELNS0_4arch9wavefront6targetE0EEEvS10_.kd
    .uniform_work_group_size: 1
    .uses_dynamic_stack: false
    .vgpr_count:     0
    .vgpr_spill_count: 0
    .wavefront_size: 32
  - .args:
      - .offset:         0
        .size:           64
        .value_kind:     by_value
    .group_segment_fixed_size: 0
    .kernarg_segment_align: 8
    .kernarg_segment_size: 64
    .language:       OpenCL C
    .language_version:
      - 2
      - 0
    .max_flat_workgroup_size: 512
    .name:           _ZN7rocprim17ROCPRIM_400000_NS6detail17trampoline_kernelINS0_14default_configENS1_21merge_config_selectorINS0_5tupleIJddEEENS0_10empty_typeEEEZNS1_10merge_implIS3_NS0_12zip_iteratorINS5_IJN6thrust23THRUST_200600_302600_NS6detail15normal_iteratorINSC_10device_ptrIKdEEEESI_EEEEESK_NSA_INS5_IJNSE_INSF_IdEEEESM_EEEEEPS7_SP_SP_NSC_11hip_rocprim7__merge17predicate_wrapperIddNSC_4lessIdEEEEEE10hipError_tPvRmT0_T1_T2_T3_T4_T5_mmT6_P12ihipStream_tbEUlT_E_NS1_11comp_targetILNS1_3genE3ELNS1_11target_archE908ELNS1_3gpuE7ELNS1_3repE0EEENS1_30default_config_static_selectorELNS0_4arch9wavefront6targetE0EEEvS10_
    .private_segment_fixed_size: 0
    .sgpr_count:     0
    .sgpr_spill_count: 0
    .symbol:         _ZN7rocprim17ROCPRIM_400000_NS6detail17trampoline_kernelINS0_14default_configENS1_21merge_config_selectorINS0_5tupleIJddEEENS0_10empty_typeEEEZNS1_10merge_implIS3_NS0_12zip_iteratorINS5_IJN6thrust23THRUST_200600_302600_NS6detail15normal_iteratorINSC_10device_ptrIKdEEEESI_EEEEESK_NSA_INS5_IJNSE_INSF_IdEEEESM_EEEEEPS7_SP_SP_NSC_11hip_rocprim7__merge17predicate_wrapperIddNSC_4lessIdEEEEEE10hipError_tPvRmT0_T1_T2_T3_T4_T5_mmT6_P12ihipStream_tbEUlT_E_NS1_11comp_targetILNS1_3genE3ELNS1_11target_archE908ELNS1_3gpuE7ELNS1_3repE0EEENS1_30default_config_static_selectorELNS0_4arch9wavefront6targetE0EEEvS10_.kd
    .uniform_work_group_size: 1
    .uses_dynamic_stack: false
    .vgpr_count:     0
    .vgpr_spill_count: 0
    .wavefront_size: 32
  - .args:
      - .offset:         0
        .size:           64
        .value_kind:     by_value
    .group_segment_fixed_size: 0
    .kernarg_segment_align: 8
    .kernarg_segment_size: 64
    .language:       OpenCL C
    .language_version:
      - 2
      - 0
    .max_flat_workgroup_size: 512
    .name:           _ZN7rocprim17ROCPRIM_400000_NS6detail17trampoline_kernelINS0_14default_configENS1_21merge_config_selectorINS0_5tupleIJddEEENS0_10empty_typeEEEZNS1_10merge_implIS3_NS0_12zip_iteratorINS5_IJN6thrust23THRUST_200600_302600_NS6detail15normal_iteratorINSC_10device_ptrIKdEEEESI_EEEEESK_NSA_INS5_IJNSE_INSF_IdEEEESM_EEEEEPS7_SP_SP_NSC_11hip_rocprim7__merge17predicate_wrapperIddNSC_4lessIdEEEEEE10hipError_tPvRmT0_T1_T2_T3_T4_T5_mmT6_P12ihipStream_tbEUlT_E_NS1_11comp_targetILNS1_3genE2ELNS1_11target_archE906ELNS1_3gpuE6ELNS1_3repE0EEENS1_30default_config_static_selectorELNS0_4arch9wavefront6targetE0EEEvS10_
    .private_segment_fixed_size: 0
    .sgpr_count:     0
    .sgpr_spill_count: 0
    .symbol:         _ZN7rocprim17ROCPRIM_400000_NS6detail17trampoline_kernelINS0_14default_configENS1_21merge_config_selectorINS0_5tupleIJddEEENS0_10empty_typeEEEZNS1_10merge_implIS3_NS0_12zip_iteratorINS5_IJN6thrust23THRUST_200600_302600_NS6detail15normal_iteratorINSC_10device_ptrIKdEEEESI_EEEEESK_NSA_INS5_IJNSE_INSF_IdEEEESM_EEEEEPS7_SP_SP_NSC_11hip_rocprim7__merge17predicate_wrapperIddNSC_4lessIdEEEEEE10hipError_tPvRmT0_T1_T2_T3_T4_T5_mmT6_P12ihipStream_tbEUlT_E_NS1_11comp_targetILNS1_3genE2ELNS1_11target_archE906ELNS1_3gpuE6ELNS1_3repE0EEENS1_30default_config_static_selectorELNS0_4arch9wavefront6targetE0EEEvS10_.kd
    .uniform_work_group_size: 1
    .uses_dynamic_stack: false
    .vgpr_count:     0
    .vgpr_spill_count: 0
    .wavefront_size: 32
  - .args:
      - .offset:         0
        .size:           64
        .value_kind:     by_value
    .group_segment_fixed_size: 0
    .kernarg_segment_align: 8
    .kernarg_segment_size: 64
    .language:       OpenCL C
    .language_version:
      - 2
      - 0
    .max_flat_workgroup_size: 512
    .name:           _ZN7rocprim17ROCPRIM_400000_NS6detail17trampoline_kernelINS0_14default_configENS1_21merge_config_selectorINS0_5tupleIJddEEENS0_10empty_typeEEEZNS1_10merge_implIS3_NS0_12zip_iteratorINS5_IJN6thrust23THRUST_200600_302600_NS6detail15normal_iteratorINSC_10device_ptrIKdEEEESI_EEEEESK_NSA_INS5_IJNSE_INSF_IdEEEESM_EEEEEPS7_SP_SP_NSC_11hip_rocprim7__merge17predicate_wrapperIddNSC_4lessIdEEEEEE10hipError_tPvRmT0_T1_T2_T3_T4_T5_mmT6_P12ihipStream_tbEUlT_E_NS1_11comp_targetILNS1_3genE10ELNS1_11target_archE1201ELNS1_3gpuE5ELNS1_3repE0EEENS1_30default_config_static_selectorELNS0_4arch9wavefront6targetE0EEEvS10_
    .private_segment_fixed_size: 0
    .sgpr_count:     0
    .sgpr_spill_count: 0
    .symbol:         _ZN7rocprim17ROCPRIM_400000_NS6detail17trampoline_kernelINS0_14default_configENS1_21merge_config_selectorINS0_5tupleIJddEEENS0_10empty_typeEEEZNS1_10merge_implIS3_NS0_12zip_iteratorINS5_IJN6thrust23THRUST_200600_302600_NS6detail15normal_iteratorINSC_10device_ptrIKdEEEESI_EEEEESK_NSA_INS5_IJNSE_INSF_IdEEEESM_EEEEEPS7_SP_SP_NSC_11hip_rocprim7__merge17predicate_wrapperIddNSC_4lessIdEEEEEE10hipError_tPvRmT0_T1_T2_T3_T4_T5_mmT6_P12ihipStream_tbEUlT_E_NS1_11comp_targetILNS1_3genE10ELNS1_11target_archE1201ELNS1_3gpuE5ELNS1_3repE0EEENS1_30default_config_static_selectorELNS0_4arch9wavefront6targetE0EEEvS10_.kd
    .uniform_work_group_size: 1
    .uses_dynamic_stack: false
    .vgpr_count:     0
    .vgpr_spill_count: 0
    .wavefront_size: 32
  - .args:
      - .offset:         0
        .size:           64
        .value_kind:     by_value
    .group_segment_fixed_size: 0
    .kernarg_segment_align: 8
    .kernarg_segment_size: 64
    .language:       OpenCL C
    .language_version:
      - 2
      - 0
    .max_flat_workgroup_size: 256
    .name:           _ZN7rocprim17ROCPRIM_400000_NS6detail17trampoline_kernelINS0_14default_configENS1_21merge_config_selectorINS0_5tupleIJddEEENS0_10empty_typeEEEZNS1_10merge_implIS3_NS0_12zip_iteratorINS5_IJN6thrust23THRUST_200600_302600_NS6detail15normal_iteratorINSC_10device_ptrIKdEEEESI_EEEEESK_NSA_INS5_IJNSE_INSF_IdEEEESM_EEEEEPS7_SP_SP_NSC_11hip_rocprim7__merge17predicate_wrapperIddNSC_4lessIdEEEEEE10hipError_tPvRmT0_T1_T2_T3_T4_T5_mmT6_P12ihipStream_tbEUlT_E_NS1_11comp_targetILNS1_3genE10ELNS1_11target_archE1200ELNS1_3gpuE4ELNS1_3repE0EEENS1_30default_config_static_selectorELNS0_4arch9wavefront6targetE0EEEvS10_
    .private_segment_fixed_size: 0
    .sgpr_count:     0
    .sgpr_spill_count: 0
    .symbol:         _ZN7rocprim17ROCPRIM_400000_NS6detail17trampoline_kernelINS0_14default_configENS1_21merge_config_selectorINS0_5tupleIJddEEENS0_10empty_typeEEEZNS1_10merge_implIS3_NS0_12zip_iteratorINS5_IJN6thrust23THRUST_200600_302600_NS6detail15normal_iteratorINSC_10device_ptrIKdEEEESI_EEEEESK_NSA_INS5_IJNSE_INSF_IdEEEESM_EEEEEPS7_SP_SP_NSC_11hip_rocprim7__merge17predicate_wrapperIddNSC_4lessIdEEEEEE10hipError_tPvRmT0_T1_T2_T3_T4_T5_mmT6_P12ihipStream_tbEUlT_E_NS1_11comp_targetILNS1_3genE10ELNS1_11target_archE1200ELNS1_3gpuE4ELNS1_3repE0EEENS1_30default_config_static_selectorELNS0_4arch9wavefront6targetE0EEEvS10_.kd
    .uniform_work_group_size: 1
    .uses_dynamic_stack: false
    .vgpr_count:     0
    .vgpr_spill_count: 0
    .wavefront_size: 32
  - .args:
      - .offset:         0
        .size:           64
        .value_kind:     by_value
    .group_segment_fixed_size: 0
    .kernarg_segment_align: 8
    .kernarg_segment_size: 64
    .language:       OpenCL C
    .language_version:
      - 2
      - 0
    .max_flat_workgroup_size: 1024
    .name:           _ZN7rocprim17ROCPRIM_400000_NS6detail17trampoline_kernelINS0_14default_configENS1_21merge_config_selectorINS0_5tupleIJddEEENS0_10empty_typeEEEZNS1_10merge_implIS3_NS0_12zip_iteratorINS5_IJN6thrust23THRUST_200600_302600_NS6detail15normal_iteratorINSC_10device_ptrIKdEEEESI_EEEEESK_NSA_INS5_IJNSE_INSF_IdEEEESM_EEEEEPS7_SP_SP_NSC_11hip_rocprim7__merge17predicate_wrapperIddNSC_4lessIdEEEEEE10hipError_tPvRmT0_T1_T2_T3_T4_T5_mmT6_P12ihipStream_tbEUlT_E_NS1_11comp_targetILNS1_3genE9ELNS1_11target_archE1100ELNS1_3gpuE3ELNS1_3repE0EEENS1_30default_config_static_selectorELNS0_4arch9wavefront6targetE0EEEvS10_
    .private_segment_fixed_size: 0
    .sgpr_count:     0
    .sgpr_spill_count: 0
    .symbol:         _ZN7rocprim17ROCPRIM_400000_NS6detail17trampoline_kernelINS0_14default_configENS1_21merge_config_selectorINS0_5tupleIJddEEENS0_10empty_typeEEEZNS1_10merge_implIS3_NS0_12zip_iteratorINS5_IJN6thrust23THRUST_200600_302600_NS6detail15normal_iteratorINSC_10device_ptrIKdEEEESI_EEEEESK_NSA_INS5_IJNSE_INSF_IdEEEESM_EEEEEPS7_SP_SP_NSC_11hip_rocprim7__merge17predicate_wrapperIddNSC_4lessIdEEEEEE10hipError_tPvRmT0_T1_T2_T3_T4_T5_mmT6_P12ihipStream_tbEUlT_E_NS1_11comp_targetILNS1_3genE9ELNS1_11target_archE1100ELNS1_3gpuE3ELNS1_3repE0EEENS1_30default_config_static_selectorELNS0_4arch9wavefront6targetE0EEEvS10_.kd
    .uniform_work_group_size: 1
    .uses_dynamic_stack: false
    .vgpr_count:     0
    .vgpr_spill_count: 0
    .wavefront_size: 32
  - .args:
      - .offset:         0
        .size:           64
        .value_kind:     by_value
    .group_segment_fixed_size: 0
    .kernarg_segment_align: 8
    .kernarg_segment_size: 64
    .language:       OpenCL C
    .language_version:
      - 2
      - 0
    .max_flat_workgroup_size: 256
    .name:           _ZN7rocprim17ROCPRIM_400000_NS6detail17trampoline_kernelINS0_14default_configENS1_21merge_config_selectorINS0_5tupleIJddEEENS0_10empty_typeEEEZNS1_10merge_implIS3_NS0_12zip_iteratorINS5_IJN6thrust23THRUST_200600_302600_NS6detail15normal_iteratorINSC_10device_ptrIKdEEEESI_EEEEESK_NSA_INS5_IJNSE_INSF_IdEEEESM_EEEEEPS7_SP_SP_NSC_11hip_rocprim7__merge17predicate_wrapperIddNSC_4lessIdEEEEEE10hipError_tPvRmT0_T1_T2_T3_T4_T5_mmT6_P12ihipStream_tbEUlT_E_NS1_11comp_targetILNS1_3genE8ELNS1_11target_archE1030ELNS1_3gpuE2ELNS1_3repE0EEENS1_30default_config_static_selectorELNS0_4arch9wavefront6targetE0EEEvS10_
    .private_segment_fixed_size: 0
    .sgpr_count:     0
    .sgpr_spill_count: 0
    .symbol:         _ZN7rocprim17ROCPRIM_400000_NS6detail17trampoline_kernelINS0_14default_configENS1_21merge_config_selectorINS0_5tupleIJddEEENS0_10empty_typeEEEZNS1_10merge_implIS3_NS0_12zip_iteratorINS5_IJN6thrust23THRUST_200600_302600_NS6detail15normal_iteratorINSC_10device_ptrIKdEEEESI_EEEEESK_NSA_INS5_IJNSE_INSF_IdEEEESM_EEEEEPS7_SP_SP_NSC_11hip_rocprim7__merge17predicate_wrapperIddNSC_4lessIdEEEEEE10hipError_tPvRmT0_T1_T2_T3_T4_T5_mmT6_P12ihipStream_tbEUlT_E_NS1_11comp_targetILNS1_3genE8ELNS1_11target_archE1030ELNS1_3gpuE2ELNS1_3repE0EEENS1_30default_config_static_selectorELNS0_4arch9wavefront6targetE0EEEvS10_.kd
    .uniform_work_group_size: 1
    .uses_dynamic_stack: false
    .vgpr_count:     0
    .vgpr_spill_count: 0
    .wavefront_size: 32
  - .args:
      - .offset:         0
        .size:           112
        .value_kind:     by_value
    .group_segment_fixed_size: 16896
    .kernarg_segment_align: 8
    .kernarg_segment_size: 112
    .language:       OpenCL C
    .language_version:
      - 2
      - 0
    .max_flat_workgroup_size: 512
    .name:           _ZN7rocprim17ROCPRIM_400000_NS6detail17trampoline_kernelINS0_14default_configENS1_21merge_config_selectorINS0_5tupleIJddEEENS0_10empty_typeEEEZNS1_10merge_implIS3_NS0_12zip_iteratorINS5_IJN6thrust23THRUST_200600_302600_NS6detail15normal_iteratorINSC_10device_ptrIKdEEEESI_EEEEESK_NSA_INS5_IJNSE_INSF_IdEEEESM_EEEEEPS7_SP_SP_NSC_11hip_rocprim7__merge17predicate_wrapperIddNSC_4lessIdEEEEEE10hipError_tPvRmT0_T1_T2_T3_T4_T5_mmT6_P12ihipStream_tbEUlT_E0_NS1_11comp_targetILNS1_3genE0ELNS1_11target_archE4294967295ELNS1_3gpuE0ELNS1_3repE0EEENS1_30default_config_static_selectorELNS0_4arch9wavefront6targetE0EEEvS10_
    .private_segment_fixed_size: 0
    .sgpr_count:     27
    .sgpr_spill_count: 0
    .symbol:         _ZN7rocprim17ROCPRIM_400000_NS6detail17trampoline_kernelINS0_14default_configENS1_21merge_config_selectorINS0_5tupleIJddEEENS0_10empty_typeEEEZNS1_10merge_implIS3_NS0_12zip_iteratorINS5_IJN6thrust23THRUST_200600_302600_NS6detail15normal_iteratorINSC_10device_ptrIKdEEEESI_EEEEESK_NSA_INS5_IJNSE_INSF_IdEEEESM_EEEEEPS7_SP_SP_NSC_11hip_rocprim7__merge17predicate_wrapperIddNSC_4lessIdEEEEEE10hipError_tPvRmT0_T1_T2_T3_T4_T5_mmT6_P12ihipStream_tbEUlT_E0_NS1_11comp_targetILNS1_3genE0ELNS1_11target_archE4294967295ELNS1_3gpuE0ELNS1_3repE0EEENS1_30default_config_static_selectorELNS0_4arch9wavefront6targetE0EEEvS10_.kd
    .uniform_work_group_size: 1
    .uses_dynamic_stack: false
    .vgpr_count:     24
    .vgpr_spill_count: 0
    .wavefront_size: 32
  - .args:
      - .offset:         0
        .size:           112
        .value_kind:     by_value
    .group_segment_fixed_size: 0
    .kernarg_segment_align: 8
    .kernarg_segment_size: 112
    .language:       OpenCL C
    .language_version:
      - 2
      - 0
    .max_flat_workgroup_size: 256
    .name:           _ZN7rocprim17ROCPRIM_400000_NS6detail17trampoline_kernelINS0_14default_configENS1_21merge_config_selectorINS0_5tupleIJddEEENS0_10empty_typeEEEZNS1_10merge_implIS3_NS0_12zip_iteratorINS5_IJN6thrust23THRUST_200600_302600_NS6detail15normal_iteratorINSC_10device_ptrIKdEEEESI_EEEEESK_NSA_INS5_IJNSE_INSF_IdEEEESM_EEEEEPS7_SP_SP_NSC_11hip_rocprim7__merge17predicate_wrapperIddNSC_4lessIdEEEEEE10hipError_tPvRmT0_T1_T2_T3_T4_T5_mmT6_P12ihipStream_tbEUlT_E0_NS1_11comp_targetILNS1_3genE5ELNS1_11target_archE942ELNS1_3gpuE9ELNS1_3repE0EEENS1_30default_config_static_selectorELNS0_4arch9wavefront6targetE0EEEvS10_
    .private_segment_fixed_size: 0
    .sgpr_count:     0
    .sgpr_spill_count: 0
    .symbol:         _ZN7rocprim17ROCPRIM_400000_NS6detail17trampoline_kernelINS0_14default_configENS1_21merge_config_selectorINS0_5tupleIJddEEENS0_10empty_typeEEEZNS1_10merge_implIS3_NS0_12zip_iteratorINS5_IJN6thrust23THRUST_200600_302600_NS6detail15normal_iteratorINSC_10device_ptrIKdEEEESI_EEEEESK_NSA_INS5_IJNSE_INSF_IdEEEESM_EEEEEPS7_SP_SP_NSC_11hip_rocprim7__merge17predicate_wrapperIddNSC_4lessIdEEEEEE10hipError_tPvRmT0_T1_T2_T3_T4_T5_mmT6_P12ihipStream_tbEUlT_E0_NS1_11comp_targetILNS1_3genE5ELNS1_11target_archE942ELNS1_3gpuE9ELNS1_3repE0EEENS1_30default_config_static_selectorELNS0_4arch9wavefront6targetE0EEEvS10_.kd
    .uniform_work_group_size: 1
    .uses_dynamic_stack: false
    .vgpr_count:     0
    .vgpr_spill_count: 0
    .wavefront_size: 32
  - .args:
      - .offset:         0
        .size:           112
        .value_kind:     by_value
    .group_segment_fixed_size: 0
    .kernarg_segment_align: 8
    .kernarg_segment_size: 112
    .language:       OpenCL C
    .language_version:
      - 2
      - 0
    .max_flat_workgroup_size: 512
    .name:           _ZN7rocprim17ROCPRIM_400000_NS6detail17trampoline_kernelINS0_14default_configENS1_21merge_config_selectorINS0_5tupleIJddEEENS0_10empty_typeEEEZNS1_10merge_implIS3_NS0_12zip_iteratorINS5_IJN6thrust23THRUST_200600_302600_NS6detail15normal_iteratorINSC_10device_ptrIKdEEEESI_EEEEESK_NSA_INS5_IJNSE_INSF_IdEEEESM_EEEEEPS7_SP_SP_NSC_11hip_rocprim7__merge17predicate_wrapperIddNSC_4lessIdEEEEEE10hipError_tPvRmT0_T1_T2_T3_T4_T5_mmT6_P12ihipStream_tbEUlT_E0_NS1_11comp_targetILNS1_3genE4ELNS1_11target_archE910ELNS1_3gpuE8ELNS1_3repE0EEENS1_30default_config_static_selectorELNS0_4arch9wavefront6targetE0EEEvS10_
    .private_segment_fixed_size: 0
    .sgpr_count:     0
    .sgpr_spill_count: 0
    .symbol:         _ZN7rocprim17ROCPRIM_400000_NS6detail17trampoline_kernelINS0_14default_configENS1_21merge_config_selectorINS0_5tupleIJddEEENS0_10empty_typeEEEZNS1_10merge_implIS3_NS0_12zip_iteratorINS5_IJN6thrust23THRUST_200600_302600_NS6detail15normal_iteratorINSC_10device_ptrIKdEEEESI_EEEEESK_NSA_INS5_IJNSE_INSF_IdEEEESM_EEEEEPS7_SP_SP_NSC_11hip_rocprim7__merge17predicate_wrapperIddNSC_4lessIdEEEEEE10hipError_tPvRmT0_T1_T2_T3_T4_T5_mmT6_P12ihipStream_tbEUlT_E0_NS1_11comp_targetILNS1_3genE4ELNS1_11target_archE910ELNS1_3gpuE8ELNS1_3repE0EEENS1_30default_config_static_selectorELNS0_4arch9wavefront6targetE0EEEvS10_.kd
    .uniform_work_group_size: 1
    .uses_dynamic_stack: false
    .vgpr_count:     0
    .vgpr_spill_count: 0
    .wavefront_size: 32
  - .args:
      - .offset:         0
        .size:           112
        .value_kind:     by_value
    .group_segment_fixed_size: 0
    .kernarg_segment_align: 8
    .kernarg_segment_size: 112
    .language:       OpenCL C
    .language_version:
      - 2
      - 0
    .max_flat_workgroup_size: 512
    .name:           _ZN7rocprim17ROCPRIM_400000_NS6detail17trampoline_kernelINS0_14default_configENS1_21merge_config_selectorINS0_5tupleIJddEEENS0_10empty_typeEEEZNS1_10merge_implIS3_NS0_12zip_iteratorINS5_IJN6thrust23THRUST_200600_302600_NS6detail15normal_iteratorINSC_10device_ptrIKdEEEESI_EEEEESK_NSA_INS5_IJNSE_INSF_IdEEEESM_EEEEEPS7_SP_SP_NSC_11hip_rocprim7__merge17predicate_wrapperIddNSC_4lessIdEEEEEE10hipError_tPvRmT0_T1_T2_T3_T4_T5_mmT6_P12ihipStream_tbEUlT_E0_NS1_11comp_targetILNS1_3genE3ELNS1_11target_archE908ELNS1_3gpuE7ELNS1_3repE0EEENS1_30default_config_static_selectorELNS0_4arch9wavefront6targetE0EEEvS10_
    .private_segment_fixed_size: 0
    .sgpr_count:     0
    .sgpr_spill_count: 0
    .symbol:         _ZN7rocprim17ROCPRIM_400000_NS6detail17trampoline_kernelINS0_14default_configENS1_21merge_config_selectorINS0_5tupleIJddEEENS0_10empty_typeEEEZNS1_10merge_implIS3_NS0_12zip_iteratorINS5_IJN6thrust23THRUST_200600_302600_NS6detail15normal_iteratorINSC_10device_ptrIKdEEEESI_EEEEESK_NSA_INS5_IJNSE_INSF_IdEEEESM_EEEEEPS7_SP_SP_NSC_11hip_rocprim7__merge17predicate_wrapperIddNSC_4lessIdEEEEEE10hipError_tPvRmT0_T1_T2_T3_T4_T5_mmT6_P12ihipStream_tbEUlT_E0_NS1_11comp_targetILNS1_3genE3ELNS1_11target_archE908ELNS1_3gpuE7ELNS1_3repE0EEENS1_30default_config_static_selectorELNS0_4arch9wavefront6targetE0EEEvS10_.kd
    .uniform_work_group_size: 1
    .uses_dynamic_stack: false
    .vgpr_count:     0
    .vgpr_spill_count: 0
    .wavefront_size: 32
  - .args:
      - .offset:         0
        .size:           112
        .value_kind:     by_value
    .group_segment_fixed_size: 0
    .kernarg_segment_align: 8
    .kernarg_segment_size: 112
    .language:       OpenCL C
    .language_version:
      - 2
      - 0
    .max_flat_workgroup_size: 512
    .name:           _ZN7rocprim17ROCPRIM_400000_NS6detail17trampoline_kernelINS0_14default_configENS1_21merge_config_selectorINS0_5tupleIJddEEENS0_10empty_typeEEEZNS1_10merge_implIS3_NS0_12zip_iteratorINS5_IJN6thrust23THRUST_200600_302600_NS6detail15normal_iteratorINSC_10device_ptrIKdEEEESI_EEEEESK_NSA_INS5_IJNSE_INSF_IdEEEESM_EEEEEPS7_SP_SP_NSC_11hip_rocprim7__merge17predicate_wrapperIddNSC_4lessIdEEEEEE10hipError_tPvRmT0_T1_T2_T3_T4_T5_mmT6_P12ihipStream_tbEUlT_E0_NS1_11comp_targetILNS1_3genE2ELNS1_11target_archE906ELNS1_3gpuE6ELNS1_3repE0EEENS1_30default_config_static_selectorELNS0_4arch9wavefront6targetE0EEEvS10_
    .private_segment_fixed_size: 0
    .sgpr_count:     0
    .sgpr_spill_count: 0
    .symbol:         _ZN7rocprim17ROCPRIM_400000_NS6detail17trampoline_kernelINS0_14default_configENS1_21merge_config_selectorINS0_5tupleIJddEEENS0_10empty_typeEEEZNS1_10merge_implIS3_NS0_12zip_iteratorINS5_IJN6thrust23THRUST_200600_302600_NS6detail15normal_iteratorINSC_10device_ptrIKdEEEESI_EEEEESK_NSA_INS5_IJNSE_INSF_IdEEEESM_EEEEEPS7_SP_SP_NSC_11hip_rocprim7__merge17predicate_wrapperIddNSC_4lessIdEEEEEE10hipError_tPvRmT0_T1_T2_T3_T4_T5_mmT6_P12ihipStream_tbEUlT_E0_NS1_11comp_targetILNS1_3genE2ELNS1_11target_archE906ELNS1_3gpuE6ELNS1_3repE0EEENS1_30default_config_static_selectorELNS0_4arch9wavefront6targetE0EEEvS10_.kd
    .uniform_work_group_size: 1
    .uses_dynamic_stack: false
    .vgpr_count:     0
    .vgpr_spill_count: 0
    .wavefront_size: 32
  - .args:
      - .offset:         0
        .size:           112
        .value_kind:     by_value
    .group_segment_fixed_size: 0
    .kernarg_segment_align: 8
    .kernarg_segment_size: 112
    .language:       OpenCL C
    .language_version:
      - 2
      - 0
    .max_flat_workgroup_size: 512
    .name:           _ZN7rocprim17ROCPRIM_400000_NS6detail17trampoline_kernelINS0_14default_configENS1_21merge_config_selectorINS0_5tupleIJddEEENS0_10empty_typeEEEZNS1_10merge_implIS3_NS0_12zip_iteratorINS5_IJN6thrust23THRUST_200600_302600_NS6detail15normal_iteratorINSC_10device_ptrIKdEEEESI_EEEEESK_NSA_INS5_IJNSE_INSF_IdEEEESM_EEEEEPS7_SP_SP_NSC_11hip_rocprim7__merge17predicate_wrapperIddNSC_4lessIdEEEEEE10hipError_tPvRmT0_T1_T2_T3_T4_T5_mmT6_P12ihipStream_tbEUlT_E0_NS1_11comp_targetILNS1_3genE10ELNS1_11target_archE1201ELNS1_3gpuE5ELNS1_3repE0EEENS1_30default_config_static_selectorELNS0_4arch9wavefront6targetE0EEEvS10_
    .private_segment_fixed_size: 0
    .sgpr_count:     0
    .sgpr_spill_count: 0
    .symbol:         _ZN7rocprim17ROCPRIM_400000_NS6detail17trampoline_kernelINS0_14default_configENS1_21merge_config_selectorINS0_5tupleIJddEEENS0_10empty_typeEEEZNS1_10merge_implIS3_NS0_12zip_iteratorINS5_IJN6thrust23THRUST_200600_302600_NS6detail15normal_iteratorINSC_10device_ptrIKdEEEESI_EEEEESK_NSA_INS5_IJNSE_INSF_IdEEEESM_EEEEEPS7_SP_SP_NSC_11hip_rocprim7__merge17predicate_wrapperIddNSC_4lessIdEEEEEE10hipError_tPvRmT0_T1_T2_T3_T4_T5_mmT6_P12ihipStream_tbEUlT_E0_NS1_11comp_targetILNS1_3genE10ELNS1_11target_archE1201ELNS1_3gpuE5ELNS1_3repE0EEENS1_30default_config_static_selectorELNS0_4arch9wavefront6targetE0EEEvS10_.kd
    .uniform_work_group_size: 1
    .uses_dynamic_stack: false
    .vgpr_count:     0
    .vgpr_spill_count: 0
    .wavefront_size: 32
  - .args:
      - .offset:         0
        .size:           112
        .value_kind:     by_value
    .group_segment_fixed_size: 0
    .kernarg_segment_align: 8
    .kernarg_segment_size: 112
    .language:       OpenCL C
    .language_version:
      - 2
      - 0
    .max_flat_workgroup_size: 256
    .name:           _ZN7rocprim17ROCPRIM_400000_NS6detail17trampoline_kernelINS0_14default_configENS1_21merge_config_selectorINS0_5tupleIJddEEENS0_10empty_typeEEEZNS1_10merge_implIS3_NS0_12zip_iteratorINS5_IJN6thrust23THRUST_200600_302600_NS6detail15normal_iteratorINSC_10device_ptrIKdEEEESI_EEEEESK_NSA_INS5_IJNSE_INSF_IdEEEESM_EEEEEPS7_SP_SP_NSC_11hip_rocprim7__merge17predicate_wrapperIddNSC_4lessIdEEEEEE10hipError_tPvRmT0_T1_T2_T3_T4_T5_mmT6_P12ihipStream_tbEUlT_E0_NS1_11comp_targetILNS1_3genE10ELNS1_11target_archE1200ELNS1_3gpuE4ELNS1_3repE0EEENS1_30default_config_static_selectorELNS0_4arch9wavefront6targetE0EEEvS10_
    .private_segment_fixed_size: 0
    .sgpr_count:     0
    .sgpr_spill_count: 0
    .symbol:         _ZN7rocprim17ROCPRIM_400000_NS6detail17trampoline_kernelINS0_14default_configENS1_21merge_config_selectorINS0_5tupleIJddEEENS0_10empty_typeEEEZNS1_10merge_implIS3_NS0_12zip_iteratorINS5_IJN6thrust23THRUST_200600_302600_NS6detail15normal_iteratorINSC_10device_ptrIKdEEEESI_EEEEESK_NSA_INS5_IJNSE_INSF_IdEEEESM_EEEEEPS7_SP_SP_NSC_11hip_rocprim7__merge17predicate_wrapperIddNSC_4lessIdEEEEEE10hipError_tPvRmT0_T1_T2_T3_T4_T5_mmT6_P12ihipStream_tbEUlT_E0_NS1_11comp_targetILNS1_3genE10ELNS1_11target_archE1200ELNS1_3gpuE4ELNS1_3repE0EEENS1_30default_config_static_selectorELNS0_4arch9wavefront6targetE0EEEvS10_.kd
    .uniform_work_group_size: 1
    .uses_dynamic_stack: false
    .vgpr_count:     0
    .vgpr_spill_count: 0
    .wavefront_size: 32
  - .args:
      - .offset:         0
        .size:           112
        .value_kind:     by_value
    .group_segment_fixed_size: 0
    .kernarg_segment_align: 8
    .kernarg_segment_size: 112
    .language:       OpenCL C
    .language_version:
      - 2
      - 0
    .max_flat_workgroup_size: 1024
    .name:           _ZN7rocprim17ROCPRIM_400000_NS6detail17trampoline_kernelINS0_14default_configENS1_21merge_config_selectorINS0_5tupleIJddEEENS0_10empty_typeEEEZNS1_10merge_implIS3_NS0_12zip_iteratorINS5_IJN6thrust23THRUST_200600_302600_NS6detail15normal_iteratorINSC_10device_ptrIKdEEEESI_EEEEESK_NSA_INS5_IJNSE_INSF_IdEEEESM_EEEEEPS7_SP_SP_NSC_11hip_rocprim7__merge17predicate_wrapperIddNSC_4lessIdEEEEEE10hipError_tPvRmT0_T1_T2_T3_T4_T5_mmT6_P12ihipStream_tbEUlT_E0_NS1_11comp_targetILNS1_3genE9ELNS1_11target_archE1100ELNS1_3gpuE3ELNS1_3repE0EEENS1_30default_config_static_selectorELNS0_4arch9wavefront6targetE0EEEvS10_
    .private_segment_fixed_size: 0
    .sgpr_count:     0
    .sgpr_spill_count: 0
    .symbol:         _ZN7rocprim17ROCPRIM_400000_NS6detail17trampoline_kernelINS0_14default_configENS1_21merge_config_selectorINS0_5tupleIJddEEENS0_10empty_typeEEEZNS1_10merge_implIS3_NS0_12zip_iteratorINS5_IJN6thrust23THRUST_200600_302600_NS6detail15normal_iteratorINSC_10device_ptrIKdEEEESI_EEEEESK_NSA_INS5_IJNSE_INSF_IdEEEESM_EEEEEPS7_SP_SP_NSC_11hip_rocprim7__merge17predicate_wrapperIddNSC_4lessIdEEEEEE10hipError_tPvRmT0_T1_T2_T3_T4_T5_mmT6_P12ihipStream_tbEUlT_E0_NS1_11comp_targetILNS1_3genE9ELNS1_11target_archE1100ELNS1_3gpuE3ELNS1_3repE0EEENS1_30default_config_static_selectorELNS0_4arch9wavefront6targetE0EEEvS10_.kd
    .uniform_work_group_size: 1
    .uses_dynamic_stack: false
    .vgpr_count:     0
    .vgpr_spill_count: 0
    .wavefront_size: 32
  - .args:
      - .offset:         0
        .size:           112
        .value_kind:     by_value
    .group_segment_fixed_size: 0
    .kernarg_segment_align: 8
    .kernarg_segment_size: 112
    .language:       OpenCL C
    .language_version:
      - 2
      - 0
    .max_flat_workgroup_size: 256
    .name:           _ZN7rocprim17ROCPRIM_400000_NS6detail17trampoline_kernelINS0_14default_configENS1_21merge_config_selectorINS0_5tupleIJddEEENS0_10empty_typeEEEZNS1_10merge_implIS3_NS0_12zip_iteratorINS5_IJN6thrust23THRUST_200600_302600_NS6detail15normal_iteratorINSC_10device_ptrIKdEEEESI_EEEEESK_NSA_INS5_IJNSE_INSF_IdEEEESM_EEEEEPS7_SP_SP_NSC_11hip_rocprim7__merge17predicate_wrapperIddNSC_4lessIdEEEEEE10hipError_tPvRmT0_T1_T2_T3_T4_T5_mmT6_P12ihipStream_tbEUlT_E0_NS1_11comp_targetILNS1_3genE8ELNS1_11target_archE1030ELNS1_3gpuE2ELNS1_3repE0EEENS1_30default_config_static_selectorELNS0_4arch9wavefront6targetE0EEEvS10_
    .private_segment_fixed_size: 0
    .sgpr_count:     0
    .sgpr_spill_count: 0
    .symbol:         _ZN7rocprim17ROCPRIM_400000_NS6detail17trampoline_kernelINS0_14default_configENS1_21merge_config_selectorINS0_5tupleIJddEEENS0_10empty_typeEEEZNS1_10merge_implIS3_NS0_12zip_iteratorINS5_IJN6thrust23THRUST_200600_302600_NS6detail15normal_iteratorINSC_10device_ptrIKdEEEESI_EEEEESK_NSA_INS5_IJNSE_INSF_IdEEEESM_EEEEEPS7_SP_SP_NSC_11hip_rocprim7__merge17predicate_wrapperIddNSC_4lessIdEEEEEE10hipError_tPvRmT0_T1_T2_T3_T4_T5_mmT6_P12ihipStream_tbEUlT_E0_NS1_11comp_targetILNS1_3genE8ELNS1_11target_archE1030ELNS1_3gpuE2ELNS1_3repE0EEENS1_30default_config_static_selectorELNS0_4arch9wavefront6targetE0EEEvS10_.kd
    .uniform_work_group_size: 1
    .uses_dynamic_stack: false
    .vgpr_count:     0
    .vgpr_spill_count: 0
    .wavefront_size: 32
  - .args:
      - .offset:         0
        .size:           72
        .value_kind:     by_value
    .group_segment_fixed_size: 128
    .kernarg_segment_align: 8
    .kernarg_segment_size: 72
    .language:       OpenCL C
    .language_version:
      - 2
      - 0
    .max_flat_workgroup_size: 128
    .name:           _ZN7rocprim17ROCPRIM_400000_NS6detail17trampoline_kernelINS0_14default_configENS1_22reduce_config_selectorIN6thrust23THRUST_200600_302600_NS5tupleIblNS6_9null_typeES8_S8_S8_S8_S8_S8_S8_EEEEZNS1_11reduce_implILb1ES3_PS9_SC_S9_NS6_11hip_rocprim9__find_if7functorIS9_EEEE10hipError_tPvRmT1_T2_T3_mT4_P12ihipStream_tbEUlT_E0_NS1_11comp_targetILNS1_3genE0ELNS1_11target_archE4294967295ELNS1_3gpuE0ELNS1_3repE0EEENS1_30default_config_static_selectorELNS0_4arch9wavefront6targetE0EEEvSK_
    .private_segment_fixed_size: 0
    .sgpr_count:     22
    .sgpr_spill_count: 0
    .symbol:         _ZN7rocprim17ROCPRIM_400000_NS6detail17trampoline_kernelINS0_14default_configENS1_22reduce_config_selectorIN6thrust23THRUST_200600_302600_NS5tupleIblNS6_9null_typeES8_S8_S8_S8_S8_S8_S8_EEEEZNS1_11reduce_implILb1ES3_PS9_SC_S9_NS6_11hip_rocprim9__find_if7functorIS9_EEEE10hipError_tPvRmT1_T2_T3_mT4_P12ihipStream_tbEUlT_E0_NS1_11comp_targetILNS1_3genE0ELNS1_11target_archE4294967295ELNS1_3gpuE0ELNS1_3repE0EEENS1_30default_config_static_selectorELNS0_4arch9wavefront6targetE0EEEvSK_.kd
    .uniform_work_group_size: 1
    .uses_dynamic_stack: false
    .vgpr_count:     13
    .vgpr_spill_count: 0
    .wavefront_size: 32
  - .args:
      - .offset:         0
        .size:           72
        .value_kind:     by_value
    .group_segment_fixed_size: 0
    .kernarg_segment_align: 8
    .kernarg_segment_size: 72
    .language:       OpenCL C
    .language_version:
      - 2
      - 0
    .max_flat_workgroup_size: 256
    .name:           _ZN7rocprim17ROCPRIM_400000_NS6detail17trampoline_kernelINS0_14default_configENS1_22reduce_config_selectorIN6thrust23THRUST_200600_302600_NS5tupleIblNS6_9null_typeES8_S8_S8_S8_S8_S8_S8_EEEEZNS1_11reduce_implILb1ES3_PS9_SC_S9_NS6_11hip_rocprim9__find_if7functorIS9_EEEE10hipError_tPvRmT1_T2_T3_mT4_P12ihipStream_tbEUlT_E0_NS1_11comp_targetILNS1_3genE5ELNS1_11target_archE942ELNS1_3gpuE9ELNS1_3repE0EEENS1_30default_config_static_selectorELNS0_4arch9wavefront6targetE0EEEvSK_
    .private_segment_fixed_size: 0
    .sgpr_count:     0
    .sgpr_spill_count: 0
    .symbol:         _ZN7rocprim17ROCPRIM_400000_NS6detail17trampoline_kernelINS0_14default_configENS1_22reduce_config_selectorIN6thrust23THRUST_200600_302600_NS5tupleIblNS6_9null_typeES8_S8_S8_S8_S8_S8_S8_EEEEZNS1_11reduce_implILb1ES3_PS9_SC_S9_NS6_11hip_rocprim9__find_if7functorIS9_EEEE10hipError_tPvRmT1_T2_T3_mT4_P12ihipStream_tbEUlT_E0_NS1_11comp_targetILNS1_3genE5ELNS1_11target_archE942ELNS1_3gpuE9ELNS1_3repE0EEENS1_30default_config_static_selectorELNS0_4arch9wavefront6targetE0EEEvSK_.kd
    .uniform_work_group_size: 1
    .uses_dynamic_stack: false
    .vgpr_count:     0
    .vgpr_spill_count: 0
    .wavefront_size: 32
  - .args:
      - .offset:         0
        .size:           72
        .value_kind:     by_value
    .group_segment_fixed_size: 0
    .kernarg_segment_align: 8
    .kernarg_segment_size: 72
    .language:       OpenCL C
    .language_version:
      - 2
      - 0
    .max_flat_workgroup_size: 256
    .name:           _ZN7rocprim17ROCPRIM_400000_NS6detail17trampoline_kernelINS0_14default_configENS1_22reduce_config_selectorIN6thrust23THRUST_200600_302600_NS5tupleIblNS6_9null_typeES8_S8_S8_S8_S8_S8_S8_EEEEZNS1_11reduce_implILb1ES3_PS9_SC_S9_NS6_11hip_rocprim9__find_if7functorIS9_EEEE10hipError_tPvRmT1_T2_T3_mT4_P12ihipStream_tbEUlT_E0_NS1_11comp_targetILNS1_3genE4ELNS1_11target_archE910ELNS1_3gpuE8ELNS1_3repE0EEENS1_30default_config_static_selectorELNS0_4arch9wavefront6targetE0EEEvSK_
    .private_segment_fixed_size: 0
    .sgpr_count:     0
    .sgpr_spill_count: 0
    .symbol:         _ZN7rocprim17ROCPRIM_400000_NS6detail17trampoline_kernelINS0_14default_configENS1_22reduce_config_selectorIN6thrust23THRUST_200600_302600_NS5tupleIblNS6_9null_typeES8_S8_S8_S8_S8_S8_S8_EEEEZNS1_11reduce_implILb1ES3_PS9_SC_S9_NS6_11hip_rocprim9__find_if7functorIS9_EEEE10hipError_tPvRmT1_T2_T3_mT4_P12ihipStream_tbEUlT_E0_NS1_11comp_targetILNS1_3genE4ELNS1_11target_archE910ELNS1_3gpuE8ELNS1_3repE0EEENS1_30default_config_static_selectorELNS0_4arch9wavefront6targetE0EEEvSK_.kd
    .uniform_work_group_size: 1
    .uses_dynamic_stack: false
    .vgpr_count:     0
    .vgpr_spill_count: 0
    .wavefront_size: 32
  - .args:
      - .offset:         0
        .size:           72
        .value_kind:     by_value
    .group_segment_fixed_size: 0
    .kernarg_segment_align: 8
    .kernarg_segment_size: 72
    .language:       OpenCL C
    .language_version:
      - 2
      - 0
    .max_flat_workgroup_size: 128
    .name:           _ZN7rocprim17ROCPRIM_400000_NS6detail17trampoline_kernelINS0_14default_configENS1_22reduce_config_selectorIN6thrust23THRUST_200600_302600_NS5tupleIblNS6_9null_typeES8_S8_S8_S8_S8_S8_S8_EEEEZNS1_11reduce_implILb1ES3_PS9_SC_S9_NS6_11hip_rocprim9__find_if7functorIS9_EEEE10hipError_tPvRmT1_T2_T3_mT4_P12ihipStream_tbEUlT_E0_NS1_11comp_targetILNS1_3genE3ELNS1_11target_archE908ELNS1_3gpuE7ELNS1_3repE0EEENS1_30default_config_static_selectorELNS0_4arch9wavefront6targetE0EEEvSK_
    .private_segment_fixed_size: 0
    .sgpr_count:     0
    .sgpr_spill_count: 0
    .symbol:         _ZN7rocprim17ROCPRIM_400000_NS6detail17trampoline_kernelINS0_14default_configENS1_22reduce_config_selectorIN6thrust23THRUST_200600_302600_NS5tupleIblNS6_9null_typeES8_S8_S8_S8_S8_S8_S8_EEEEZNS1_11reduce_implILb1ES3_PS9_SC_S9_NS6_11hip_rocprim9__find_if7functorIS9_EEEE10hipError_tPvRmT1_T2_T3_mT4_P12ihipStream_tbEUlT_E0_NS1_11comp_targetILNS1_3genE3ELNS1_11target_archE908ELNS1_3gpuE7ELNS1_3repE0EEENS1_30default_config_static_selectorELNS0_4arch9wavefront6targetE0EEEvSK_.kd
    .uniform_work_group_size: 1
    .uses_dynamic_stack: false
    .vgpr_count:     0
    .vgpr_spill_count: 0
    .wavefront_size: 32
  - .args:
      - .offset:         0
        .size:           72
        .value_kind:     by_value
    .group_segment_fixed_size: 0
    .kernarg_segment_align: 8
    .kernarg_segment_size: 72
    .language:       OpenCL C
    .language_version:
      - 2
      - 0
    .max_flat_workgroup_size: 128
    .name:           _ZN7rocprim17ROCPRIM_400000_NS6detail17trampoline_kernelINS0_14default_configENS1_22reduce_config_selectorIN6thrust23THRUST_200600_302600_NS5tupleIblNS6_9null_typeES8_S8_S8_S8_S8_S8_S8_EEEEZNS1_11reduce_implILb1ES3_PS9_SC_S9_NS6_11hip_rocprim9__find_if7functorIS9_EEEE10hipError_tPvRmT1_T2_T3_mT4_P12ihipStream_tbEUlT_E0_NS1_11comp_targetILNS1_3genE2ELNS1_11target_archE906ELNS1_3gpuE6ELNS1_3repE0EEENS1_30default_config_static_selectorELNS0_4arch9wavefront6targetE0EEEvSK_
    .private_segment_fixed_size: 0
    .sgpr_count:     0
    .sgpr_spill_count: 0
    .symbol:         _ZN7rocprim17ROCPRIM_400000_NS6detail17trampoline_kernelINS0_14default_configENS1_22reduce_config_selectorIN6thrust23THRUST_200600_302600_NS5tupleIblNS6_9null_typeES8_S8_S8_S8_S8_S8_S8_EEEEZNS1_11reduce_implILb1ES3_PS9_SC_S9_NS6_11hip_rocprim9__find_if7functorIS9_EEEE10hipError_tPvRmT1_T2_T3_mT4_P12ihipStream_tbEUlT_E0_NS1_11comp_targetILNS1_3genE2ELNS1_11target_archE906ELNS1_3gpuE6ELNS1_3repE0EEENS1_30default_config_static_selectorELNS0_4arch9wavefront6targetE0EEEvSK_.kd
    .uniform_work_group_size: 1
    .uses_dynamic_stack: false
    .vgpr_count:     0
    .vgpr_spill_count: 0
    .wavefront_size: 32
  - .args:
      - .offset:         0
        .size:           72
        .value_kind:     by_value
    .group_segment_fixed_size: 0
    .kernarg_segment_align: 8
    .kernarg_segment_size: 72
    .language:       OpenCL C
    .language_version:
      - 2
      - 0
    .max_flat_workgroup_size: 256
    .name:           _ZN7rocprim17ROCPRIM_400000_NS6detail17trampoline_kernelINS0_14default_configENS1_22reduce_config_selectorIN6thrust23THRUST_200600_302600_NS5tupleIblNS6_9null_typeES8_S8_S8_S8_S8_S8_S8_EEEEZNS1_11reduce_implILb1ES3_PS9_SC_S9_NS6_11hip_rocprim9__find_if7functorIS9_EEEE10hipError_tPvRmT1_T2_T3_mT4_P12ihipStream_tbEUlT_E0_NS1_11comp_targetILNS1_3genE10ELNS1_11target_archE1201ELNS1_3gpuE5ELNS1_3repE0EEENS1_30default_config_static_selectorELNS0_4arch9wavefront6targetE0EEEvSK_
    .private_segment_fixed_size: 0
    .sgpr_count:     0
    .sgpr_spill_count: 0
    .symbol:         _ZN7rocprim17ROCPRIM_400000_NS6detail17trampoline_kernelINS0_14default_configENS1_22reduce_config_selectorIN6thrust23THRUST_200600_302600_NS5tupleIblNS6_9null_typeES8_S8_S8_S8_S8_S8_S8_EEEEZNS1_11reduce_implILb1ES3_PS9_SC_S9_NS6_11hip_rocprim9__find_if7functorIS9_EEEE10hipError_tPvRmT1_T2_T3_mT4_P12ihipStream_tbEUlT_E0_NS1_11comp_targetILNS1_3genE10ELNS1_11target_archE1201ELNS1_3gpuE5ELNS1_3repE0EEENS1_30default_config_static_selectorELNS0_4arch9wavefront6targetE0EEEvSK_.kd
    .uniform_work_group_size: 1
    .uses_dynamic_stack: false
    .vgpr_count:     0
    .vgpr_spill_count: 0
    .wavefront_size: 32
  - .args:
      - .offset:         0
        .size:           72
        .value_kind:     by_value
    .group_segment_fixed_size: 0
    .kernarg_segment_align: 8
    .kernarg_segment_size: 72
    .language:       OpenCL C
    .language_version:
      - 2
      - 0
    .max_flat_workgroup_size: 256
    .name:           _ZN7rocprim17ROCPRIM_400000_NS6detail17trampoline_kernelINS0_14default_configENS1_22reduce_config_selectorIN6thrust23THRUST_200600_302600_NS5tupleIblNS6_9null_typeES8_S8_S8_S8_S8_S8_S8_EEEEZNS1_11reduce_implILb1ES3_PS9_SC_S9_NS6_11hip_rocprim9__find_if7functorIS9_EEEE10hipError_tPvRmT1_T2_T3_mT4_P12ihipStream_tbEUlT_E0_NS1_11comp_targetILNS1_3genE10ELNS1_11target_archE1200ELNS1_3gpuE4ELNS1_3repE0EEENS1_30default_config_static_selectorELNS0_4arch9wavefront6targetE0EEEvSK_
    .private_segment_fixed_size: 0
    .sgpr_count:     0
    .sgpr_spill_count: 0
    .symbol:         _ZN7rocprim17ROCPRIM_400000_NS6detail17trampoline_kernelINS0_14default_configENS1_22reduce_config_selectorIN6thrust23THRUST_200600_302600_NS5tupleIblNS6_9null_typeES8_S8_S8_S8_S8_S8_S8_EEEEZNS1_11reduce_implILb1ES3_PS9_SC_S9_NS6_11hip_rocprim9__find_if7functorIS9_EEEE10hipError_tPvRmT1_T2_T3_mT4_P12ihipStream_tbEUlT_E0_NS1_11comp_targetILNS1_3genE10ELNS1_11target_archE1200ELNS1_3gpuE4ELNS1_3repE0EEENS1_30default_config_static_selectorELNS0_4arch9wavefront6targetE0EEEvSK_.kd
    .uniform_work_group_size: 1
    .uses_dynamic_stack: false
    .vgpr_count:     0
    .vgpr_spill_count: 0
    .wavefront_size: 32
  - .args:
      - .offset:         0
        .size:           72
        .value_kind:     by_value
    .group_segment_fixed_size: 0
    .kernarg_segment_align: 8
    .kernarg_segment_size: 72
    .language:       OpenCL C
    .language_version:
      - 2
      - 0
    .max_flat_workgroup_size: 256
    .name:           _ZN7rocprim17ROCPRIM_400000_NS6detail17trampoline_kernelINS0_14default_configENS1_22reduce_config_selectorIN6thrust23THRUST_200600_302600_NS5tupleIblNS6_9null_typeES8_S8_S8_S8_S8_S8_S8_EEEEZNS1_11reduce_implILb1ES3_PS9_SC_S9_NS6_11hip_rocprim9__find_if7functorIS9_EEEE10hipError_tPvRmT1_T2_T3_mT4_P12ihipStream_tbEUlT_E0_NS1_11comp_targetILNS1_3genE9ELNS1_11target_archE1100ELNS1_3gpuE3ELNS1_3repE0EEENS1_30default_config_static_selectorELNS0_4arch9wavefront6targetE0EEEvSK_
    .private_segment_fixed_size: 0
    .sgpr_count:     0
    .sgpr_spill_count: 0
    .symbol:         _ZN7rocprim17ROCPRIM_400000_NS6detail17trampoline_kernelINS0_14default_configENS1_22reduce_config_selectorIN6thrust23THRUST_200600_302600_NS5tupleIblNS6_9null_typeES8_S8_S8_S8_S8_S8_S8_EEEEZNS1_11reduce_implILb1ES3_PS9_SC_S9_NS6_11hip_rocprim9__find_if7functorIS9_EEEE10hipError_tPvRmT1_T2_T3_mT4_P12ihipStream_tbEUlT_E0_NS1_11comp_targetILNS1_3genE9ELNS1_11target_archE1100ELNS1_3gpuE3ELNS1_3repE0EEENS1_30default_config_static_selectorELNS0_4arch9wavefront6targetE0EEEvSK_.kd
    .uniform_work_group_size: 1
    .uses_dynamic_stack: false
    .vgpr_count:     0
    .vgpr_spill_count: 0
    .wavefront_size: 32
  - .args:
      - .offset:         0
        .size:           72
        .value_kind:     by_value
    .group_segment_fixed_size: 0
    .kernarg_segment_align: 8
    .kernarg_segment_size: 72
    .language:       OpenCL C
    .language_version:
      - 2
      - 0
    .max_flat_workgroup_size: 256
    .name:           _ZN7rocprim17ROCPRIM_400000_NS6detail17trampoline_kernelINS0_14default_configENS1_22reduce_config_selectorIN6thrust23THRUST_200600_302600_NS5tupleIblNS6_9null_typeES8_S8_S8_S8_S8_S8_S8_EEEEZNS1_11reduce_implILb1ES3_PS9_SC_S9_NS6_11hip_rocprim9__find_if7functorIS9_EEEE10hipError_tPvRmT1_T2_T3_mT4_P12ihipStream_tbEUlT_E0_NS1_11comp_targetILNS1_3genE8ELNS1_11target_archE1030ELNS1_3gpuE2ELNS1_3repE0EEENS1_30default_config_static_selectorELNS0_4arch9wavefront6targetE0EEEvSK_
    .private_segment_fixed_size: 0
    .sgpr_count:     0
    .sgpr_spill_count: 0
    .symbol:         _ZN7rocprim17ROCPRIM_400000_NS6detail17trampoline_kernelINS0_14default_configENS1_22reduce_config_selectorIN6thrust23THRUST_200600_302600_NS5tupleIblNS6_9null_typeES8_S8_S8_S8_S8_S8_S8_EEEEZNS1_11reduce_implILb1ES3_PS9_SC_S9_NS6_11hip_rocprim9__find_if7functorIS9_EEEE10hipError_tPvRmT1_T2_T3_mT4_P12ihipStream_tbEUlT_E0_NS1_11comp_targetILNS1_3genE8ELNS1_11target_archE1030ELNS1_3gpuE2ELNS1_3repE0EEENS1_30default_config_static_selectorELNS0_4arch9wavefront6targetE0EEEvSK_.kd
    .uniform_work_group_size: 1
    .uses_dynamic_stack: false
    .vgpr_count:     0
    .vgpr_spill_count: 0
    .wavefront_size: 32
  - .args:
      - .offset:         0
        .size:           56
        .value_kind:     by_value
    .group_segment_fixed_size: 320
    .kernarg_segment_align: 8
    .kernarg_segment_size: 56
    .language:       OpenCL C
    .language_version:
      - 2
      - 0
    .max_flat_workgroup_size: 128
    .name:           _ZN7rocprim17ROCPRIM_400000_NS6detail17trampoline_kernelINS0_14default_configENS1_22reduce_config_selectorIN6thrust23THRUST_200600_302600_NS5tupleIblNS6_9null_typeES8_S8_S8_S8_S8_S8_S8_EEEEZNS1_11reduce_implILb1ES3_PS9_SC_S9_NS6_11hip_rocprim9__find_if7functorIS9_EEEE10hipError_tPvRmT1_T2_T3_mT4_P12ihipStream_tbEUlT_E1_NS1_11comp_targetILNS1_3genE0ELNS1_11target_archE4294967295ELNS1_3gpuE0ELNS1_3repE0EEENS1_30default_config_static_selectorELNS0_4arch9wavefront6targetE0EEEvSK_
    .private_segment_fixed_size: 0
    .sgpr_count:     22
    .sgpr_spill_count: 0
    .symbol:         _ZN7rocprim17ROCPRIM_400000_NS6detail17trampoline_kernelINS0_14default_configENS1_22reduce_config_selectorIN6thrust23THRUST_200600_302600_NS5tupleIblNS6_9null_typeES8_S8_S8_S8_S8_S8_S8_EEEEZNS1_11reduce_implILb1ES3_PS9_SC_S9_NS6_11hip_rocprim9__find_if7functorIS9_EEEE10hipError_tPvRmT1_T2_T3_mT4_P12ihipStream_tbEUlT_E1_NS1_11comp_targetILNS1_3genE0ELNS1_11target_archE4294967295ELNS1_3gpuE0ELNS1_3repE0EEENS1_30default_config_static_selectorELNS0_4arch9wavefront6targetE0EEEvSK_.kd
    .uniform_work_group_size: 1
    .uses_dynamic_stack: false
    .vgpr_count:     27
    .vgpr_spill_count: 0
    .wavefront_size: 32
  - .args:
      - .offset:         0
        .size:           56
        .value_kind:     by_value
    .group_segment_fixed_size: 0
    .kernarg_segment_align: 8
    .kernarg_segment_size: 56
    .language:       OpenCL C
    .language_version:
      - 2
      - 0
    .max_flat_workgroup_size: 256
    .name:           _ZN7rocprim17ROCPRIM_400000_NS6detail17trampoline_kernelINS0_14default_configENS1_22reduce_config_selectorIN6thrust23THRUST_200600_302600_NS5tupleIblNS6_9null_typeES8_S8_S8_S8_S8_S8_S8_EEEEZNS1_11reduce_implILb1ES3_PS9_SC_S9_NS6_11hip_rocprim9__find_if7functorIS9_EEEE10hipError_tPvRmT1_T2_T3_mT4_P12ihipStream_tbEUlT_E1_NS1_11comp_targetILNS1_3genE5ELNS1_11target_archE942ELNS1_3gpuE9ELNS1_3repE0EEENS1_30default_config_static_selectorELNS0_4arch9wavefront6targetE0EEEvSK_
    .private_segment_fixed_size: 0
    .sgpr_count:     0
    .sgpr_spill_count: 0
    .symbol:         _ZN7rocprim17ROCPRIM_400000_NS6detail17trampoline_kernelINS0_14default_configENS1_22reduce_config_selectorIN6thrust23THRUST_200600_302600_NS5tupleIblNS6_9null_typeES8_S8_S8_S8_S8_S8_S8_EEEEZNS1_11reduce_implILb1ES3_PS9_SC_S9_NS6_11hip_rocprim9__find_if7functorIS9_EEEE10hipError_tPvRmT1_T2_T3_mT4_P12ihipStream_tbEUlT_E1_NS1_11comp_targetILNS1_3genE5ELNS1_11target_archE942ELNS1_3gpuE9ELNS1_3repE0EEENS1_30default_config_static_selectorELNS0_4arch9wavefront6targetE0EEEvSK_.kd
    .uniform_work_group_size: 1
    .uses_dynamic_stack: false
    .vgpr_count:     0
    .vgpr_spill_count: 0
    .wavefront_size: 32
  - .args:
      - .offset:         0
        .size:           56
        .value_kind:     by_value
    .group_segment_fixed_size: 0
    .kernarg_segment_align: 8
    .kernarg_segment_size: 56
    .language:       OpenCL C
    .language_version:
      - 2
      - 0
    .max_flat_workgroup_size: 256
    .name:           _ZN7rocprim17ROCPRIM_400000_NS6detail17trampoline_kernelINS0_14default_configENS1_22reduce_config_selectorIN6thrust23THRUST_200600_302600_NS5tupleIblNS6_9null_typeES8_S8_S8_S8_S8_S8_S8_EEEEZNS1_11reduce_implILb1ES3_PS9_SC_S9_NS6_11hip_rocprim9__find_if7functorIS9_EEEE10hipError_tPvRmT1_T2_T3_mT4_P12ihipStream_tbEUlT_E1_NS1_11comp_targetILNS1_3genE4ELNS1_11target_archE910ELNS1_3gpuE8ELNS1_3repE0EEENS1_30default_config_static_selectorELNS0_4arch9wavefront6targetE0EEEvSK_
    .private_segment_fixed_size: 0
    .sgpr_count:     0
    .sgpr_spill_count: 0
    .symbol:         _ZN7rocprim17ROCPRIM_400000_NS6detail17trampoline_kernelINS0_14default_configENS1_22reduce_config_selectorIN6thrust23THRUST_200600_302600_NS5tupleIblNS6_9null_typeES8_S8_S8_S8_S8_S8_S8_EEEEZNS1_11reduce_implILb1ES3_PS9_SC_S9_NS6_11hip_rocprim9__find_if7functorIS9_EEEE10hipError_tPvRmT1_T2_T3_mT4_P12ihipStream_tbEUlT_E1_NS1_11comp_targetILNS1_3genE4ELNS1_11target_archE910ELNS1_3gpuE8ELNS1_3repE0EEENS1_30default_config_static_selectorELNS0_4arch9wavefront6targetE0EEEvSK_.kd
    .uniform_work_group_size: 1
    .uses_dynamic_stack: false
    .vgpr_count:     0
    .vgpr_spill_count: 0
    .wavefront_size: 32
  - .args:
      - .offset:         0
        .size:           56
        .value_kind:     by_value
    .group_segment_fixed_size: 0
    .kernarg_segment_align: 8
    .kernarg_segment_size: 56
    .language:       OpenCL C
    .language_version:
      - 2
      - 0
    .max_flat_workgroup_size: 128
    .name:           _ZN7rocprim17ROCPRIM_400000_NS6detail17trampoline_kernelINS0_14default_configENS1_22reduce_config_selectorIN6thrust23THRUST_200600_302600_NS5tupleIblNS6_9null_typeES8_S8_S8_S8_S8_S8_S8_EEEEZNS1_11reduce_implILb1ES3_PS9_SC_S9_NS6_11hip_rocprim9__find_if7functorIS9_EEEE10hipError_tPvRmT1_T2_T3_mT4_P12ihipStream_tbEUlT_E1_NS1_11comp_targetILNS1_3genE3ELNS1_11target_archE908ELNS1_3gpuE7ELNS1_3repE0EEENS1_30default_config_static_selectorELNS0_4arch9wavefront6targetE0EEEvSK_
    .private_segment_fixed_size: 0
    .sgpr_count:     0
    .sgpr_spill_count: 0
    .symbol:         _ZN7rocprim17ROCPRIM_400000_NS6detail17trampoline_kernelINS0_14default_configENS1_22reduce_config_selectorIN6thrust23THRUST_200600_302600_NS5tupleIblNS6_9null_typeES8_S8_S8_S8_S8_S8_S8_EEEEZNS1_11reduce_implILb1ES3_PS9_SC_S9_NS6_11hip_rocprim9__find_if7functorIS9_EEEE10hipError_tPvRmT1_T2_T3_mT4_P12ihipStream_tbEUlT_E1_NS1_11comp_targetILNS1_3genE3ELNS1_11target_archE908ELNS1_3gpuE7ELNS1_3repE0EEENS1_30default_config_static_selectorELNS0_4arch9wavefront6targetE0EEEvSK_.kd
    .uniform_work_group_size: 1
    .uses_dynamic_stack: false
    .vgpr_count:     0
    .vgpr_spill_count: 0
    .wavefront_size: 32
  - .args:
      - .offset:         0
        .size:           56
        .value_kind:     by_value
    .group_segment_fixed_size: 0
    .kernarg_segment_align: 8
    .kernarg_segment_size: 56
    .language:       OpenCL C
    .language_version:
      - 2
      - 0
    .max_flat_workgroup_size: 128
    .name:           _ZN7rocprim17ROCPRIM_400000_NS6detail17trampoline_kernelINS0_14default_configENS1_22reduce_config_selectorIN6thrust23THRUST_200600_302600_NS5tupleIblNS6_9null_typeES8_S8_S8_S8_S8_S8_S8_EEEEZNS1_11reduce_implILb1ES3_PS9_SC_S9_NS6_11hip_rocprim9__find_if7functorIS9_EEEE10hipError_tPvRmT1_T2_T3_mT4_P12ihipStream_tbEUlT_E1_NS1_11comp_targetILNS1_3genE2ELNS1_11target_archE906ELNS1_3gpuE6ELNS1_3repE0EEENS1_30default_config_static_selectorELNS0_4arch9wavefront6targetE0EEEvSK_
    .private_segment_fixed_size: 0
    .sgpr_count:     0
    .sgpr_spill_count: 0
    .symbol:         _ZN7rocprim17ROCPRIM_400000_NS6detail17trampoline_kernelINS0_14default_configENS1_22reduce_config_selectorIN6thrust23THRUST_200600_302600_NS5tupleIblNS6_9null_typeES8_S8_S8_S8_S8_S8_S8_EEEEZNS1_11reduce_implILb1ES3_PS9_SC_S9_NS6_11hip_rocprim9__find_if7functorIS9_EEEE10hipError_tPvRmT1_T2_T3_mT4_P12ihipStream_tbEUlT_E1_NS1_11comp_targetILNS1_3genE2ELNS1_11target_archE906ELNS1_3gpuE6ELNS1_3repE0EEENS1_30default_config_static_selectorELNS0_4arch9wavefront6targetE0EEEvSK_.kd
    .uniform_work_group_size: 1
    .uses_dynamic_stack: false
    .vgpr_count:     0
    .vgpr_spill_count: 0
    .wavefront_size: 32
  - .args:
      - .offset:         0
        .size:           56
        .value_kind:     by_value
    .group_segment_fixed_size: 0
    .kernarg_segment_align: 8
    .kernarg_segment_size: 56
    .language:       OpenCL C
    .language_version:
      - 2
      - 0
    .max_flat_workgroup_size: 256
    .name:           _ZN7rocprim17ROCPRIM_400000_NS6detail17trampoline_kernelINS0_14default_configENS1_22reduce_config_selectorIN6thrust23THRUST_200600_302600_NS5tupleIblNS6_9null_typeES8_S8_S8_S8_S8_S8_S8_EEEEZNS1_11reduce_implILb1ES3_PS9_SC_S9_NS6_11hip_rocprim9__find_if7functorIS9_EEEE10hipError_tPvRmT1_T2_T3_mT4_P12ihipStream_tbEUlT_E1_NS1_11comp_targetILNS1_3genE10ELNS1_11target_archE1201ELNS1_3gpuE5ELNS1_3repE0EEENS1_30default_config_static_selectorELNS0_4arch9wavefront6targetE0EEEvSK_
    .private_segment_fixed_size: 0
    .sgpr_count:     0
    .sgpr_spill_count: 0
    .symbol:         _ZN7rocprim17ROCPRIM_400000_NS6detail17trampoline_kernelINS0_14default_configENS1_22reduce_config_selectorIN6thrust23THRUST_200600_302600_NS5tupleIblNS6_9null_typeES8_S8_S8_S8_S8_S8_S8_EEEEZNS1_11reduce_implILb1ES3_PS9_SC_S9_NS6_11hip_rocprim9__find_if7functorIS9_EEEE10hipError_tPvRmT1_T2_T3_mT4_P12ihipStream_tbEUlT_E1_NS1_11comp_targetILNS1_3genE10ELNS1_11target_archE1201ELNS1_3gpuE5ELNS1_3repE0EEENS1_30default_config_static_selectorELNS0_4arch9wavefront6targetE0EEEvSK_.kd
    .uniform_work_group_size: 1
    .uses_dynamic_stack: false
    .vgpr_count:     0
    .vgpr_spill_count: 0
    .wavefront_size: 32
  - .args:
      - .offset:         0
        .size:           56
        .value_kind:     by_value
    .group_segment_fixed_size: 0
    .kernarg_segment_align: 8
    .kernarg_segment_size: 56
    .language:       OpenCL C
    .language_version:
      - 2
      - 0
    .max_flat_workgroup_size: 256
    .name:           _ZN7rocprim17ROCPRIM_400000_NS6detail17trampoline_kernelINS0_14default_configENS1_22reduce_config_selectorIN6thrust23THRUST_200600_302600_NS5tupleIblNS6_9null_typeES8_S8_S8_S8_S8_S8_S8_EEEEZNS1_11reduce_implILb1ES3_PS9_SC_S9_NS6_11hip_rocprim9__find_if7functorIS9_EEEE10hipError_tPvRmT1_T2_T3_mT4_P12ihipStream_tbEUlT_E1_NS1_11comp_targetILNS1_3genE10ELNS1_11target_archE1200ELNS1_3gpuE4ELNS1_3repE0EEENS1_30default_config_static_selectorELNS0_4arch9wavefront6targetE0EEEvSK_
    .private_segment_fixed_size: 0
    .sgpr_count:     0
    .sgpr_spill_count: 0
    .symbol:         _ZN7rocprim17ROCPRIM_400000_NS6detail17trampoline_kernelINS0_14default_configENS1_22reduce_config_selectorIN6thrust23THRUST_200600_302600_NS5tupleIblNS6_9null_typeES8_S8_S8_S8_S8_S8_S8_EEEEZNS1_11reduce_implILb1ES3_PS9_SC_S9_NS6_11hip_rocprim9__find_if7functorIS9_EEEE10hipError_tPvRmT1_T2_T3_mT4_P12ihipStream_tbEUlT_E1_NS1_11comp_targetILNS1_3genE10ELNS1_11target_archE1200ELNS1_3gpuE4ELNS1_3repE0EEENS1_30default_config_static_selectorELNS0_4arch9wavefront6targetE0EEEvSK_.kd
    .uniform_work_group_size: 1
    .uses_dynamic_stack: false
    .vgpr_count:     0
    .vgpr_spill_count: 0
    .wavefront_size: 32
  - .args:
      - .offset:         0
        .size:           56
        .value_kind:     by_value
    .group_segment_fixed_size: 0
    .kernarg_segment_align: 8
    .kernarg_segment_size: 56
    .language:       OpenCL C
    .language_version:
      - 2
      - 0
    .max_flat_workgroup_size: 256
    .name:           _ZN7rocprim17ROCPRIM_400000_NS6detail17trampoline_kernelINS0_14default_configENS1_22reduce_config_selectorIN6thrust23THRUST_200600_302600_NS5tupleIblNS6_9null_typeES8_S8_S8_S8_S8_S8_S8_EEEEZNS1_11reduce_implILb1ES3_PS9_SC_S9_NS6_11hip_rocprim9__find_if7functorIS9_EEEE10hipError_tPvRmT1_T2_T3_mT4_P12ihipStream_tbEUlT_E1_NS1_11comp_targetILNS1_3genE9ELNS1_11target_archE1100ELNS1_3gpuE3ELNS1_3repE0EEENS1_30default_config_static_selectorELNS0_4arch9wavefront6targetE0EEEvSK_
    .private_segment_fixed_size: 0
    .sgpr_count:     0
    .sgpr_spill_count: 0
    .symbol:         _ZN7rocprim17ROCPRIM_400000_NS6detail17trampoline_kernelINS0_14default_configENS1_22reduce_config_selectorIN6thrust23THRUST_200600_302600_NS5tupleIblNS6_9null_typeES8_S8_S8_S8_S8_S8_S8_EEEEZNS1_11reduce_implILb1ES3_PS9_SC_S9_NS6_11hip_rocprim9__find_if7functorIS9_EEEE10hipError_tPvRmT1_T2_T3_mT4_P12ihipStream_tbEUlT_E1_NS1_11comp_targetILNS1_3genE9ELNS1_11target_archE1100ELNS1_3gpuE3ELNS1_3repE0EEENS1_30default_config_static_selectorELNS0_4arch9wavefront6targetE0EEEvSK_.kd
    .uniform_work_group_size: 1
    .uses_dynamic_stack: false
    .vgpr_count:     0
    .vgpr_spill_count: 0
    .wavefront_size: 32
  - .args:
      - .offset:         0
        .size:           56
        .value_kind:     by_value
    .group_segment_fixed_size: 0
    .kernarg_segment_align: 8
    .kernarg_segment_size: 56
    .language:       OpenCL C
    .language_version:
      - 2
      - 0
    .max_flat_workgroup_size: 256
    .name:           _ZN7rocprim17ROCPRIM_400000_NS6detail17trampoline_kernelINS0_14default_configENS1_22reduce_config_selectorIN6thrust23THRUST_200600_302600_NS5tupleIblNS6_9null_typeES8_S8_S8_S8_S8_S8_S8_EEEEZNS1_11reduce_implILb1ES3_PS9_SC_S9_NS6_11hip_rocprim9__find_if7functorIS9_EEEE10hipError_tPvRmT1_T2_T3_mT4_P12ihipStream_tbEUlT_E1_NS1_11comp_targetILNS1_3genE8ELNS1_11target_archE1030ELNS1_3gpuE2ELNS1_3repE0EEENS1_30default_config_static_selectorELNS0_4arch9wavefront6targetE0EEEvSK_
    .private_segment_fixed_size: 0
    .sgpr_count:     0
    .sgpr_spill_count: 0
    .symbol:         _ZN7rocprim17ROCPRIM_400000_NS6detail17trampoline_kernelINS0_14default_configENS1_22reduce_config_selectorIN6thrust23THRUST_200600_302600_NS5tupleIblNS6_9null_typeES8_S8_S8_S8_S8_S8_S8_EEEEZNS1_11reduce_implILb1ES3_PS9_SC_S9_NS6_11hip_rocprim9__find_if7functorIS9_EEEE10hipError_tPvRmT1_T2_T3_mT4_P12ihipStream_tbEUlT_E1_NS1_11comp_targetILNS1_3genE8ELNS1_11target_archE1030ELNS1_3gpuE2ELNS1_3repE0EEENS1_30default_config_static_selectorELNS0_4arch9wavefront6targetE0EEEvSK_.kd
    .uniform_work_group_size: 1
    .uses_dynamic_stack: false
    .vgpr_count:     0
    .vgpr_spill_count: 0
    .wavefront_size: 32
  - .args:
      - .offset:         0
        .size:           104
        .value_kind:     by_value
    .group_segment_fixed_size: 128
    .kernarg_segment_align: 8
    .kernarg_segment_size: 104
    .language:       OpenCL C
    .language_version:
      - 2
      - 0
    .max_flat_workgroup_size: 128
    .name:           _ZN7rocprim17ROCPRIM_400000_NS6detail17trampoline_kernelINS0_14default_configENS1_22reduce_config_selectorIN6thrust23THRUST_200600_302600_NS5tupleIblNS6_9null_typeES8_S8_S8_S8_S8_S8_S8_EEEEZNS1_11reduce_implILb1ES3_NS6_12zip_iteratorINS7_INS6_11hip_rocprim26transform_input_iterator_tIbNSD_35transform_pair_of_input_iterators_tIbNS6_6detail15normal_iteratorINS6_10device_ptrIKdEEEESL_NS6_8equal_toIdEEEENSG_9not_fun_tINSD_8identityEEEEENSD_19counting_iterator_tIlEES8_S8_S8_S8_S8_S8_S8_S8_EEEEPS9_S9_NSD_9__find_if7functorIS9_EEEE10hipError_tPvRmT1_T2_T3_mT4_P12ihipStream_tbEUlT_E0_NS1_11comp_targetILNS1_3genE0ELNS1_11target_archE4294967295ELNS1_3gpuE0ELNS1_3repE0EEENS1_30default_config_static_selectorELNS0_4arch9wavefront6targetE0EEEvS14_
    .private_segment_fixed_size: 0
    .sgpr_count:     30
    .sgpr_spill_count: 0
    .symbol:         _ZN7rocprim17ROCPRIM_400000_NS6detail17trampoline_kernelINS0_14default_configENS1_22reduce_config_selectorIN6thrust23THRUST_200600_302600_NS5tupleIblNS6_9null_typeES8_S8_S8_S8_S8_S8_S8_EEEEZNS1_11reduce_implILb1ES3_NS6_12zip_iteratorINS7_INS6_11hip_rocprim26transform_input_iterator_tIbNSD_35transform_pair_of_input_iterators_tIbNS6_6detail15normal_iteratorINS6_10device_ptrIKdEEEESL_NS6_8equal_toIdEEEENSG_9not_fun_tINSD_8identityEEEEENSD_19counting_iterator_tIlEES8_S8_S8_S8_S8_S8_S8_S8_EEEEPS9_S9_NSD_9__find_if7functorIS9_EEEE10hipError_tPvRmT1_T2_T3_mT4_P12ihipStream_tbEUlT_E0_NS1_11comp_targetILNS1_3genE0ELNS1_11target_archE4294967295ELNS1_3gpuE0ELNS1_3repE0EEENS1_30default_config_static_selectorELNS0_4arch9wavefront6targetE0EEEvS14_.kd
    .uniform_work_group_size: 1
    .uses_dynamic_stack: false
    .vgpr_count:     16
    .vgpr_spill_count: 0
    .wavefront_size: 32
  - .args:
      - .offset:         0
        .size:           104
        .value_kind:     by_value
    .group_segment_fixed_size: 0
    .kernarg_segment_align: 8
    .kernarg_segment_size: 104
    .language:       OpenCL C
    .language_version:
      - 2
      - 0
    .max_flat_workgroup_size: 256
    .name:           _ZN7rocprim17ROCPRIM_400000_NS6detail17trampoline_kernelINS0_14default_configENS1_22reduce_config_selectorIN6thrust23THRUST_200600_302600_NS5tupleIblNS6_9null_typeES8_S8_S8_S8_S8_S8_S8_EEEEZNS1_11reduce_implILb1ES3_NS6_12zip_iteratorINS7_INS6_11hip_rocprim26transform_input_iterator_tIbNSD_35transform_pair_of_input_iterators_tIbNS6_6detail15normal_iteratorINS6_10device_ptrIKdEEEESL_NS6_8equal_toIdEEEENSG_9not_fun_tINSD_8identityEEEEENSD_19counting_iterator_tIlEES8_S8_S8_S8_S8_S8_S8_S8_EEEEPS9_S9_NSD_9__find_if7functorIS9_EEEE10hipError_tPvRmT1_T2_T3_mT4_P12ihipStream_tbEUlT_E0_NS1_11comp_targetILNS1_3genE5ELNS1_11target_archE942ELNS1_3gpuE9ELNS1_3repE0EEENS1_30default_config_static_selectorELNS0_4arch9wavefront6targetE0EEEvS14_
    .private_segment_fixed_size: 0
    .sgpr_count:     0
    .sgpr_spill_count: 0
    .symbol:         _ZN7rocprim17ROCPRIM_400000_NS6detail17trampoline_kernelINS0_14default_configENS1_22reduce_config_selectorIN6thrust23THRUST_200600_302600_NS5tupleIblNS6_9null_typeES8_S8_S8_S8_S8_S8_S8_EEEEZNS1_11reduce_implILb1ES3_NS6_12zip_iteratorINS7_INS6_11hip_rocprim26transform_input_iterator_tIbNSD_35transform_pair_of_input_iterators_tIbNS6_6detail15normal_iteratorINS6_10device_ptrIKdEEEESL_NS6_8equal_toIdEEEENSG_9not_fun_tINSD_8identityEEEEENSD_19counting_iterator_tIlEES8_S8_S8_S8_S8_S8_S8_S8_EEEEPS9_S9_NSD_9__find_if7functorIS9_EEEE10hipError_tPvRmT1_T2_T3_mT4_P12ihipStream_tbEUlT_E0_NS1_11comp_targetILNS1_3genE5ELNS1_11target_archE942ELNS1_3gpuE9ELNS1_3repE0EEENS1_30default_config_static_selectorELNS0_4arch9wavefront6targetE0EEEvS14_.kd
    .uniform_work_group_size: 1
    .uses_dynamic_stack: false
    .vgpr_count:     0
    .vgpr_spill_count: 0
    .wavefront_size: 32
  - .args:
      - .offset:         0
        .size:           104
        .value_kind:     by_value
    .group_segment_fixed_size: 0
    .kernarg_segment_align: 8
    .kernarg_segment_size: 104
    .language:       OpenCL C
    .language_version:
      - 2
      - 0
    .max_flat_workgroup_size: 256
    .name:           _ZN7rocprim17ROCPRIM_400000_NS6detail17trampoline_kernelINS0_14default_configENS1_22reduce_config_selectorIN6thrust23THRUST_200600_302600_NS5tupleIblNS6_9null_typeES8_S8_S8_S8_S8_S8_S8_EEEEZNS1_11reduce_implILb1ES3_NS6_12zip_iteratorINS7_INS6_11hip_rocprim26transform_input_iterator_tIbNSD_35transform_pair_of_input_iterators_tIbNS6_6detail15normal_iteratorINS6_10device_ptrIKdEEEESL_NS6_8equal_toIdEEEENSG_9not_fun_tINSD_8identityEEEEENSD_19counting_iterator_tIlEES8_S8_S8_S8_S8_S8_S8_S8_EEEEPS9_S9_NSD_9__find_if7functorIS9_EEEE10hipError_tPvRmT1_T2_T3_mT4_P12ihipStream_tbEUlT_E0_NS1_11comp_targetILNS1_3genE4ELNS1_11target_archE910ELNS1_3gpuE8ELNS1_3repE0EEENS1_30default_config_static_selectorELNS0_4arch9wavefront6targetE0EEEvS14_
    .private_segment_fixed_size: 0
    .sgpr_count:     0
    .sgpr_spill_count: 0
    .symbol:         _ZN7rocprim17ROCPRIM_400000_NS6detail17trampoline_kernelINS0_14default_configENS1_22reduce_config_selectorIN6thrust23THRUST_200600_302600_NS5tupleIblNS6_9null_typeES8_S8_S8_S8_S8_S8_S8_EEEEZNS1_11reduce_implILb1ES3_NS6_12zip_iteratorINS7_INS6_11hip_rocprim26transform_input_iterator_tIbNSD_35transform_pair_of_input_iterators_tIbNS6_6detail15normal_iteratorINS6_10device_ptrIKdEEEESL_NS6_8equal_toIdEEEENSG_9not_fun_tINSD_8identityEEEEENSD_19counting_iterator_tIlEES8_S8_S8_S8_S8_S8_S8_S8_EEEEPS9_S9_NSD_9__find_if7functorIS9_EEEE10hipError_tPvRmT1_T2_T3_mT4_P12ihipStream_tbEUlT_E0_NS1_11comp_targetILNS1_3genE4ELNS1_11target_archE910ELNS1_3gpuE8ELNS1_3repE0EEENS1_30default_config_static_selectorELNS0_4arch9wavefront6targetE0EEEvS14_.kd
    .uniform_work_group_size: 1
    .uses_dynamic_stack: false
    .vgpr_count:     0
    .vgpr_spill_count: 0
    .wavefront_size: 32
  - .args:
      - .offset:         0
        .size:           104
        .value_kind:     by_value
    .group_segment_fixed_size: 0
    .kernarg_segment_align: 8
    .kernarg_segment_size: 104
    .language:       OpenCL C
    .language_version:
      - 2
      - 0
    .max_flat_workgroup_size: 128
    .name:           _ZN7rocprim17ROCPRIM_400000_NS6detail17trampoline_kernelINS0_14default_configENS1_22reduce_config_selectorIN6thrust23THRUST_200600_302600_NS5tupleIblNS6_9null_typeES8_S8_S8_S8_S8_S8_S8_EEEEZNS1_11reduce_implILb1ES3_NS6_12zip_iteratorINS7_INS6_11hip_rocprim26transform_input_iterator_tIbNSD_35transform_pair_of_input_iterators_tIbNS6_6detail15normal_iteratorINS6_10device_ptrIKdEEEESL_NS6_8equal_toIdEEEENSG_9not_fun_tINSD_8identityEEEEENSD_19counting_iterator_tIlEES8_S8_S8_S8_S8_S8_S8_S8_EEEEPS9_S9_NSD_9__find_if7functorIS9_EEEE10hipError_tPvRmT1_T2_T3_mT4_P12ihipStream_tbEUlT_E0_NS1_11comp_targetILNS1_3genE3ELNS1_11target_archE908ELNS1_3gpuE7ELNS1_3repE0EEENS1_30default_config_static_selectorELNS0_4arch9wavefront6targetE0EEEvS14_
    .private_segment_fixed_size: 0
    .sgpr_count:     0
    .sgpr_spill_count: 0
    .symbol:         _ZN7rocprim17ROCPRIM_400000_NS6detail17trampoline_kernelINS0_14default_configENS1_22reduce_config_selectorIN6thrust23THRUST_200600_302600_NS5tupleIblNS6_9null_typeES8_S8_S8_S8_S8_S8_S8_EEEEZNS1_11reduce_implILb1ES3_NS6_12zip_iteratorINS7_INS6_11hip_rocprim26transform_input_iterator_tIbNSD_35transform_pair_of_input_iterators_tIbNS6_6detail15normal_iteratorINS6_10device_ptrIKdEEEESL_NS6_8equal_toIdEEEENSG_9not_fun_tINSD_8identityEEEEENSD_19counting_iterator_tIlEES8_S8_S8_S8_S8_S8_S8_S8_EEEEPS9_S9_NSD_9__find_if7functorIS9_EEEE10hipError_tPvRmT1_T2_T3_mT4_P12ihipStream_tbEUlT_E0_NS1_11comp_targetILNS1_3genE3ELNS1_11target_archE908ELNS1_3gpuE7ELNS1_3repE0EEENS1_30default_config_static_selectorELNS0_4arch9wavefront6targetE0EEEvS14_.kd
    .uniform_work_group_size: 1
    .uses_dynamic_stack: false
    .vgpr_count:     0
    .vgpr_spill_count: 0
    .wavefront_size: 32
  - .args:
      - .offset:         0
        .size:           104
        .value_kind:     by_value
    .group_segment_fixed_size: 0
    .kernarg_segment_align: 8
    .kernarg_segment_size: 104
    .language:       OpenCL C
    .language_version:
      - 2
      - 0
    .max_flat_workgroup_size: 128
    .name:           _ZN7rocprim17ROCPRIM_400000_NS6detail17trampoline_kernelINS0_14default_configENS1_22reduce_config_selectorIN6thrust23THRUST_200600_302600_NS5tupleIblNS6_9null_typeES8_S8_S8_S8_S8_S8_S8_EEEEZNS1_11reduce_implILb1ES3_NS6_12zip_iteratorINS7_INS6_11hip_rocprim26transform_input_iterator_tIbNSD_35transform_pair_of_input_iterators_tIbNS6_6detail15normal_iteratorINS6_10device_ptrIKdEEEESL_NS6_8equal_toIdEEEENSG_9not_fun_tINSD_8identityEEEEENSD_19counting_iterator_tIlEES8_S8_S8_S8_S8_S8_S8_S8_EEEEPS9_S9_NSD_9__find_if7functorIS9_EEEE10hipError_tPvRmT1_T2_T3_mT4_P12ihipStream_tbEUlT_E0_NS1_11comp_targetILNS1_3genE2ELNS1_11target_archE906ELNS1_3gpuE6ELNS1_3repE0EEENS1_30default_config_static_selectorELNS0_4arch9wavefront6targetE0EEEvS14_
    .private_segment_fixed_size: 0
    .sgpr_count:     0
    .sgpr_spill_count: 0
    .symbol:         _ZN7rocprim17ROCPRIM_400000_NS6detail17trampoline_kernelINS0_14default_configENS1_22reduce_config_selectorIN6thrust23THRUST_200600_302600_NS5tupleIblNS6_9null_typeES8_S8_S8_S8_S8_S8_S8_EEEEZNS1_11reduce_implILb1ES3_NS6_12zip_iteratorINS7_INS6_11hip_rocprim26transform_input_iterator_tIbNSD_35transform_pair_of_input_iterators_tIbNS6_6detail15normal_iteratorINS6_10device_ptrIKdEEEESL_NS6_8equal_toIdEEEENSG_9not_fun_tINSD_8identityEEEEENSD_19counting_iterator_tIlEES8_S8_S8_S8_S8_S8_S8_S8_EEEEPS9_S9_NSD_9__find_if7functorIS9_EEEE10hipError_tPvRmT1_T2_T3_mT4_P12ihipStream_tbEUlT_E0_NS1_11comp_targetILNS1_3genE2ELNS1_11target_archE906ELNS1_3gpuE6ELNS1_3repE0EEENS1_30default_config_static_selectorELNS0_4arch9wavefront6targetE0EEEvS14_.kd
    .uniform_work_group_size: 1
    .uses_dynamic_stack: false
    .vgpr_count:     0
    .vgpr_spill_count: 0
    .wavefront_size: 32
  - .args:
      - .offset:         0
        .size:           104
        .value_kind:     by_value
    .group_segment_fixed_size: 0
    .kernarg_segment_align: 8
    .kernarg_segment_size: 104
    .language:       OpenCL C
    .language_version:
      - 2
      - 0
    .max_flat_workgroup_size: 256
    .name:           _ZN7rocprim17ROCPRIM_400000_NS6detail17trampoline_kernelINS0_14default_configENS1_22reduce_config_selectorIN6thrust23THRUST_200600_302600_NS5tupleIblNS6_9null_typeES8_S8_S8_S8_S8_S8_S8_EEEEZNS1_11reduce_implILb1ES3_NS6_12zip_iteratorINS7_INS6_11hip_rocprim26transform_input_iterator_tIbNSD_35transform_pair_of_input_iterators_tIbNS6_6detail15normal_iteratorINS6_10device_ptrIKdEEEESL_NS6_8equal_toIdEEEENSG_9not_fun_tINSD_8identityEEEEENSD_19counting_iterator_tIlEES8_S8_S8_S8_S8_S8_S8_S8_EEEEPS9_S9_NSD_9__find_if7functorIS9_EEEE10hipError_tPvRmT1_T2_T3_mT4_P12ihipStream_tbEUlT_E0_NS1_11comp_targetILNS1_3genE10ELNS1_11target_archE1201ELNS1_3gpuE5ELNS1_3repE0EEENS1_30default_config_static_selectorELNS0_4arch9wavefront6targetE0EEEvS14_
    .private_segment_fixed_size: 0
    .sgpr_count:     0
    .sgpr_spill_count: 0
    .symbol:         _ZN7rocprim17ROCPRIM_400000_NS6detail17trampoline_kernelINS0_14default_configENS1_22reduce_config_selectorIN6thrust23THRUST_200600_302600_NS5tupleIblNS6_9null_typeES8_S8_S8_S8_S8_S8_S8_EEEEZNS1_11reduce_implILb1ES3_NS6_12zip_iteratorINS7_INS6_11hip_rocprim26transform_input_iterator_tIbNSD_35transform_pair_of_input_iterators_tIbNS6_6detail15normal_iteratorINS6_10device_ptrIKdEEEESL_NS6_8equal_toIdEEEENSG_9not_fun_tINSD_8identityEEEEENSD_19counting_iterator_tIlEES8_S8_S8_S8_S8_S8_S8_S8_EEEEPS9_S9_NSD_9__find_if7functorIS9_EEEE10hipError_tPvRmT1_T2_T3_mT4_P12ihipStream_tbEUlT_E0_NS1_11comp_targetILNS1_3genE10ELNS1_11target_archE1201ELNS1_3gpuE5ELNS1_3repE0EEENS1_30default_config_static_selectorELNS0_4arch9wavefront6targetE0EEEvS14_.kd
    .uniform_work_group_size: 1
    .uses_dynamic_stack: false
    .vgpr_count:     0
    .vgpr_spill_count: 0
    .wavefront_size: 32
  - .args:
      - .offset:         0
        .size:           104
        .value_kind:     by_value
    .group_segment_fixed_size: 0
    .kernarg_segment_align: 8
    .kernarg_segment_size: 104
    .language:       OpenCL C
    .language_version:
      - 2
      - 0
    .max_flat_workgroup_size: 256
    .name:           _ZN7rocprim17ROCPRIM_400000_NS6detail17trampoline_kernelINS0_14default_configENS1_22reduce_config_selectorIN6thrust23THRUST_200600_302600_NS5tupleIblNS6_9null_typeES8_S8_S8_S8_S8_S8_S8_EEEEZNS1_11reduce_implILb1ES3_NS6_12zip_iteratorINS7_INS6_11hip_rocprim26transform_input_iterator_tIbNSD_35transform_pair_of_input_iterators_tIbNS6_6detail15normal_iteratorINS6_10device_ptrIKdEEEESL_NS6_8equal_toIdEEEENSG_9not_fun_tINSD_8identityEEEEENSD_19counting_iterator_tIlEES8_S8_S8_S8_S8_S8_S8_S8_EEEEPS9_S9_NSD_9__find_if7functorIS9_EEEE10hipError_tPvRmT1_T2_T3_mT4_P12ihipStream_tbEUlT_E0_NS1_11comp_targetILNS1_3genE10ELNS1_11target_archE1200ELNS1_3gpuE4ELNS1_3repE0EEENS1_30default_config_static_selectorELNS0_4arch9wavefront6targetE0EEEvS14_
    .private_segment_fixed_size: 0
    .sgpr_count:     0
    .sgpr_spill_count: 0
    .symbol:         _ZN7rocprim17ROCPRIM_400000_NS6detail17trampoline_kernelINS0_14default_configENS1_22reduce_config_selectorIN6thrust23THRUST_200600_302600_NS5tupleIblNS6_9null_typeES8_S8_S8_S8_S8_S8_S8_EEEEZNS1_11reduce_implILb1ES3_NS6_12zip_iteratorINS7_INS6_11hip_rocprim26transform_input_iterator_tIbNSD_35transform_pair_of_input_iterators_tIbNS6_6detail15normal_iteratorINS6_10device_ptrIKdEEEESL_NS6_8equal_toIdEEEENSG_9not_fun_tINSD_8identityEEEEENSD_19counting_iterator_tIlEES8_S8_S8_S8_S8_S8_S8_S8_EEEEPS9_S9_NSD_9__find_if7functorIS9_EEEE10hipError_tPvRmT1_T2_T3_mT4_P12ihipStream_tbEUlT_E0_NS1_11comp_targetILNS1_3genE10ELNS1_11target_archE1200ELNS1_3gpuE4ELNS1_3repE0EEENS1_30default_config_static_selectorELNS0_4arch9wavefront6targetE0EEEvS14_.kd
    .uniform_work_group_size: 1
    .uses_dynamic_stack: false
    .vgpr_count:     0
    .vgpr_spill_count: 0
    .wavefront_size: 32
  - .args:
      - .offset:         0
        .size:           104
        .value_kind:     by_value
    .group_segment_fixed_size: 0
    .kernarg_segment_align: 8
    .kernarg_segment_size: 104
    .language:       OpenCL C
    .language_version:
      - 2
      - 0
    .max_flat_workgroup_size: 256
    .name:           _ZN7rocprim17ROCPRIM_400000_NS6detail17trampoline_kernelINS0_14default_configENS1_22reduce_config_selectorIN6thrust23THRUST_200600_302600_NS5tupleIblNS6_9null_typeES8_S8_S8_S8_S8_S8_S8_EEEEZNS1_11reduce_implILb1ES3_NS6_12zip_iteratorINS7_INS6_11hip_rocprim26transform_input_iterator_tIbNSD_35transform_pair_of_input_iterators_tIbNS6_6detail15normal_iteratorINS6_10device_ptrIKdEEEESL_NS6_8equal_toIdEEEENSG_9not_fun_tINSD_8identityEEEEENSD_19counting_iterator_tIlEES8_S8_S8_S8_S8_S8_S8_S8_EEEEPS9_S9_NSD_9__find_if7functorIS9_EEEE10hipError_tPvRmT1_T2_T3_mT4_P12ihipStream_tbEUlT_E0_NS1_11comp_targetILNS1_3genE9ELNS1_11target_archE1100ELNS1_3gpuE3ELNS1_3repE0EEENS1_30default_config_static_selectorELNS0_4arch9wavefront6targetE0EEEvS14_
    .private_segment_fixed_size: 0
    .sgpr_count:     0
    .sgpr_spill_count: 0
    .symbol:         _ZN7rocprim17ROCPRIM_400000_NS6detail17trampoline_kernelINS0_14default_configENS1_22reduce_config_selectorIN6thrust23THRUST_200600_302600_NS5tupleIblNS6_9null_typeES8_S8_S8_S8_S8_S8_S8_EEEEZNS1_11reduce_implILb1ES3_NS6_12zip_iteratorINS7_INS6_11hip_rocprim26transform_input_iterator_tIbNSD_35transform_pair_of_input_iterators_tIbNS6_6detail15normal_iteratorINS6_10device_ptrIKdEEEESL_NS6_8equal_toIdEEEENSG_9not_fun_tINSD_8identityEEEEENSD_19counting_iterator_tIlEES8_S8_S8_S8_S8_S8_S8_S8_EEEEPS9_S9_NSD_9__find_if7functorIS9_EEEE10hipError_tPvRmT1_T2_T3_mT4_P12ihipStream_tbEUlT_E0_NS1_11comp_targetILNS1_3genE9ELNS1_11target_archE1100ELNS1_3gpuE3ELNS1_3repE0EEENS1_30default_config_static_selectorELNS0_4arch9wavefront6targetE0EEEvS14_.kd
    .uniform_work_group_size: 1
    .uses_dynamic_stack: false
    .vgpr_count:     0
    .vgpr_spill_count: 0
    .wavefront_size: 32
  - .args:
      - .offset:         0
        .size:           104
        .value_kind:     by_value
    .group_segment_fixed_size: 0
    .kernarg_segment_align: 8
    .kernarg_segment_size: 104
    .language:       OpenCL C
    .language_version:
      - 2
      - 0
    .max_flat_workgroup_size: 256
    .name:           _ZN7rocprim17ROCPRIM_400000_NS6detail17trampoline_kernelINS0_14default_configENS1_22reduce_config_selectorIN6thrust23THRUST_200600_302600_NS5tupleIblNS6_9null_typeES8_S8_S8_S8_S8_S8_S8_EEEEZNS1_11reduce_implILb1ES3_NS6_12zip_iteratorINS7_INS6_11hip_rocprim26transform_input_iterator_tIbNSD_35transform_pair_of_input_iterators_tIbNS6_6detail15normal_iteratorINS6_10device_ptrIKdEEEESL_NS6_8equal_toIdEEEENSG_9not_fun_tINSD_8identityEEEEENSD_19counting_iterator_tIlEES8_S8_S8_S8_S8_S8_S8_S8_EEEEPS9_S9_NSD_9__find_if7functorIS9_EEEE10hipError_tPvRmT1_T2_T3_mT4_P12ihipStream_tbEUlT_E0_NS1_11comp_targetILNS1_3genE8ELNS1_11target_archE1030ELNS1_3gpuE2ELNS1_3repE0EEENS1_30default_config_static_selectorELNS0_4arch9wavefront6targetE0EEEvS14_
    .private_segment_fixed_size: 0
    .sgpr_count:     0
    .sgpr_spill_count: 0
    .symbol:         _ZN7rocprim17ROCPRIM_400000_NS6detail17trampoline_kernelINS0_14default_configENS1_22reduce_config_selectorIN6thrust23THRUST_200600_302600_NS5tupleIblNS6_9null_typeES8_S8_S8_S8_S8_S8_S8_EEEEZNS1_11reduce_implILb1ES3_NS6_12zip_iteratorINS7_INS6_11hip_rocprim26transform_input_iterator_tIbNSD_35transform_pair_of_input_iterators_tIbNS6_6detail15normal_iteratorINS6_10device_ptrIKdEEEESL_NS6_8equal_toIdEEEENSG_9not_fun_tINSD_8identityEEEEENSD_19counting_iterator_tIlEES8_S8_S8_S8_S8_S8_S8_S8_EEEEPS9_S9_NSD_9__find_if7functorIS9_EEEE10hipError_tPvRmT1_T2_T3_mT4_P12ihipStream_tbEUlT_E0_NS1_11comp_targetILNS1_3genE8ELNS1_11target_archE1030ELNS1_3gpuE2ELNS1_3repE0EEENS1_30default_config_static_selectorELNS0_4arch9wavefront6targetE0EEEvS14_.kd
    .uniform_work_group_size: 1
    .uses_dynamic_stack: false
    .vgpr_count:     0
    .vgpr_spill_count: 0
    .wavefront_size: 32
  - .args:
      - .offset:         0
        .size:           88
        .value_kind:     by_value
    .group_segment_fixed_size: 320
    .kernarg_segment_align: 8
    .kernarg_segment_size: 88
    .language:       OpenCL C
    .language_version:
      - 2
      - 0
    .max_flat_workgroup_size: 128
    .name:           _ZN7rocprim17ROCPRIM_400000_NS6detail17trampoline_kernelINS0_14default_configENS1_22reduce_config_selectorIN6thrust23THRUST_200600_302600_NS5tupleIblNS6_9null_typeES8_S8_S8_S8_S8_S8_S8_EEEEZNS1_11reduce_implILb1ES3_NS6_12zip_iteratorINS7_INS6_11hip_rocprim26transform_input_iterator_tIbNSD_35transform_pair_of_input_iterators_tIbNS6_6detail15normal_iteratorINS6_10device_ptrIKdEEEESL_NS6_8equal_toIdEEEENSG_9not_fun_tINSD_8identityEEEEENSD_19counting_iterator_tIlEES8_S8_S8_S8_S8_S8_S8_S8_EEEEPS9_S9_NSD_9__find_if7functorIS9_EEEE10hipError_tPvRmT1_T2_T3_mT4_P12ihipStream_tbEUlT_E1_NS1_11comp_targetILNS1_3genE0ELNS1_11target_archE4294967295ELNS1_3gpuE0ELNS1_3repE0EEENS1_30default_config_static_selectorELNS0_4arch9wavefront6targetE0EEEvS14_
    .private_segment_fixed_size: 0
    .sgpr_count:     30
    .sgpr_spill_count: 0
    .symbol:         _ZN7rocprim17ROCPRIM_400000_NS6detail17trampoline_kernelINS0_14default_configENS1_22reduce_config_selectorIN6thrust23THRUST_200600_302600_NS5tupleIblNS6_9null_typeES8_S8_S8_S8_S8_S8_S8_EEEEZNS1_11reduce_implILb1ES3_NS6_12zip_iteratorINS7_INS6_11hip_rocprim26transform_input_iterator_tIbNSD_35transform_pair_of_input_iterators_tIbNS6_6detail15normal_iteratorINS6_10device_ptrIKdEEEESL_NS6_8equal_toIdEEEENSG_9not_fun_tINSD_8identityEEEEENSD_19counting_iterator_tIlEES8_S8_S8_S8_S8_S8_S8_S8_EEEEPS9_S9_NSD_9__find_if7functorIS9_EEEE10hipError_tPvRmT1_T2_T3_mT4_P12ihipStream_tbEUlT_E1_NS1_11comp_targetILNS1_3genE0ELNS1_11target_archE4294967295ELNS1_3gpuE0ELNS1_3repE0EEENS1_30default_config_static_selectorELNS0_4arch9wavefront6targetE0EEEvS14_.kd
    .uniform_work_group_size: 1
    .uses_dynamic_stack: false
    .vgpr_count:     34
    .vgpr_spill_count: 0
    .wavefront_size: 32
  - .args:
      - .offset:         0
        .size:           88
        .value_kind:     by_value
    .group_segment_fixed_size: 0
    .kernarg_segment_align: 8
    .kernarg_segment_size: 88
    .language:       OpenCL C
    .language_version:
      - 2
      - 0
    .max_flat_workgroup_size: 256
    .name:           _ZN7rocprim17ROCPRIM_400000_NS6detail17trampoline_kernelINS0_14default_configENS1_22reduce_config_selectorIN6thrust23THRUST_200600_302600_NS5tupleIblNS6_9null_typeES8_S8_S8_S8_S8_S8_S8_EEEEZNS1_11reduce_implILb1ES3_NS6_12zip_iteratorINS7_INS6_11hip_rocprim26transform_input_iterator_tIbNSD_35transform_pair_of_input_iterators_tIbNS6_6detail15normal_iteratorINS6_10device_ptrIKdEEEESL_NS6_8equal_toIdEEEENSG_9not_fun_tINSD_8identityEEEEENSD_19counting_iterator_tIlEES8_S8_S8_S8_S8_S8_S8_S8_EEEEPS9_S9_NSD_9__find_if7functorIS9_EEEE10hipError_tPvRmT1_T2_T3_mT4_P12ihipStream_tbEUlT_E1_NS1_11comp_targetILNS1_3genE5ELNS1_11target_archE942ELNS1_3gpuE9ELNS1_3repE0EEENS1_30default_config_static_selectorELNS0_4arch9wavefront6targetE0EEEvS14_
    .private_segment_fixed_size: 0
    .sgpr_count:     0
    .sgpr_spill_count: 0
    .symbol:         _ZN7rocprim17ROCPRIM_400000_NS6detail17trampoline_kernelINS0_14default_configENS1_22reduce_config_selectorIN6thrust23THRUST_200600_302600_NS5tupleIblNS6_9null_typeES8_S8_S8_S8_S8_S8_S8_EEEEZNS1_11reduce_implILb1ES3_NS6_12zip_iteratorINS7_INS6_11hip_rocprim26transform_input_iterator_tIbNSD_35transform_pair_of_input_iterators_tIbNS6_6detail15normal_iteratorINS6_10device_ptrIKdEEEESL_NS6_8equal_toIdEEEENSG_9not_fun_tINSD_8identityEEEEENSD_19counting_iterator_tIlEES8_S8_S8_S8_S8_S8_S8_S8_EEEEPS9_S9_NSD_9__find_if7functorIS9_EEEE10hipError_tPvRmT1_T2_T3_mT4_P12ihipStream_tbEUlT_E1_NS1_11comp_targetILNS1_3genE5ELNS1_11target_archE942ELNS1_3gpuE9ELNS1_3repE0EEENS1_30default_config_static_selectorELNS0_4arch9wavefront6targetE0EEEvS14_.kd
    .uniform_work_group_size: 1
    .uses_dynamic_stack: false
    .vgpr_count:     0
    .vgpr_spill_count: 0
    .wavefront_size: 32
  - .args:
      - .offset:         0
        .size:           88
        .value_kind:     by_value
    .group_segment_fixed_size: 0
    .kernarg_segment_align: 8
    .kernarg_segment_size: 88
    .language:       OpenCL C
    .language_version:
      - 2
      - 0
    .max_flat_workgroup_size: 256
    .name:           _ZN7rocprim17ROCPRIM_400000_NS6detail17trampoline_kernelINS0_14default_configENS1_22reduce_config_selectorIN6thrust23THRUST_200600_302600_NS5tupleIblNS6_9null_typeES8_S8_S8_S8_S8_S8_S8_EEEEZNS1_11reduce_implILb1ES3_NS6_12zip_iteratorINS7_INS6_11hip_rocprim26transform_input_iterator_tIbNSD_35transform_pair_of_input_iterators_tIbNS6_6detail15normal_iteratorINS6_10device_ptrIKdEEEESL_NS6_8equal_toIdEEEENSG_9not_fun_tINSD_8identityEEEEENSD_19counting_iterator_tIlEES8_S8_S8_S8_S8_S8_S8_S8_EEEEPS9_S9_NSD_9__find_if7functorIS9_EEEE10hipError_tPvRmT1_T2_T3_mT4_P12ihipStream_tbEUlT_E1_NS1_11comp_targetILNS1_3genE4ELNS1_11target_archE910ELNS1_3gpuE8ELNS1_3repE0EEENS1_30default_config_static_selectorELNS0_4arch9wavefront6targetE0EEEvS14_
    .private_segment_fixed_size: 0
    .sgpr_count:     0
    .sgpr_spill_count: 0
    .symbol:         _ZN7rocprim17ROCPRIM_400000_NS6detail17trampoline_kernelINS0_14default_configENS1_22reduce_config_selectorIN6thrust23THRUST_200600_302600_NS5tupleIblNS6_9null_typeES8_S8_S8_S8_S8_S8_S8_EEEEZNS1_11reduce_implILb1ES3_NS6_12zip_iteratorINS7_INS6_11hip_rocprim26transform_input_iterator_tIbNSD_35transform_pair_of_input_iterators_tIbNS6_6detail15normal_iteratorINS6_10device_ptrIKdEEEESL_NS6_8equal_toIdEEEENSG_9not_fun_tINSD_8identityEEEEENSD_19counting_iterator_tIlEES8_S8_S8_S8_S8_S8_S8_S8_EEEEPS9_S9_NSD_9__find_if7functorIS9_EEEE10hipError_tPvRmT1_T2_T3_mT4_P12ihipStream_tbEUlT_E1_NS1_11comp_targetILNS1_3genE4ELNS1_11target_archE910ELNS1_3gpuE8ELNS1_3repE0EEENS1_30default_config_static_selectorELNS0_4arch9wavefront6targetE0EEEvS14_.kd
    .uniform_work_group_size: 1
    .uses_dynamic_stack: false
    .vgpr_count:     0
    .vgpr_spill_count: 0
    .wavefront_size: 32
  - .args:
      - .offset:         0
        .size:           88
        .value_kind:     by_value
    .group_segment_fixed_size: 0
    .kernarg_segment_align: 8
    .kernarg_segment_size: 88
    .language:       OpenCL C
    .language_version:
      - 2
      - 0
    .max_flat_workgroup_size: 128
    .name:           _ZN7rocprim17ROCPRIM_400000_NS6detail17trampoline_kernelINS0_14default_configENS1_22reduce_config_selectorIN6thrust23THRUST_200600_302600_NS5tupleIblNS6_9null_typeES8_S8_S8_S8_S8_S8_S8_EEEEZNS1_11reduce_implILb1ES3_NS6_12zip_iteratorINS7_INS6_11hip_rocprim26transform_input_iterator_tIbNSD_35transform_pair_of_input_iterators_tIbNS6_6detail15normal_iteratorINS6_10device_ptrIKdEEEESL_NS6_8equal_toIdEEEENSG_9not_fun_tINSD_8identityEEEEENSD_19counting_iterator_tIlEES8_S8_S8_S8_S8_S8_S8_S8_EEEEPS9_S9_NSD_9__find_if7functorIS9_EEEE10hipError_tPvRmT1_T2_T3_mT4_P12ihipStream_tbEUlT_E1_NS1_11comp_targetILNS1_3genE3ELNS1_11target_archE908ELNS1_3gpuE7ELNS1_3repE0EEENS1_30default_config_static_selectorELNS0_4arch9wavefront6targetE0EEEvS14_
    .private_segment_fixed_size: 0
    .sgpr_count:     0
    .sgpr_spill_count: 0
    .symbol:         _ZN7rocprim17ROCPRIM_400000_NS6detail17trampoline_kernelINS0_14default_configENS1_22reduce_config_selectorIN6thrust23THRUST_200600_302600_NS5tupleIblNS6_9null_typeES8_S8_S8_S8_S8_S8_S8_EEEEZNS1_11reduce_implILb1ES3_NS6_12zip_iteratorINS7_INS6_11hip_rocprim26transform_input_iterator_tIbNSD_35transform_pair_of_input_iterators_tIbNS6_6detail15normal_iteratorINS6_10device_ptrIKdEEEESL_NS6_8equal_toIdEEEENSG_9not_fun_tINSD_8identityEEEEENSD_19counting_iterator_tIlEES8_S8_S8_S8_S8_S8_S8_S8_EEEEPS9_S9_NSD_9__find_if7functorIS9_EEEE10hipError_tPvRmT1_T2_T3_mT4_P12ihipStream_tbEUlT_E1_NS1_11comp_targetILNS1_3genE3ELNS1_11target_archE908ELNS1_3gpuE7ELNS1_3repE0EEENS1_30default_config_static_selectorELNS0_4arch9wavefront6targetE0EEEvS14_.kd
    .uniform_work_group_size: 1
    .uses_dynamic_stack: false
    .vgpr_count:     0
    .vgpr_spill_count: 0
    .wavefront_size: 32
  - .args:
      - .offset:         0
        .size:           88
        .value_kind:     by_value
    .group_segment_fixed_size: 0
    .kernarg_segment_align: 8
    .kernarg_segment_size: 88
    .language:       OpenCL C
    .language_version:
      - 2
      - 0
    .max_flat_workgroup_size: 128
    .name:           _ZN7rocprim17ROCPRIM_400000_NS6detail17trampoline_kernelINS0_14default_configENS1_22reduce_config_selectorIN6thrust23THRUST_200600_302600_NS5tupleIblNS6_9null_typeES8_S8_S8_S8_S8_S8_S8_EEEEZNS1_11reduce_implILb1ES3_NS6_12zip_iteratorINS7_INS6_11hip_rocprim26transform_input_iterator_tIbNSD_35transform_pair_of_input_iterators_tIbNS6_6detail15normal_iteratorINS6_10device_ptrIKdEEEESL_NS6_8equal_toIdEEEENSG_9not_fun_tINSD_8identityEEEEENSD_19counting_iterator_tIlEES8_S8_S8_S8_S8_S8_S8_S8_EEEEPS9_S9_NSD_9__find_if7functorIS9_EEEE10hipError_tPvRmT1_T2_T3_mT4_P12ihipStream_tbEUlT_E1_NS1_11comp_targetILNS1_3genE2ELNS1_11target_archE906ELNS1_3gpuE6ELNS1_3repE0EEENS1_30default_config_static_selectorELNS0_4arch9wavefront6targetE0EEEvS14_
    .private_segment_fixed_size: 0
    .sgpr_count:     0
    .sgpr_spill_count: 0
    .symbol:         _ZN7rocprim17ROCPRIM_400000_NS6detail17trampoline_kernelINS0_14default_configENS1_22reduce_config_selectorIN6thrust23THRUST_200600_302600_NS5tupleIblNS6_9null_typeES8_S8_S8_S8_S8_S8_S8_EEEEZNS1_11reduce_implILb1ES3_NS6_12zip_iteratorINS7_INS6_11hip_rocprim26transform_input_iterator_tIbNSD_35transform_pair_of_input_iterators_tIbNS6_6detail15normal_iteratorINS6_10device_ptrIKdEEEESL_NS6_8equal_toIdEEEENSG_9not_fun_tINSD_8identityEEEEENSD_19counting_iterator_tIlEES8_S8_S8_S8_S8_S8_S8_S8_EEEEPS9_S9_NSD_9__find_if7functorIS9_EEEE10hipError_tPvRmT1_T2_T3_mT4_P12ihipStream_tbEUlT_E1_NS1_11comp_targetILNS1_3genE2ELNS1_11target_archE906ELNS1_3gpuE6ELNS1_3repE0EEENS1_30default_config_static_selectorELNS0_4arch9wavefront6targetE0EEEvS14_.kd
    .uniform_work_group_size: 1
    .uses_dynamic_stack: false
    .vgpr_count:     0
    .vgpr_spill_count: 0
    .wavefront_size: 32
  - .args:
      - .offset:         0
        .size:           88
        .value_kind:     by_value
    .group_segment_fixed_size: 0
    .kernarg_segment_align: 8
    .kernarg_segment_size: 88
    .language:       OpenCL C
    .language_version:
      - 2
      - 0
    .max_flat_workgroup_size: 256
    .name:           _ZN7rocprim17ROCPRIM_400000_NS6detail17trampoline_kernelINS0_14default_configENS1_22reduce_config_selectorIN6thrust23THRUST_200600_302600_NS5tupleIblNS6_9null_typeES8_S8_S8_S8_S8_S8_S8_EEEEZNS1_11reduce_implILb1ES3_NS6_12zip_iteratorINS7_INS6_11hip_rocprim26transform_input_iterator_tIbNSD_35transform_pair_of_input_iterators_tIbNS6_6detail15normal_iteratorINS6_10device_ptrIKdEEEESL_NS6_8equal_toIdEEEENSG_9not_fun_tINSD_8identityEEEEENSD_19counting_iterator_tIlEES8_S8_S8_S8_S8_S8_S8_S8_EEEEPS9_S9_NSD_9__find_if7functorIS9_EEEE10hipError_tPvRmT1_T2_T3_mT4_P12ihipStream_tbEUlT_E1_NS1_11comp_targetILNS1_3genE10ELNS1_11target_archE1201ELNS1_3gpuE5ELNS1_3repE0EEENS1_30default_config_static_selectorELNS0_4arch9wavefront6targetE0EEEvS14_
    .private_segment_fixed_size: 0
    .sgpr_count:     0
    .sgpr_spill_count: 0
    .symbol:         _ZN7rocprim17ROCPRIM_400000_NS6detail17trampoline_kernelINS0_14default_configENS1_22reduce_config_selectorIN6thrust23THRUST_200600_302600_NS5tupleIblNS6_9null_typeES8_S8_S8_S8_S8_S8_S8_EEEEZNS1_11reduce_implILb1ES3_NS6_12zip_iteratorINS7_INS6_11hip_rocprim26transform_input_iterator_tIbNSD_35transform_pair_of_input_iterators_tIbNS6_6detail15normal_iteratorINS6_10device_ptrIKdEEEESL_NS6_8equal_toIdEEEENSG_9not_fun_tINSD_8identityEEEEENSD_19counting_iterator_tIlEES8_S8_S8_S8_S8_S8_S8_S8_EEEEPS9_S9_NSD_9__find_if7functorIS9_EEEE10hipError_tPvRmT1_T2_T3_mT4_P12ihipStream_tbEUlT_E1_NS1_11comp_targetILNS1_3genE10ELNS1_11target_archE1201ELNS1_3gpuE5ELNS1_3repE0EEENS1_30default_config_static_selectorELNS0_4arch9wavefront6targetE0EEEvS14_.kd
    .uniform_work_group_size: 1
    .uses_dynamic_stack: false
    .vgpr_count:     0
    .vgpr_spill_count: 0
    .wavefront_size: 32
  - .args:
      - .offset:         0
        .size:           88
        .value_kind:     by_value
    .group_segment_fixed_size: 0
    .kernarg_segment_align: 8
    .kernarg_segment_size: 88
    .language:       OpenCL C
    .language_version:
      - 2
      - 0
    .max_flat_workgroup_size: 256
    .name:           _ZN7rocprim17ROCPRIM_400000_NS6detail17trampoline_kernelINS0_14default_configENS1_22reduce_config_selectorIN6thrust23THRUST_200600_302600_NS5tupleIblNS6_9null_typeES8_S8_S8_S8_S8_S8_S8_EEEEZNS1_11reduce_implILb1ES3_NS6_12zip_iteratorINS7_INS6_11hip_rocprim26transform_input_iterator_tIbNSD_35transform_pair_of_input_iterators_tIbNS6_6detail15normal_iteratorINS6_10device_ptrIKdEEEESL_NS6_8equal_toIdEEEENSG_9not_fun_tINSD_8identityEEEEENSD_19counting_iterator_tIlEES8_S8_S8_S8_S8_S8_S8_S8_EEEEPS9_S9_NSD_9__find_if7functorIS9_EEEE10hipError_tPvRmT1_T2_T3_mT4_P12ihipStream_tbEUlT_E1_NS1_11comp_targetILNS1_3genE10ELNS1_11target_archE1200ELNS1_3gpuE4ELNS1_3repE0EEENS1_30default_config_static_selectorELNS0_4arch9wavefront6targetE0EEEvS14_
    .private_segment_fixed_size: 0
    .sgpr_count:     0
    .sgpr_spill_count: 0
    .symbol:         _ZN7rocprim17ROCPRIM_400000_NS6detail17trampoline_kernelINS0_14default_configENS1_22reduce_config_selectorIN6thrust23THRUST_200600_302600_NS5tupleIblNS6_9null_typeES8_S8_S8_S8_S8_S8_S8_EEEEZNS1_11reduce_implILb1ES3_NS6_12zip_iteratorINS7_INS6_11hip_rocprim26transform_input_iterator_tIbNSD_35transform_pair_of_input_iterators_tIbNS6_6detail15normal_iteratorINS6_10device_ptrIKdEEEESL_NS6_8equal_toIdEEEENSG_9not_fun_tINSD_8identityEEEEENSD_19counting_iterator_tIlEES8_S8_S8_S8_S8_S8_S8_S8_EEEEPS9_S9_NSD_9__find_if7functorIS9_EEEE10hipError_tPvRmT1_T2_T3_mT4_P12ihipStream_tbEUlT_E1_NS1_11comp_targetILNS1_3genE10ELNS1_11target_archE1200ELNS1_3gpuE4ELNS1_3repE0EEENS1_30default_config_static_selectorELNS0_4arch9wavefront6targetE0EEEvS14_.kd
    .uniform_work_group_size: 1
    .uses_dynamic_stack: false
    .vgpr_count:     0
    .vgpr_spill_count: 0
    .wavefront_size: 32
  - .args:
      - .offset:         0
        .size:           88
        .value_kind:     by_value
    .group_segment_fixed_size: 0
    .kernarg_segment_align: 8
    .kernarg_segment_size: 88
    .language:       OpenCL C
    .language_version:
      - 2
      - 0
    .max_flat_workgroup_size: 256
    .name:           _ZN7rocprim17ROCPRIM_400000_NS6detail17trampoline_kernelINS0_14default_configENS1_22reduce_config_selectorIN6thrust23THRUST_200600_302600_NS5tupleIblNS6_9null_typeES8_S8_S8_S8_S8_S8_S8_EEEEZNS1_11reduce_implILb1ES3_NS6_12zip_iteratorINS7_INS6_11hip_rocprim26transform_input_iterator_tIbNSD_35transform_pair_of_input_iterators_tIbNS6_6detail15normal_iteratorINS6_10device_ptrIKdEEEESL_NS6_8equal_toIdEEEENSG_9not_fun_tINSD_8identityEEEEENSD_19counting_iterator_tIlEES8_S8_S8_S8_S8_S8_S8_S8_EEEEPS9_S9_NSD_9__find_if7functorIS9_EEEE10hipError_tPvRmT1_T2_T3_mT4_P12ihipStream_tbEUlT_E1_NS1_11comp_targetILNS1_3genE9ELNS1_11target_archE1100ELNS1_3gpuE3ELNS1_3repE0EEENS1_30default_config_static_selectorELNS0_4arch9wavefront6targetE0EEEvS14_
    .private_segment_fixed_size: 0
    .sgpr_count:     0
    .sgpr_spill_count: 0
    .symbol:         _ZN7rocprim17ROCPRIM_400000_NS6detail17trampoline_kernelINS0_14default_configENS1_22reduce_config_selectorIN6thrust23THRUST_200600_302600_NS5tupleIblNS6_9null_typeES8_S8_S8_S8_S8_S8_S8_EEEEZNS1_11reduce_implILb1ES3_NS6_12zip_iteratorINS7_INS6_11hip_rocprim26transform_input_iterator_tIbNSD_35transform_pair_of_input_iterators_tIbNS6_6detail15normal_iteratorINS6_10device_ptrIKdEEEESL_NS6_8equal_toIdEEEENSG_9not_fun_tINSD_8identityEEEEENSD_19counting_iterator_tIlEES8_S8_S8_S8_S8_S8_S8_S8_EEEEPS9_S9_NSD_9__find_if7functorIS9_EEEE10hipError_tPvRmT1_T2_T3_mT4_P12ihipStream_tbEUlT_E1_NS1_11comp_targetILNS1_3genE9ELNS1_11target_archE1100ELNS1_3gpuE3ELNS1_3repE0EEENS1_30default_config_static_selectorELNS0_4arch9wavefront6targetE0EEEvS14_.kd
    .uniform_work_group_size: 1
    .uses_dynamic_stack: false
    .vgpr_count:     0
    .vgpr_spill_count: 0
    .wavefront_size: 32
  - .args:
      - .offset:         0
        .size:           88
        .value_kind:     by_value
    .group_segment_fixed_size: 0
    .kernarg_segment_align: 8
    .kernarg_segment_size: 88
    .language:       OpenCL C
    .language_version:
      - 2
      - 0
    .max_flat_workgroup_size: 256
    .name:           _ZN7rocprim17ROCPRIM_400000_NS6detail17trampoline_kernelINS0_14default_configENS1_22reduce_config_selectorIN6thrust23THRUST_200600_302600_NS5tupleIblNS6_9null_typeES8_S8_S8_S8_S8_S8_S8_EEEEZNS1_11reduce_implILb1ES3_NS6_12zip_iteratorINS7_INS6_11hip_rocprim26transform_input_iterator_tIbNSD_35transform_pair_of_input_iterators_tIbNS6_6detail15normal_iteratorINS6_10device_ptrIKdEEEESL_NS6_8equal_toIdEEEENSG_9not_fun_tINSD_8identityEEEEENSD_19counting_iterator_tIlEES8_S8_S8_S8_S8_S8_S8_S8_EEEEPS9_S9_NSD_9__find_if7functorIS9_EEEE10hipError_tPvRmT1_T2_T3_mT4_P12ihipStream_tbEUlT_E1_NS1_11comp_targetILNS1_3genE8ELNS1_11target_archE1030ELNS1_3gpuE2ELNS1_3repE0EEENS1_30default_config_static_selectorELNS0_4arch9wavefront6targetE0EEEvS14_
    .private_segment_fixed_size: 0
    .sgpr_count:     0
    .sgpr_spill_count: 0
    .symbol:         _ZN7rocprim17ROCPRIM_400000_NS6detail17trampoline_kernelINS0_14default_configENS1_22reduce_config_selectorIN6thrust23THRUST_200600_302600_NS5tupleIblNS6_9null_typeES8_S8_S8_S8_S8_S8_S8_EEEEZNS1_11reduce_implILb1ES3_NS6_12zip_iteratorINS7_INS6_11hip_rocprim26transform_input_iterator_tIbNSD_35transform_pair_of_input_iterators_tIbNS6_6detail15normal_iteratorINS6_10device_ptrIKdEEEESL_NS6_8equal_toIdEEEENSG_9not_fun_tINSD_8identityEEEEENSD_19counting_iterator_tIlEES8_S8_S8_S8_S8_S8_S8_S8_EEEEPS9_S9_NSD_9__find_if7functorIS9_EEEE10hipError_tPvRmT1_T2_T3_mT4_P12ihipStream_tbEUlT_E1_NS1_11comp_targetILNS1_3genE8ELNS1_11target_archE1030ELNS1_3gpuE2ELNS1_3repE0EEENS1_30default_config_static_selectorELNS0_4arch9wavefront6targetE0EEEvS14_.kd
    .uniform_work_group_size: 1
    .uses_dynamic_stack: false
    .vgpr_count:     0
    .vgpr_spill_count: 0
    .wavefront_size: 32
  - .args:
      - .offset:         0
        .size:           16
        .value_kind:     by_value
      - .offset:         16
        .size:           8
        .value_kind:     by_value
      - .offset:         24
        .size:           8
        .value_kind:     by_value
    .group_segment_fixed_size: 0
    .kernarg_segment_align: 8
    .kernarg_segment_size: 32
    .language:       OpenCL C
    .language_version:
      - 2
      - 0
    .max_flat_workgroup_size: 256
    .name:           _ZN6thrust23THRUST_200600_302600_NS11hip_rocprim14__parallel_for6kernelILj256ENS1_10for_each_fINS0_7pointerINS0_5tupleIblNS0_9null_typeES7_S7_S7_S7_S7_S7_S7_EENS1_3tagENS0_11use_defaultESA_EENS0_6detail16wrapped_functionINSC_23allocator_traits_detail24construct1_via_allocatorINSC_18no_throw_allocatorINSC_19temporary_allocatorIS8_S9_EEEEEEvEEEEmLj1EEEvT0_T1_SO_
    .private_segment_fixed_size: 0
    .sgpr_count:     11
    .sgpr_spill_count: 0
    .symbol:         _ZN6thrust23THRUST_200600_302600_NS11hip_rocprim14__parallel_for6kernelILj256ENS1_10for_each_fINS0_7pointerINS0_5tupleIblNS0_9null_typeES7_S7_S7_S7_S7_S7_S7_EENS1_3tagENS0_11use_defaultESA_EENS0_6detail16wrapped_functionINSC_23allocator_traits_detail24construct1_via_allocatorINSC_18no_throw_allocatorINSC_19temporary_allocatorIS8_S9_EEEEEEvEEEEmLj1EEEvT0_T1_SO_.kd
    .uniform_work_group_size: 1
    .uses_dynamic_stack: false
    .vgpr_count:     5
    .vgpr_spill_count: 0
    .wavefront_size: 32
  - .args:
      - .offset:         0
        .size:           16
        .value_kind:     by_value
      - .offset:         16
        .size:           8
        .value_kind:     by_value
      - .offset:         24
        .size:           8
        .value_kind:     by_value
    .group_segment_fixed_size: 0
    .kernarg_segment_align: 8
    .kernarg_segment_size: 32
    .language:       OpenCL C
    .language_version:
      - 2
      - 0
    .max_flat_workgroup_size: 256
    .name:           _ZN6thrust23THRUST_200600_302600_NS11hip_rocprim14__parallel_for6kernelILj256ENS1_10for_each_fINS0_7pointerINS0_5tupleIblNS0_9null_typeES7_S7_S7_S7_S7_S7_S7_EENS1_3tagENS0_11use_defaultESA_EENS0_6detail16wrapped_functionINSC_23allocator_traits_detail5gozerEvEEEElLj1EEEvT0_T1_SJ_
    .private_segment_fixed_size: 0
    .sgpr_count:     0
    .sgpr_spill_count: 0
    .symbol:         _ZN6thrust23THRUST_200600_302600_NS11hip_rocprim14__parallel_for6kernelILj256ENS1_10for_each_fINS0_7pointerINS0_5tupleIblNS0_9null_typeES7_S7_S7_S7_S7_S7_S7_EENS1_3tagENS0_11use_defaultESA_EENS0_6detail16wrapped_functionINSC_23allocator_traits_detail5gozerEvEEEElLj1EEEvT0_T1_SJ_.kd
    .uniform_work_group_size: 1
    .uses_dynamic_stack: false
    .vgpr_count:     0
    .vgpr_spill_count: 0
    .wavefront_size: 32
  - .args:
      - .offset:         0
        .size:           16
        .value_kind:     by_value
      - .offset:         16
        .size:           8
        .value_kind:     by_value
      - .offset:         24
        .size:           8
        .value_kind:     by_value
    .group_segment_fixed_size: 0
    .kernarg_segment_align: 8
    .kernarg_segment_size: 32
    .language:       OpenCL C
    .language_version:
      - 2
      - 0
    .max_flat_workgroup_size: 256
    .name:           _ZN6thrust23THRUST_200600_302600_NS11hip_rocprim14__parallel_for6kernelILj256ENS1_20__uninitialized_copy7functorIPNS0_5tupleIblNS0_9null_typeES7_S7_S7_S7_S7_S7_S7_EENS0_7pointerIS8_NS1_3tagENS0_11use_defaultESC_EEEEmLj1EEEvT0_T1_SG_
    .private_segment_fixed_size: 0
    .sgpr_count:     14
    .sgpr_spill_count: 0
    .symbol:         _ZN6thrust23THRUST_200600_302600_NS11hip_rocprim14__parallel_for6kernelILj256ENS1_20__uninitialized_copy7functorIPNS0_5tupleIblNS0_9null_typeES7_S7_S7_S7_S7_S7_S7_EENS0_7pointerIS8_NS1_3tagENS0_11use_defaultESC_EEEEmLj1EEEvT0_T1_SG_.kd
    .uniform_work_group_size: 1
    .uses_dynamic_stack: false
    .vgpr_count:     6
    .vgpr_spill_count: 0
    .wavefront_size: 32
  - .args:
      - .offset:         0
        .size:           16
        .value_kind:     by_value
      - .offset:         16
        .size:           8
        .value_kind:     by_value
      - .offset:         24
        .size:           8
        .value_kind:     by_value
    .group_segment_fixed_size: 0
    .kernarg_segment_align: 8
    .kernarg_segment_size: 32
    .language:       OpenCL C
    .language_version:
      - 2
      - 0
    .max_flat_workgroup_size: 256
    .name:           _ZN6thrust23THRUST_200600_302600_NS11hip_rocprim14__parallel_for6kernelILj256ENS1_20__uninitialized_fill7functorINS0_10device_ptrIfEEfEEmLj1EEEvT0_T1_SA_
    .private_segment_fixed_size: 0
    .sgpr_count:     14
    .sgpr_spill_count: 0
    .symbol:         _ZN6thrust23THRUST_200600_302600_NS11hip_rocprim14__parallel_for6kernelILj256ENS1_20__uninitialized_fill7functorINS0_10device_ptrIfEEfEEmLj1EEEvT0_T1_SA_.kd
    .uniform_work_group_size: 1
    .uses_dynamic_stack: false
    .vgpr_count:     2
    .vgpr_spill_count: 0
    .wavefront_size: 32
  - .args:
      - .offset:         0
        .size:           64
        .value_kind:     by_value
      - .offset:         64
        .size:           4
        .value_kind:     hidden_block_count_x
      - .offset:         68
        .size:           4
        .value_kind:     hidden_block_count_y
      - .offset:         72
        .size:           4
        .value_kind:     hidden_block_count_z
      - .offset:         76
        .size:           2
        .value_kind:     hidden_group_size_x
      - .offset:         78
        .size:           2
        .value_kind:     hidden_group_size_y
      - .offset:         80
        .size:           2
        .value_kind:     hidden_group_size_z
      - .offset:         82
        .size:           2
        .value_kind:     hidden_remainder_x
      - .offset:         84
        .size:           2
        .value_kind:     hidden_remainder_y
      - .offset:         86
        .size:           2
        .value_kind:     hidden_remainder_z
      - .offset:         104
        .size:           8
        .value_kind:     hidden_global_offset_x
      - .offset:         112
        .size:           8
        .value_kind:     hidden_global_offset_y
      - .offset:         120
        .size:           8
        .value_kind:     hidden_global_offset_z
      - .offset:         128
        .size:           2
        .value_kind:     hidden_grid_dims
    .group_segment_fixed_size: 0
    .kernarg_segment_align: 8
    .kernarg_segment_size: 320
    .language:       OpenCL C
    .language_version:
      - 2
      - 0
    .max_flat_workgroup_size: 256
    .name:           _ZN7rocprim17ROCPRIM_400000_NS6detail17trampoline_kernelINS0_14default_configENS1_21merge_config_selectorINS0_5tupleIJffEEENS0_10empty_typeEEEZNS1_10merge_implIS3_NS0_12zip_iteratorINS5_IJN6thrust23THRUST_200600_302600_NS6detail15normal_iteratorINSC_10device_ptrIKfEEEESI_EEEEESK_NSA_INS5_IJNSE_INSF_IfEEEESM_EEEEEPS7_SP_SP_NSC_11hip_rocprim7__merge17predicate_wrapperIffNSC_4lessIfEEEEEE10hipError_tPvRmT0_T1_T2_T3_T4_T5_mmT6_P12ihipStream_tbEUlT_E_NS1_11comp_targetILNS1_3genE0ELNS1_11target_archE4294967295ELNS1_3gpuE0ELNS1_3repE0EEENS1_30default_config_static_selectorELNS0_4arch9wavefront6targetE0EEEvS10_
    .private_segment_fixed_size: 0
    .sgpr_count:     16
    .sgpr_spill_count: 0
    .symbol:         _ZN7rocprim17ROCPRIM_400000_NS6detail17trampoline_kernelINS0_14default_configENS1_21merge_config_selectorINS0_5tupleIJffEEENS0_10empty_typeEEEZNS1_10merge_implIS3_NS0_12zip_iteratorINS5_IJN6thrust23THRUST_200600_302600_NS6detail15normal_iteratorINSC_10device_ptrIKfEEEESI_EEEEESK_NSA_INS5_IJNSE_INSF_IfEEEESM_EEEEEPS7_SP_SP_NSC_11hip_rocprim7__merge17predicate_wrapperIffNSC_4lessIfEEEEEE10hipError_tPvRmT0_T1_T2_T3_T4_T5_mmT6_P12ihipStream_tbEUlT_E_NS1_11comp_targetILNS1_3genE0ELNS1_11target_archE4294967295ELNS1_3gpuE0ELNS1_3repE0EEENS1_30default_config_static_selectorELNS0_4arch9wavefront6targetE0EEEvS10_.kd
    .uniform_work_group_size: 1
    .uses_dynamic_stack: false
    .vgpr_count:     15
    .vgpr_spill_count: 0
    .wavefront_size: 32
  - .args:
      - .offset:         0
        .size:           64
        .value_kind:     by_value
    .group_segment_fixed_size: 0
    .kernarg_segment_align: 8
    .kernarg_segment_size: 64
    .language:       OpenCL C
    .language_version:
      - 2
      - 0
    .max_flat_workgroup_size: 256
    .name:           _ZN7rocprim17ROCPRIM_400000_NS6detail17trampoline_kernelINS0_14default_configENS1_21merge_config_selectorINS0_5tupleIJffEEENS0_10empty_typeEEEZNS1_10merge_implIS3_NS0_12zip_iteratorINS5_IJN6thrust23THRUST_200600_302600_NS6detail15normal_iteratorINSC_10device_ptrIKfEEEESI_EEEEESK_NSA_INS5_IJNSE_INSF_IfEEEESM_EEEEEPS7_SP_SP_NSC_11hip_rocprim7__merge17predicate_wrapperIffNSC_4lessIfEEEEEE10hipError_tPvRmT0_T1_T2_T3_T4_T5_mmT6_P12ihipStream_tbEUlT_E_NS1_11comp_targetILNS1_3genE5ELNS1_11target_archE942ELNS1_3gpuE9ELNS1_3repE0EEENS1_30default_config_static_selectorELNS0_4arch9wavefront6targetE0EEEvS10_
    .private_segment_fixed_size: 0
    .sgpr_count:     0
    .sgpr_spill_count: 0
    .symbol:         _ZN7rocprim17ROCPRIM_400000_NS6detail17trampoline_kernelINS0_14default_configENS1_21merge_config_selectorINS0_5tupleIJffEEENS0_10empty_typeEEEZNS1_10merge_implIS3_NS0_12zip_iteratorINS5_IJN6thrust23THRUST_200600_302600_NS6detail15normal_iteratorINSC_10device_ptrIKfEEEESI_EEEEESK_NSA_INS5_IJNSE_INSF_IfEEEESM_EEEEEPS7_SP_SP_NSC_11hip_rocprim7__merge17predicate_wrapperIffNSC_4lessIfEEEEEE10hipError_tPvRmT0_T1_T2_T3_T4_T5_mmT6_P12ihipStream_tbEUlT_E_NS1_11comp_targetILNS1_3genE5ELNS1_11target_archE942ELNS1_3gpuE9ELNS1_3repE0EEENS1_30default_config_static_selectorELNS0_4arch9wavefront6targetE0EEEvS10_.kd
    .uniform_work_group_size: 1
    .uses_dynamic_stack: false
    .vgpr_count:     0
    .vgpr_spill_count: 0
    .wavefront_size: 32
  - .args:
      - .offset:         0
        .size:           64
        .value_kind:     by_value
    .group_segment_fixed_size: 0
    .kernarg_segment_align: 8
    .kernarg_segment_size: 64
    .language:       OpenCL C
    .language_version:
      - 2
      - 0
    .max_flat_workgroup_size: 256
    .name:           _ZN7rocprim17ROCPRIM_400000_NS6detail17trampoline_kernelINS0_14default_configENS1_21merge_config_selectorINS0_5tupleIJffEEENS0_10empty_typeEEEZNS1_10merge_implIS3_NS0_12zip_iteratorINS5_IJN6thrust23THRUST_200600_302600_NS6detail15normal_iteratorINSC_10device_ptrIKfEEEESI_EEEEESK_NSA_INS5_IJNSE_INSF_IfEEEESM_EEEEEPS7_SP_SP_NSC_11hip_rocprim7__merge17predicate_wrapperIffNSC_4lessIfEEEEEE10hipError_tPvRmT0_T1_T2_T3_T4_T5_mmT6_P12ihipStream_tbEUlT_E_NS1_11comp_targetILNS1_3genE4ELNS1_11target_archE910ELNS1_3gpuE8ELNS1_3repE0EEENS1_30default_config_static_selectorELNS0_4arch9wavefront6targetE0EEEvS10_
    .private_segment_fixed_size: 0
    .sgpr_count:     0
    .sgpr_spill_count: 0
    .symbol:         _ZN7rocprim17ROCPRIM_400000_NS6detail17trampoline_kernelINS0_14default_configENS1_21merge_config_selectorINS0_5tupleIJffEEENS0_10empty_typeEEEZNS1_10merge_implIS3_NS0_12zip_iteratorINS5_IJN6thrust23THRUST_200600_302600_NS6detail15normal_iteratorINSC_10device_ptrIKfEEEESI_EEEEESK_NSA_INS5_IJNSE_INSF_IfEEEESM_EEEEEPS7_SP_SP_NSC_11hip_rocprim7__merge17predicate_wrapperIffNSC_4lessIfEEEEEE10hipError_tPvRmT0_T1_T2_T3_T4_T5_mmT6_P12ihipStream_tbEUlT_E_NS1_11comp_targetILNS1_3genE4ELNS1_11target_archE910ELNS1_3gpuE8ELNS1_3repE0EEENS1_30default_config_static_selectorELNS0_4arch9wavefront6targetE0EEEvS10_.kd
    .uniform_work_group_size: 1
    .uses_dynamic_stack: false
    .vgpr_count:     0
    .vgpr_spill_count: 0
    .wavefront_size: 32
  - .args:
      - .offset:         0
        .size:           64
        .value_kind:     by_value
    .group_segment_fixed_size: 0
    .kernarg_segment_align: 8
    .kernarg_segment_size: 64
    .language:       OpenCL C
    .language_version:
      - 2
      - 0
    .max_flat_workgroup_size: 256
    .name:           _ZN7rocprim17ROCPRIM_400000_NS6detail17trampoline_kernelINS0_14default_configENS1_21merge_config_selectorINS0_5tupleIJffEEENS0_10empty_typeEEEZNS1_10merge_implIS3_NS0_12zip_iteratorINS5_IJN6thrust23THRUST_200600_302600_NS6detail15normal_iteratorINSC_10device_ptrIKfEEEESI_EEEEESK_NSA_INS5_IJNSE_INSF_IfEEEESM_EEEEEPS7_SP_SP_NSC_11hip_rocprim7__merge17predicate_wrapperIffNSC_4lessIfEEEEEE10hipError_tPvRmT0_T1_T2_T3_T4_T5_mmT6_P12ihipStream_tbEUlT_E_NS1_11comp_targetILNS1_3genE3ELNS1_11target_archE908ELNS1_3gpuE7ELNS1_3repE0EEENS1_30default_config_static_selectorELNS0_4arch9wavefront6targetE0EEEvS10_
    .private_segment_fixed_size: 0
    .sgpr_count:     0
    .sgpr_spill_count: 0
    .symbol:         _ZN7rocprim17ROCPRIM_400000_NS6detail17trampoline_kernelINS0_14default_configENS1_21merge_config_selectorINS0_5tupleIJffEEENS0_10empty_typeEEEZNS1_10merge_implIS3_NS0_12zip_iteratorINS5_IJN6thrust23THRUST_200600_302600_NS6detail15normal_iteratorINSC_10device_ptrIKfEEEESI_EEEEESK_NSA_INS5_IJNSE_INSF_IfEEEESM_EEEEEPS7_SP_SP_NSC_11hip_rocprim7__merge17predicate_wrapperIffNSC_4lessIfEEEEEE10hipError_tPvRmT0_T1_T2_T3_T4_T5_mmT6_P12ihipStream_tbEUlT_E_NS1_11comp_targetILNS1_3genE3ELNS1_11target_archE908ELNS1_3gpuE7ELNS1_3repE0EEENS1_30default_config_static_selectorELNS0_4arch9wavefront6targetE0EEEvS10_.kd
    .uniform_work_group_size: 1
    .uses_dynamic_stack: false
    .vgpr_count:     0
    .vgpr_spill_count: 0
    .wavefront_size: 32
  - .args:
      - .offset:         0
        .size:           64
        .value_kind:     by_value
    .group_segment_fixed_size: 0
    .kernarg_segment_align: 8
    .kernarg_segment_size: 64
    .language:       OpenCL C
    .language_version:
      - 2
      - 0
    .max_flat_workgroup_size: 256
    .name:           _ZN7rocprim17ROCPRIM_400000_NS6detail17trampoline_kernelINS0_14default_configENS1_21merge_config_selectorINS0_5tupleIJffEEENS0_10empty_typeEEEZNS1_10merge_implIS3_NS0_12zip_iteratorINS5_IJN6thrust23THRUST_200600_302600_NS6detail15normal_iteratorINSC_10device_ptrIKfEEEESI_EEEEESK_NSA_INS5_IJNSE_INSF_IfEEEESM_EEEEEPS7_SP_SP_NSC_11hip_rocprim7__merge17predicate_wrapperIffNSC_4lessIfEEEEEE10hipError_tPvRmT0_T1_T2_T3_T4_T5_mmT6_P12ihipStream_tbEUlT_E_NS1_11comp_targetILNS1_3genE2ELNS1_11target_archE906ELNS1_3gpuE6ELNS1_3repE0EEENS1_30default_config_static_selectorELNS0_4arch9wavefront6targetE0EEEvS10_
    .private_segment_fixed_size: 0
    .sgpr_count:     0
    .sgpr_spill_count: 0
    .symbol:         _ZN7rocprim17ROCPRIM_400000_NS6detail17trampoline_kernelINS0_14default_configENS1_21merge_config_selectorINS0_5tupleIJffEEENS0_10empty_typeEEEZNS1_10merge_implIS3_NS0_12zip_iteratorINS5_IJN6thrust23THRUST_200600_302600_NS6detail15normal_iteratorINSC_10device_ptrIKfEEEESI_EEEEESK_NSA_INS5_IJNSE_INSF_IfEEEESM_EEEEEPS7_SP_SP_NSC_11hip_rocprim7__merge17predicate_wrapperIffNSC_4lessIfEEEEEE10hipError_tPvRmT0_T1_T2_T3_T4_T5_mmT6_P12ihipStream_tbEUlT_E_NS1_11comp_targetILNS1_3genE2ELNS1_11target_archE906ELNS1_3gpuE6ELNS1_3repE0EEENS1_30default_config_static_selectorELNS0_4arch9wavefront6targetE0EEEvS10_.kd
    .uniform_work_group_size: 1
    .uses_dynamic_stack: false
    .vgpr_count:     0
    .vgpr_spill_count: 0
    .wavefront_size: 32
  - .args:
      - .offset:         0
        .size:           64
        .value_kind:     by_value
    .group_segment_fixed_size: 0
    .kernarg_segment_align: 8
    .kernarg_segment_size: 64
    .language:       OpenCL C
    .language_version:
      - 2
      - 0
    .max_flat_workgroup_size: 512
    .name:           _ZN7rocprim17ROCPRIM_400000_NS6detail17trampoline_kernelINS0_14default_configENS1_21merge_config_selectorINS0_5tupleIJffEEENS0_10empty_typeEEEZNS1_10merge_implIS3_NS0_12zip_iteratorINS5_IJN6thrust23THRUST_200600_302600_NS6detail15normal_iteratorINSC_10device_ptrIKfEEEESI_EEEEESK_NSA_INS5_IJNSE_INSF_IfEEEESM_EEEEEPS7_SP_SP_NSC_11hip_rocprim7__merge17predicate_wrapperIffNSC_4lessIfEEEEEE10hipError_tPvRmT0_T1_T2_T3_T4_T5_mmT6_P12ihipStream_tbEUlT_E_NS1_11comp_targetILNS1_3genE10ELNS1_11target_archE1201ELNS1_3gpuE5ELNS1_3repE0EEENS1_30default_config_static_selectorELNS0_4arch9wavefront6targetE0EEEvS10_
    .private_segment_fixed_size: 0
    .sgpr_count:     0
    .sgpr_spill_count: 0
    .symbol:         _ZN7rocprim17ROCPRIM_400000_NS6detail17trampoline_kernelINS0_14default_configENS1_21merge_config_selectorINS0_5tupleIJffEEENS0_10empty_typeEEEZNS1_10merge_implIS3_NS0_12zip_iteratorINS5_IJN6thrust23THRUST_200600_302600_NS6detail15normal_iteratorINSC_10device_ptrIKfEEEESI_EEEEESK_NSA_INS5_IJNSE_INSF_IfEEEESM_EEEEEPS7_SP_SP_NSC_11hip_rocprim7__merge17predicate_wrapperIffNSC_4lessIfEEEEEE10hipError_tPvRmT0_T1_T2_T3_T4_T5_mmT6_P12ihipStream_tbEUlT_E_NS1_11comp_targetILNS1_3genE10ELNS1_11target_archE1201ELNS1_3gpuE5ELNS1_3repE0EEENS1_30default_config_static_selectorELNS0_4arch9wavefront6targetE0EEEvS10_.kd
    .uniform_work_group_size: 1
    .uses_dynamic_stack: false
    .vgpr_count:     0
    .vgpr_spill_count: 0
    .wavefront_size: 32
  - .args:
      - .offset:         0
        .size:           64
        .value_kind:     by_value
    .group_segment_fixed_size: 0
    .kernarg_segment_align: 8
    .kernarg_segment_size: 64
    .language:       OpenCL C
    .language_version:
      - 2
      - 0
    .max_flat_workgroup_size: 1024
    .name:           _ZN7rocprim17ROCPRIM_400000_NS6detail17trampoline_kernelINS0_14default_configENS1_21merge_config_selectorINS0_5tupleIJffEEENS0_10empty_typeEEEZNS1_10merge_implIS3_NS0_12zip_iteratorINS5_IJN6thrust23THRUST_200600_302600_NS6detail15normal_iteratorINSC_10device_ptrIKfEEEESI_EEEEESK_NSA_INS5_IJNSE_INSF_IfEEEESM_EEEEEPS7_SP_SP_NSC_11hip_rocprim7__merge17predicate_wrapperIffNSC_4lessIfEEEEEE10hipError_tPvRmT0_T1_T2_T3_T4_T5_mmT6_P12ihipStream_tbEUlT_E_NS1_11comp_targetILNS1_3genE10ELNS1_11target_archE1200ELNS1_3gpuE4ELNS1_3repE0EEENS1_30default_config_static_selectorELNS0_4arch9wavefront6targetE0EEEvS10_
    .private_segment_fixed_size: 0
    .sgpr_count:     0
    .sgpr_spill_count: 0
    .symbol:         _ZN7rocprim17ROCPRIM_400000_NS6detail17trampoline_kernelINS0_14default_configENS1_21merge_config_selectorINS0_5tupleIJffEEENS0_10empty_typeEEEZNS1_10merge_implIS3_NS0_12zip_iteratorINS5_IJN6thrust23THRUST_200600_302600_NS6detail15normal_iteratorINSC_10device_ptrIKfEEEESI_EEEEESK_NSA_INS5_IJNSE_INSF_IfEEEESM_EEEEEPS7_SP_SP_NSC_11hip_rocprim7__merge17predicate_wrapperIffNSC_4lessIfEEEEEE10hipError_tPvRmT0_T1_T2_T3_T4_T5_mmT6_P12ihipStream_tbEUlT_E_NS1_11comp_targetILNS1_3genE10ELNS1_11target_archE1200ELNS1_3gpuE4ELNS1_3repE0EEENS1_30default_config_static_selectorELNS0_4arch9wavefront6targetE0EEEvS10_.kd
    .uniform_work_group_size: 1
    .uses_dynamic_stack: false
    .vgpr_count:     0
    .vgpr_spill_count: 0
    .wavefront_size: 32
  - .args:
      - .offset:         0
        .size:           64
        .value_kind:     by_value
    .group_segment_fixed_size: 0
    .kernarg_segment_align: 8
    .kernarg_segment_size: 64
    .language:       OpenCL C
    .language_version:
      - 2
      - 0
    .max_flat_workgroup_size: 1024
    .name:           _ZN7rocprim17ROCPRIM_400000_NS6detail17trampoline_kernelINS0_14default_configENS1_21merge_config_selectorINS0_5tupleIJffEEENS0_10empty_typeEEEZNS1_10merge_implIS3_NS0_12zip_iteratorINS5_IJN6thrust23THRUST_200600_302600_NS6detail15normal_iteratorINSC_10device_ptrIKfEEEESI_EEEEESK_NSA_INS5_IJNSE_INSF_IfEEEESM_EEEEEPS7_SP_SP_NSC_11hip_rocprim7__merge17predicate_wrapperIffNSC_4lessIfEEEEEE10hipError_tPvRmT0_T1_T2_T3_T4_T5_mmT6_P12ihipStream_tbEUlT_E_NS1_11comp_targetILNS1_3genE9ELNS1_11target_archE1100ELNS1_3gpuE3ELNS1_3repE0EEENS1_30default_config_static_selectorELNS0_4arch9wavefront6targetE0EEEvS10_
    .private_segment_fixed_size: 0
    .sgpr_count:     0
    .sgpr_spill_count: 0
    .symbol:         _ZN7rocprim17ROCPRIM_400000_NS6detail17trampoline_kernelINS0_14default_configENS1_21merge_config_selectorINS0_5tupleIJffEEENS0_10empty_typeEEEZNS1_10merge_implIS3_NS0_12zip_iteratorINS5_IJN6thrust23THRUST_200600_302600_NS6detail15normal_iteratorINSC_10device_ptrIKfEEEESI_EEEEESK_NSA_INS5_IJNSE_INSF_IfEEEESM_EEEEEPS7_SP_SP_NSC_11hip_rocprim7__merge17predicate_wrapperIffNSC_4lessIfEEEEEE10hipError_tPvRmT0_T1_T2_T3_T4_T5_mmT6_P12ihipStream_tbEUlT_E_NS1_11comp_targetILNS1_3genE9ELNS1_11target_archE1100ELNS1_3gpuE3ELNS1_3repE0EEENS1_30default_config_static_selectorELNS0_4arch9wavefront6targetE0EEEvS10_.kd
    .uniform_work_group_size: 1
    .uses_dynamic_stack: false
    .vgpr_count:     0
    .vgpr_spill_count: 0
    .wavefront_size: 32
  - .args:
      - .offset:         0
        .size:           64
        .value_kind:     by_value
    .group_segment_fixed_size: 0
    .kernarg_segment_align: 8
    .kernarg_segment_size: 64
    .language:       OpenCL C
    .language_version:
      - 2
      - 0
    .max_flat_workgroup_size: 256
    .name:           _ZN7rocprim17ROCPRIM_400000_NS6detail17trampoline_kernelINS0_14default_configENS1_21merge_config_selectorINS0_5tupleIJffEEENS0_10empty_typeEEEZNS1_10merge_implIS3_NS0_12zip_iteratorINS5_IJN6thrust23THRUST_200600_302600_NS6detail15normal_iteratorINSC_10device_ptrIKfEEEESI_EEEEESK_NSA_INS5_IJNSE_INSF_IfEEEESM_EEEEEPS7_SP_SP_NSC_11hip_rocprim7__merge17predicate_wrapperIffNSC_4lessIfEEEEEE10hipError_tPvRmT0_T1_T2_T3_T4_T5_mmT6_P12ihipStream_tbEUlT_E_NS1_11comp_targetILNS1_3genE8ELNS1_11target_archE1030ELNS1_3gpuE2ELNS1_3repE0EEENS1_30default_config_static_selectorELNS0_4arch9wavefront6targetE0EEEvS10_
    .private_segment_fixed_size: 0
    .sgpr_count:     0
    .sgpr_spill_count: 0
    .symbol:         _ZN7rocprim17ROCPRIM_400000_NS6detail17trampoline_kernelINS0_14default_configENS1_21merge_config_selectorINS0_5tupleIJffEEENS0_10empty_typeEEEZNS1_10merge_implIS3_NS0_12zip_iteratorINS5_IJN6thrust23THRUST_200600_302600_NS6detail15normal_iteratorINSC_10device_ptrIKfEEEESI_EEEEESK_NSA_INS5_IJNSE_INSF_IfEEEESM_EEEEEPS7_SP_SP_NSC_11hip_rocprim7__merge17predicate_wrapperIffNSC_4lessIfEEEEEE10hipError_tPvRmT0_T1_T2_T3_T4_T5_mmT6_P12ihipStream_tbEUlT_E_NS1_11comp_targetILNS1_3genE8ELNS1_11target_archE1030ELNS1_3gpuE2ELNS1_3repE0EEENS1_30default_config_static_selectorELNS0_4arch9wavefront6targetE0EEEvS10_.kd
    .uniform_work_group_size: 1
    .uses_dynamic_stack: false
    .vgpr_count:     0
    .vgpr_spill_count: 0
    .wavefront_size: 32
  - .args:
      - .offset:         0
        .size:           112
        .value_kind:     by_value
    .group_segment_fixed_size: 14352
    .kernarg_segment_align: 8
    .kernarg_segment_size: 112
    .language:       OpenCL C
    .language_version:
      - 2
      - 0
    .max_flat_workgroup_size: 256
    .name:           _ZN7rocprim17ROCPRIM_400000_NS6detail17trampoline_kernelINS0_14default_configENS1_21merge_config_selectorINS0_5tupleIJffEEENS0_10empty_typeEEEZNS1_10merge_implIS3_NS0_12zip_iteratorINS5_IJN6thrust23THRUST_200600_302600_NS6detail15normal_iteratorINSC_10device_ptrIKfEEEESI_EEEEESK_NSA_INS5_IJNSE_INSF_IfEEEESM_EEEEEPS7_SP_SP_NSC_11hip_rocprim7__merge17predicate_wrapperIffNSC_4lessIfEEEEEE10hipError_tPvRmT0_T1_T2_T3_T4_T5_mmT6_P12ihipStream_tbEUlT_E0_NS1_11comp_targetILNS1_3genE0ELNS1_11target_archE4294967295ELNS1_3gpuE0ELNS1_3repE0EEENS1_30default_config_static_selectorELNS0_4arch9wavefront6targetE0EEEvS10_
    .private_segment_fixed_size: 0
    .sgpr_count:     28
    .sgpr_spill_count: 0
    .symbol:         _ZN7rocprim17ROCPRIM_400000_NS6detail17trampoline_kernelINS0_14default_configENS1_21merge_config_selectorINS0_5tupleIJffEEENS0_10empty_typeEEEZNS1_10merge_implIS3_NS0_12zip_iteratorINS5_IJN6thrust23THRUST_200600_302600_NS6detail15normal_iteratorINSC_10device_ptrIKfEEEESI_EEEEESK_NSA_INS5_IJNSE_INSF_IfEEEESM_EEEEEPS7_SP_SP_NSC_11hip_rocprim7__merge17predicate_wrapperIffNSC_4lessIfEEEEEE10hipError_tPvRmT0_T1_T2_T3_T4_T5_mmT6_P12ihipStream_tbEUlT_E0_NS1_11comp_targetILNS1_3genE0ELNS1_11target_archE4294967295ELNS1_3gpuE0ELNS1_3repE0EEENS1_30default_config_static_selectorELNS0_4arch9wavefront6targetE0EEEvS10_.kd
    .uniform_work_group_size: 1
    .uses_dynamic_stack: false
    .vgpr_count:     36
    .vgpr_spill_count: 0
    .wavefront_size: 32
  - .args:
      - .offset:         0
        .size:           112
        .value_kind:     by_value
    .group_segment_fixed_size: 0
    .kernarg_segment_align: 8
    .kernarg_segment_size: 112
    .language:       OpenCL C
    .language_version:
      - 2
      - 0
    .max_flat_workgroup_size: 256
    .name:           _ZN7rocprim17ROCPRIM_400000_NS6detail17trampoline_kernelINS0_14default_configENS1_21merge_config_selectorINS0_5tupleIJffEEENS0_10empty_typeEEEZNS1_10merge_implIS3_NS0_12zip_iteratorINS5_IJN6thrust23THRUST_200600_302600_NS6detail15normal_iteratorINSC_10device_ptrIKfEEEESI_EEEEESK_NSA_INS5_IJNSE_INSF_IfEEEESM_EEEEEPS7_SP_SP_NSC_11hip_rocprim7__merge17predicate_wrapperIffNSC_4lessIfEEEEEE10hipError_tPvRmT0_T1_T2_T3_T4_T5_mmT6_P12ihipStream_tbEUlT_E0_NS1_11comp_targetILNS1_3genE5ELNS1_11target_archE942ELNS1_3gpuE9ELNS1_3repE0EEENS1_30default_config_static_selectorELNS0_4arch9wavefront6targetE0EEEvS10_
    .private_segment_fixed_size: 0
    .sgpr_count:     0
    .sgpr_spill_count: 0
    .symbol:         _ZN7rocprim17ROCPRIM_400000_NS6detail17trampoline_kernelINS0_14default_configENS1_21merge_config_selectorINS0_5tupleIJffEEENS0_10empty_typeEEEZNS1_10merge_implIS3_NS0_12zip_iteratorINS5_IJN6thrust23THRUST_200600_302600_NS6detail15normal_iteratorINSC_10device_ptrIKfEEEESI_EEEEESK_NSA_INS5_IJNSE_INSF_IfEEEESM_EEEEEPS7_SP_SP_NSC_11hip_rocprim7__merge17predicate_wrapperIffNSC_4lessIfEEEEEE10hipError_tPvRmT0_T1_T2_T3_T4_T5_mmT6_P12ihipStream_tbEUlT_E0_NS1_11comp_targetILNS1_3genE5ELNS1_11target_archE942ELNS1_3gpuE9ELNS1_3repE0EEENS1_30default_config_static_selectorELNS0_4arch9wavefront6targetE0EEEvS10_.kd
    .uniform_work_group_size: 1
    .uses_dynamic_stack: false
    .vgpr_count:     0
    .vgpr_spill_count: 0
    .wavefront_size: 32
  - .args:
      - .offset:         0
        .size:           112
        .value_kind:     by_value
    .group_segment_fixed_size: 0
    .kernarg_segment_align: 8
    .kernarg_segment_size: 112
    .language:       OpenCL C
    .language_version:
      - 2
      - 0
    .max_flat_workgroup_size: 256
    .name:           _ZN7rocprim17ROCPRIM_400000_NS6detail17trampoline_kernelINS0_14default_configENS1_21merge_config_selectorINS0_5tupleIJffEEENS0_10empty_typeEEEZNS1_10merge_implIS3_NS0_12zip_iteratorINS5_IJN6thrust23THRUST_200600_302600_NS6detail15normal_iteratorINSC_10device_ptrIKfEEEESI_EEEEESK_NSA_INS5_IJNSE_INSF_IfEEEESM_EEEEEPS7_SP_SP_NSC_11hip_rocprim7__merge17predicate_wrapperIffNSC_4lessIfEEEEEE10hipError_tPvRmT0_T1_T2_T3_T4_T5_mmT6_P12ihipStream_tbEUlT_E0_NS1_11comp_targetILNS1_3genE4ELNS1_11target_archE910ELNS1_3gpuE8ELNS1_3repE0EEENS1_30default_config_static_selectorELNS0_4arch9wavefront6targetE0EEEvS10_
    .private_segment_fixed_size: 0
    .sgpr_count:     0
    .sgpr_spill_count: 0
    .symbol:         _ZN7rocprim17ROCPRIM_400000_NS6detail17trampoline_kernelINS0_14default_configENS1_21merge_config_selectorINS0_5tupleIJffEEENS0_10empty_typeEEEZNS1_10merge_implIS3_NS0_12zip_iteratorINS5_IJN6thrust23THRUST_200600_302600_NS6detail15normal_iteratorINSC_10device_ptrIKfEEEESI_EEEEESK_NSA_INS5_IJNSE_INSF_IfEEEESM_EEEEEPS7_SP_SP_NSC_11hip_rocprim7__merge17predicate_wrapperIffNSC_4lessIfEEEEEE10hipError_tPvRmT0_T1_T2_T3_T4_T5_mmT6_P12ihipStream_tbEUlT_E0_NS1_11comp_targetILNS1_3genE4ELNS1_11target_archE910ELNS1_3gpuE8ELNS1_3repE0EEENS1_30default_config_static_selectorELNS0_4arch9wavefront6targetE0EEEvS10_.kd
    .uniform_work_group_size: 1
    .uses_dynamic_stack: false
    .vgpr_count:     0
    .vgpr_spill_count: 0
    .wavefront_size: 32
  - .args:
      - .offset:         0
        .size:           112
        .value_kind:     by_value
    .group_segment_fixed_size: 0
    .kernarg_segment_align: 8
    .kernarg_segment_size: 112
    .language:       OpenCL C
    .language_version:
      - 2
      - 0
    .max_flat_workgroup_size: 256
    .name:           _ZN7rocprim17ROCPRIM_400000_NS6detail17trampoline_kernelINS0_14default_configENS1_21merge_config_selectorINS0_5tupleIJffEEENS0_10empty_typeEEEZNS1_10merge_implIS3_NS0_12zip_iteratorINS5_IJN6thrust23THRUST_200600_302600_NS6detail15normal_iteratorINSC_10device_ptrIKfEEEESI_EEEEESK_NSA_INS5_IJNSE_INSF_IfEEEESM_EEEEEPS7_SP_SP_NSC_11hip_rocprim7__merge17predicate_wrapperIffNSC_4lessIfEEEEEE10hipError_tPvRmT0_T1_T2_T3_T4_T5_mmT6_P12ihipStream_tbEUlT_E0_NS1_11comp_targetILNS1_3genE3ELNS1_11target_archE908ELNS1_3gpuE7ELNS1_3repE0EEENS1_30default_config_static_selectorELNS0_4arch9wavefront6targetE0EEEvS10_
    .private_segment_fixed_size: 0
    .sgpr_count:     0
    .sgpr_spill_count: 0
    .symbol:         _ZN7rocprim17ROCPRIM_400000_NS6detail17trampoline_kernelINS0_14default_configENS1_21merge_config_selectorINS0_5tupleIJffEEENS0_10empty_typeEEEZNS1_10merge_implIS3_NS0_12zip_iteratorINS5_IJN6thrust23THRUST_200600_302600_NS6detail15normal_iteratorINSC_10device_ptrIKfEEEESI_EEEEESK_NSA_INS5_IJNSE_INSF_IfEEEESM_EEEEEPS7_SP_SP_NSC_11hip_rocprim7__merge17predicate_wrapperIffNSC_4lessIfEEEEEE10hipError_tPvRmT0_T1_T2_T3_T4_T5_mmT6_P12ihipStream_tbEUlT_E0_NS1_11comp_targetILNS1_3genE3ELNS1_11target_archE908ELNS1_3gpuE7ELNS1_3repE0EEENS1_30default_config_static_selectorELNS0_4arch9wavefront6targetE0EEEvS10_.kd
    .uniform_work_group_size: 1
    .uses_dynamic_stack: false
    .vgpr_count:     0
    .vgpr_spill_count: 0
    .wavefront_size: 32
  - .args:
      - .offset:         0
        .size:           112
        .value_kind:     by_value
    .group_segment_fixed_size: 0
    .kernarg_segment_align: 8
    .kernarg_segment_size: 112
    .language:       OpenCL C
    .language_version:
      - 2
      - 0
    .max_flat_workgroup_size: 256
    .name:           _ZN7rocprim17ROCPRIM_400000_NS6detail17trampoline_kernelINS0_14default_configENS1_21merge_config_selectorINS0_5tupleIJffEEENS0_10empty_typeEEEZNS1_10merge_implIS3_NS0_12zip_iteratorINS5_IJN6thrust23THRUST_200600_302600_NS6detail15normal_iteratorINSC_10device_ptrIKfEEEESI_EEEEESK_NSA_INS5_IJNSE_INSF_IfEEEESM_EEEEEPS7_SP_SP_NSC_11hip_rocprim7__merge17predicate_wrapperIffNSC_4lessIfEEEEEE10hipError_tPvRmT0_T1_T2_T3_T4_T5_mmT6_P12ihipStream_tbEUlT_E0_NS1_11comp_targetILNS1_3genE2ELNS1_11target_archE906ELNS1_3gpuE6ELNS1_3repE0EEENS1_30default_config_static_selectorELNS0_4arch9wavefront6targetE0EEEvS10_
    .private_segment_fixed_size: 0
    .sgpr_count:     0
    .sgpr_spill_count: 0
    .symbol:         _ZN7rocprim17ROCPRIM_400000_NS6detail17trampoline_kernelINS0_14default_configENS1_21merge_config_selectorINS0_5tupleIJffEEENS0_10empty_typeEEEZNS1_10merge_implIS3_NS0_12zip_iteratorINS5_IJN6thrust23THRUST_200600_302600_NS6detail15normal_iteratorINSC_10device_ptrIKfEEEESI_EEEEESK_NSA_INS5_IJNSE_INSF_IfEEEESM_EEEEEPS7_SP_SP_NSC_11hip_rocprim7__merge17predicate_wrapperIffNSC_4lessIfEEEEEE10hipError_tPvRmT0_T1_T2_T3_T4_T5_mmT6_P12ihipStream_tbEUlT_E0_NS1_11comp_targetILNS1_3genE2ELNS1_11target_archE906ELNS1_3gpuE6ELNS1_3repE0EEENS1_30default_config_static_selectorELNS0_4arch9wavefront6targetE0EEEvS10_.kd
    .uniform_work_group_size: 1
    .uses_dynamic_stack: false
    .vgpr_count:     0
    .vgpr_spill_count: 0
    .wavefront_size: 32
  - .args:
      - .offset:         0
        .size:           112
        .value_kind:     by_value
    .group_segment_fixed_size: 0
    .kernarg_segment_align: 8
    .kernarg_segment_size: 112
    .language:       OpenCL C
    .language_version:
      - 2
      - 0
    .max_flat_workgroup_size: 512
    .name:           _ZN7rocprim17ROCPRIM_400000_NS6detail17trampoline_kernelINS0_14default_configENS1_21merge_config_selectorINS0_5tupleIJffEEENS0_10empty_typeEEEZNS1_10merge_implIS3_NS0_12zip_iteratorINS5_IJN6thrust23THRUST_200600_302600_NS6detail15normal_iteratorINSC_10device_ptrIKfEEEESI_EEEEESK_NSA_INS5_IJNSE_INSF_IfEEEESM_EEEEEPS7_SP_SP_NSC_11hip_rocprim7__merge17predicate_wrapperIffNSC_4lessIfEEEEEE10hipError_tPvRmT0_T1_T2_T3_T4_T5_mmT6_P12ihipStream_tbEUlT_E0_NS1_11comp_targetILNS1_3genE10ELNS1_11target_archE1201ELNS1_3gpuE5ELNS1_3repE0EEENS1_30default_config_static_selectorELNS0_4arch9wavefront6targetE0EEEvS10_
    .private_segment_fixed_size: 0
    .sgpr_count:     0
    .sgpr_spill_count: 0
    .symbol:         _ZN7rocprim17ROCPRIM_400000_NS6detail17trampoline_kernelINS0_14default_configENS1_21merge_config_selectorINS0_5tupleIJffEEENS0_10empty_typeEEEZNS1_10merge_implIS3_NS0_12zip_iteratorINS5_IJN6thrust23THRUST_200600_302600_NS6detail15normal_iteratorINSC_10device_ptrIKfEEEESI_EEEEESK_NSA_INS5_IJNSE_INSF_IfEEEESM_EEEEEPS7_SP_SP_NSC_11hip_rocprim7__merge17predicate_wrapperIffNSC_4lessIfEEEEEE10hipError_tPvRmT0_T1_T2_T3_T4_T5_mmT6_P12ihipStream_tbEUlT_E0_NS1_11comp_targetILNS1_3genE10ELNS1_11target_archE1201ELNS1_3gpuE5ELNS1_3repE0EEENS1_30default_config_static_selectorELNS0_4arch9wavefront6targetE0EEEvS10_.kd
    .uniform_work_group_size: 1
    .uses_dynamic_stack: false
    .vgpr_count:     0
    .vgpr_spill_count: 0
    .wavefront_size: 32
  - .args:
      - .offset:         0
        .size:           112
        .value_kind:     by_value
    .group_segment_fixed_size: 0
    .kernarg_segment_align: 8
    .kernarg_segment_size: 112
    .language:       OpenCL C
    .language_version:
      - 2
      - 0
    .max_flat_workgroup_size: 1024
    .name:           _ZN7rocprim17ROCPRIM_400000_NS6detail17trampoline_kernelINS0_14default_configENS1_21merge_config_selectorINS0_5tupleIJffEEENS0_10empty_typeEEEZNS1_10merge_implIS3_NS0_12zip_iteratorINS5_IJN6thrust23THRUST_200600_302600_NS6detail15normal_iteratorINSC_10device_ptrIKfEEEESI_EEEEESK_NSA_INS5_IJNSE_INSF_IfEEEESM_EEEEEPS7_SP_SP_NSC_11hip_rocprim7__merge17predicate_wrapperIffNSC_4lessIfEEEEEE10hipError_tPvRmT0_T1_T2_T3_T4_T5_mmT6_P12ihipStream_tbEUlT_E0_NS1_11comp_targetILNS1_3genE10ELNS1_11target_archE1200ELNS1_3gpuE4ELNS1_3repE0EEENS1_30default_config_static_selectorELNS0_4arch9wavefront6targetE0EEEvS10_
    .private_segment_fixed_size: 0
    .sgpr_count:     0
    .sgpr_spill_count: 0
    .symbol:         _ZN7rocprim17ROCPRIM_400000_NS6detail17trampoline_kernelINS0_14default_configENS1_21merge_config_selectorINS0_5tupleIJffEEENS0_10empty_typeEEEZNS1_10merge_implIS3_NS0_12zip_iteratorINS5_IJN6thrust23THRUST_200600_302600_NS6detail15normal_iteratorINSC_10device_ptrIKfEEEESI_EEEEESK_NSA_INS5_IJNSE_INSF_IfEEEESM_EEEEEPS7_SP_SP_NSC_11hip_rocprim7__merge17predicate_wrapperIffNSC_4lessIfEEEEEE10hipError_tPvRmT0_T1_T2_T3_T4_T5_mmT6_P12ihipStream_tbEUlT_E0_NS1_11comp_targetILNS1_3genE10ELNS1_11target_archE1200ELNS1_3gpuE4ELNS1_3repE0EEENS1_30default_config_static_selectorELNS0_4arch9wavefront6targetE0EEEvS10_.kd
    .uniform_work_group_size: 1
    .uses_dynamic_stack: false
    .vgpr_count:     0
    .vgpr_spill_count: 0
    .wavefront_size: 32
  - .args:
      - .offset:         0
        .size:           112
        .value_kind:     by_value
    .group_segment_fixed_size: 0
    .kernarg_segment_align: 8
    .kernarg_segment_size: 112
    .language:       OpenCL C
    .language_version:
      - 2
      - 0
    .max_flat_workgroup_size: 1024
    .name:           _ZN7rocprim17ROCPRIM_400000_NS6detail17trampoline_kernelINS0_14default_configENS1_21merge_config_selectorINS0_5tupleIJffEEENS0_10empty_typeEEEZNS1_10merge_implIS3_NS0_12zip_iteratorINS5_IJN6thrust23THRUST_200600_302600_NS6detail15normal_iteratorINSC_10device_ptrIKfEEEESI_EEEEESK_NSA_INS5_IJNSE_INSF_IfEEEESM_EEEEEPS7_SP_SP_NSC_11hip_rocprim7__merge17predicate_wrapperIffNSC_4lessIfEEEEEE10hipError_tPvRmT0_T1_T2_T3_T4_T5_mmT6_P12ihipStream_tbEUlT_E0_NS1_11comp_targetILNS1_3genE9ELNS1_11target_archE1100ELNS1_3gpuE3ELNS1_3repE0EEENS1_30default_config_static_selectorELNS0_4arch9wavefront6targetE0EEEvS10_
    .private_segment_fixed_size: 0
    .sgpr_count:     0
    .sgpr_spill_count: 0
    .symbol:         _ZN7rocprim17ROCPRIM_400000_NS6detail17trampoline_kernelINS0_14default_configENS1_21merge_config_selectorINS0_5tupleIJffEEENS0_10empty_typeEEEZNS1_10merge_implIS3_NS0_12zip_iteratorINS5_IJN6thrust23THRUST_200600_302600_NS6detail15normal_iteratorINSC_10device_ptrIKfEEEESI_EEEEESK_NSA_INS5_IJNSE_INSF_IfEEEESM_EEEEEPS7_SP_SP_NSC_11hip_rocprim7__merge17predicate_wrapperIffNSC_4lessIfEEEEEE10hipError_tPvRmT0_T1_T2_T3_T4_T5_mmT6_P12ihipStream_tbEUlT_E0_NS1_11comp_targetILNS1_3genE9ELNS1_11target_archE1100ELNS1_3gpuE3ELNS1_3repE0EEENS1_30default_config_static_selectorELNS0_4arch9wavefront6targetE0EEEvS10_.kd
    .uniform_work_group_size: 1
    .uses_dynamic_stack: false
    .vgpr_count:     0
    .vgpr_spill_count: 0
    .wavefront_size: 32
  - .args:
      - .offset:         0
        .size:           112
        .value_kind:     by_value
    .group_segment_fixed_size: 0
    .kernarg_segment_align: 8
    .kernarg_segment_size: 112
    .language:       OpenCL C
    .language_version:
      - 2
      - 0
    .max_flat_workgroup_size: 256
    .name:           _ZN7rocprim17ROCPRIM_400000_NS6detail17trampoline_kernelINS0_14default_configENS1_21merge_config_selectorINS0_5tupleIJffEEENS0_10empty_typeEEEZNS1_10merge_implIS3_NS0_12zip_iteratorINS5_IJN6thrust23THRUST_200600_302600_NS6detail15normal_iteratorINSC_10device_ptrIKfEEEESI_EEEEESK_NSA_INS5_IJNSE_INSF_IfEEEESM_EEEEEPS7_SP_SP_NSC_11hip_rocprim7__merge17predicate_wrapperIffNSC_4lessIfEEEEEE10hipError_tPvRmT0_T1_T2_T3_T4_T5_mmT6_P12ihipStream_tbEUlT_E0_NS1_11comp_targetILNS1_3genE8ELNS1_11target_archE1030ELNS1_3gpuE2ELNS1_3repE0EEENS1_30default_config_static_selectorELNS0_4arch9wavefront6targetE0EEEvS10_
    .private_segment_fixed_size: 0
    .sgpr_count:     0
    .sgpr_spill_count: 0
    .symbol:         _ZN7rocprim17ROCPRIM_400000_NS6detail17trampoline_kernelINS0_14default_configENS1_21merge_config_selectorINS0_5tupleIJffEEENS0_10empty_typeEEEZNS1_10merge_implIS3_NS0_12zip_iteratorINS5_IJN6thrust23THRUST_200600_302600_NS6detail15normal_iteratorINSC_10device_ptrIKfEEEESI_EEEEESK_NSA_INS5_IJNSE_INSF_IfEEEESM_EEEEEPS7_SP_SP_NSC_11hip_rocprim7__merge17predicate_wrapperIffNSC_4lessIfEEEEEE10hipError_tPvRmT0_T1_T2_T3_T4_T5_mmT6_P12ihipStream_tbEUlT_E0_NS1_11comp_targetILNS1_3genE8ELNS1_11target_archE1030ELNS1_3gpuE2ELNS1_3repE0EEENS1_30default_config_static_selectorELNS0_4arch9wavefront6targetE0EEEvS10_.kd
    .uniform_work_group_size: 1
    .uses_dynamic_stack: false
    .vgpr_count:     0
    .vgpr_spill_count: 0
    .wavefront_size: 32
  - .args:
      - .offset:         0
        .size:           104
        .value_kind:     by_value
    .group_segment_fixed_size: 128
    .kernarg_segment_align: 8
    .kernarg_segment_size: 104
    .language:       OpenCL C
    .language_version:
      - 2
      - 0
    .max_flat_workgroup_size: 128
    .name:           _ZN7rocprim17ROCPRIM_400000_NS6detail17trampoline_kernelINS0_14default_configENS1_22reduce_config_selectorIN6thrust23THRUST_200600_302600_NS5tupleIblNS6_9null_typeES8_S8_S8_S8_S8_S8_S8_EEEEZNS1_11reduce_implILb1ES3_NS6_12zip_iteratorINS7_INS6_11hip_rocprim26transform_input_iterator_tIbNSD_35transform_pair_of_input_iterators_tIbNS6_6detail15normal_iteratorINS6_10device_ptrIKfEEEESL_NS6_8equal_toIfEEEENSG_9not_fun_tINSD_8identityEEEEENSD_19counting_iterator_tIlEES8_S8_S8_S8_S8_S8_S8_S8_EEEEPS9_S9_NSD_9__find_if7functorIS9_EEEE10hipError_tPvRmT1_T2_T3_mT4_P12ihipStream_tbEUlT_E0_NS1_11comp_targetILNS1_3genE0ELNS1_11target_archE4294967295ELNS1_3gpuE0ELNS1_3repE0EEENS1_30default_config_static_selectorELNS0_4arch9wavefront6targetE0EEEvS14_
    .private_segment_fixed_size: 0
    .sgpr_count:     30
    .sgpr_spill_count: 0
    .symbol:         _ZN7rocprim17ROCPRIM_400000_NS6detail17trampoline_kernelINS0_14default_configENS1_22reduce_config_selectorIN6thrust23THRUST_200600_302600_NS5tupleIblNS6_9null_typeES8_S8_S8_S8_S8_S8_S8_EEEEZNS1_11reduce_implILb1ES3_NS6_12zip_iteratorINS7_INS6_11hip_rocprim26transform_input_iterator_tIbNSD_35transform_pair_of_input_iterators_tIbNS6_6detail15normal_iteratorINS6_10device_ptrIKfEEEESL_NS6_8equal_toIfEEEENSG_9not_fun_tINSD_8identityEEEEENSD_19counting_iterator_tIlEES8_S8_S8_S8_S8_S8_S8_S8_EEEEPS9_S9_NSD_9__find_if7functorIS9_EEEE10hipError_tPvRmT1_T2_T3_mT4_P12ihipStream_tbEUlT_E0_NS1_11comp_targetILNS1_3genE0ELNS1_11target_archE4294967295ELNS1_3gpuE0ELNS1_3repE0EEENS1_30default_config_static_selectorELNS0_4arch9wavefront6targetE0EEEvS14_.kd
    .uniform_work_group_size: 1
    .uses_dynamic_stack: false
    .vgpr_count:     14
    .vgpr_spill_count: 0
    .wavefront_size: 32
  - .args:
      - .offset:         0
        .size:           104
        .value_kind:     by_value
    .group_segment_fixed_size: 0
    .kernarg_segment_align: 8
    .kernarg_segment_size: 104
    .language:       OpenCL C
    .language_version:
      - 2
      - 0
    .max_flat_workgroup_size: 256
    .name:           _ZN7rocprim17ROCPRIM_400000_NS6detail17trampoline_kernelINS0_14default_configENS1_22reduce_config_selectorIN6thrust23THRUST_200600_302600_NS5tupleIblNS6_9null_typeES8_S8_S8_S8_S8_S8_S8_EEEEZNS1_11reduce_implILb1ES3_NS6_12zip_iteratorINS7_INS6_11hip_rocprim26transform_input_iterator_tIbNSD_35transform_pair_of_input_iterators_tIbNS6_6detail15normal_iteratorINS6_10device_ptrIKfEEEESL_NS6_8equal_toIfEEEENSG_9not_fun_tINSD_8identityEEEEENSD_19counting_iterator_tIlEES8_S8_S8_S8_S8_S8_S8_S8_EEEEPS9_S9_NSD_9__find_if7functorIS9_EEEE10hipError_tPvRmT1_T2_T3_mT4_P12ihipStream_tbEUlT_E0_NS1_11comp_targetILNS1_3genE5ELNS1_11target_archE942ELNS1_3gpuE9ELNS1_3repE0EEENS1_30default_config_static_selectorELNS0_4arch9wavefront6targetE0EEEvS14_
    .private_segment_fixed_size: 0
    .sgpr_count:     0
    .sgpr_spill_count: 0
    .symbol:         _ZN7rocprim17ROCPRIM_400000_NS6detail17trampoline_kernelINS0_14default_configENS1_22reduce_config_selectorIN6thrust23THRUST_200600_302600_NS5tupleIblNS6_9null_typeES8_S8_S8_S8_S8_S8_S8_EEEEZNS1_11reduce_implILb1ES3_NS6_12zip_iteratorINS7_INS6_11hip_rocprim26transform_input_iterator_tIbNSD_35transform_pair_of_input_iterators_tIbNS6_6detail15normal_iteratorINS6_10device_ptrIKfEEEESL_NS6_8equal_toIfEEEENSG_9not_fun_tINSD_8identityEEEEENSD_19counting_iterator_tIlEES8_S8_S8_S8_S8_S8_S8_S8_EEEEPS9_S9_NSD_9__find_if7functorIS9_EEEE10hipError_tPvRmT1_T2_T3_mT4_P12ihipStream_tbEUlT_E0_NS1_11comp_targetILNS1_3genE5ELNS1_11target_archE942ELNS1_3gpuE9ELNS1_3repE0EEENS1_30default_config_static_selectorELNS0_4arch9wavefront6targetE0EEEvS14_.kd
    .uniform_work_group_size: 1
    .uses_dynamic_stack: false
    .vgpr_count:     0
    .vgpr_spill_count: 0
    .wavefront_size: 32
  - .args:
      - .offset:         0
        .size:           104
        .value_kind:     by_value
    .group_segment_fixed_size: 0
    .kernarg_segment_align: 8
    .kernarg_segment_size: 104
    .language:       OpenCL C
    .language_version:
      - 2
      - 0
    .max_flat_workgroup_size: 256
    .name:           _ZN7rocprim17ROCPRIM_400000_NS6detail17trampoline_kernelINS0_14default_configENS1_22reduce_config_selectorIN6thrust23THRUST_200600_302600_NS5tupleIblNS6_9null_typeES8_S8_S8_S8_S8_S8_S8_EEEEZNS1_11reduce_implILb1ES3_NS6_12zip_iteratorINS7_INS6_11hip_rocprim26transform_input_iterator_tIbNSD_35transform_pair_of_input_iterators_tIbNS6_6detail15normal_iteratorINS6_10device_ptrIKfEEEESL_NS6_8equal_toIfEEEENSG_9not_fun_tINSD_8identityEEEEENSD_19counting_iterator_tIlEES8_S8_S8_S8_S8_S8_S8_S8_EEEEPS9_S9_NSD_9__find_if7functorIS9_EEEE10hipError_tPvRmT1_T2_T3_mT4_P12ihipStream_tbEUlT_E0_NS1_11comp_targetILNS1_3genE4ELNS1_11target_archE910ELNS1_3gpuE8ELNS1_3repE0EEENS1_30default_config_static_selectorELNS0_4arch9wavefront6targetE0EEEvS14_
    .private_segment_fixed_size: 0
    .sgpr_count:     0
    .sgpr_spill_count: 0
    .symbol:         _ZN7rocprim17ROCPRIM_400000_NS6detail17trampoline_kernelINS0_14default_configENS1_22reduce_config_selectorIN6thrust23THRUST_200600_302600_NS5tupleIblNS6_9null_typeES8_S8_S8_S8_S8_S8_S8_EEEEZNS1_11reduce_implILb1ES3_NS6_12zip_iteratorINS7_INS6_11hip_rocprim26transform_input_iterator_tIbNSD_35transform_pair_of_input_iterators_tIbNS6_6detail15normal_iteratorINS6_10device_ptrIKfEEEESL_NS6_8equal_toIfEEEENSG_9not_fun_tINSD_8identityEEEEENSD_19counting_iterator_tIlEES8_S8_S8_S8_S8_S8_S8_S8_EEEEPS9_S9_NSD_9__find_if7functorIS9_EEEE10hipError_tPvRmT1_T2_T3_mT4_P12ihipStream_tbEUlT_E0_NS1_11comp_targetILNS1_3genE4ELNS1_11target_archE910ELNS1_3gpuE8ELNS1_3repE0EEENS1_30default_config_static_selectorELNS0_4arch9wavefront6targetE0EEEvS14_.kd
    .uniform_work_group_size: 1
    .uses_dynamic_stack: false
    .vgpr_count:     0
    .vgpr_spill_count: 0
    .wavefront_size: 32
  - .args:
      - .offset:         0
        .size:           104
        .value_kind:     by_value
    .group_segment_fixed_size: 0
    .kernarg_segment_align: 8
    .kernarg_segment_size: 104
    .language:       OpenCL C
    .language_version:
      - 2
      - 0
    .max_flat_workgroup_size: 128
    .name:           _ZN7rocprim17ROCPRIM_400000_NS6detail17trampoline_kernelINS0_14default_configENS1_22reduce_config_selectorIN6thrust23THRUST_200600_302600_NS5tupleIblNS6_9null_typeES8_S8_S8_S8_S8_S8_S8_EEEEZNS1_11reduce_implILb1ES3_NS6_12zip_iteratorINS7_INS6_11hip_rocprim26transform_input_iterator_tIbNSD_35transform_pair_of_input_iterators_tIbNS6_6detail15normal_iteratorINS6_10device_ptrIKfEEEESL_NS6_8equal_toIfEEEENSG_9not_fun_tINSD_8identityEEEEENSD_19counting_iterator_tIlEES8_S8_S8_S8_S8_S8_S8_S8_EEEEPS9_S9_NSD_9__find_if7functorIS9_EEEE10hipError_tPvRmT1_T2_T3_mT4_P12ihipStream_tbEUlT_E0_NS1_11comp_targetILNS1_3genE3ELNS1_11target_archE908ELNS1_3gpuE7ELNS1_3repE0EEENS1_30default_config_static_selectorELNS0_4arch9wavefront6targetE0EEEvS14_
    .private_segment_fixed_size: 0
    .sgpr_count:     0
    .sgpr_spill_count: 0
    .symbol:         _ZN7rocprim17ROCPRIM_400000_NS6detail17trampoline_kernelINS0_14default_configENS1_22reduce_config_selectorIN6thrust23THRUST_200600_302600_NS5tupleIblNS6_9null_typeES8_S8_S8_S8_S8_S8_S8_EEEEZNS1_11reduce_implILb1ES3_NS6_12zip_iteratorINS7_INS6_11hip_rocprim26transform_input_iterator_tIbNSD_35transform_pair_of_input_iterators_tIbNS6_6detail15normal_iteratorINS6_10device_ptrIKfEEEESL_NS6_8equal_toIfEEEENSG_9not_fun_tINSD_8identityEEEEENSD_19counting_iterator_tIlEES8_S8_S8_S8_S8_S8_S8_S8_EEEEPS9_S9_NSD_9__find_if7functorIS9_EEEE10hipError_tPvRmT1_T2_T3_mT4_P12ihipStream_tbEUlT_E0_NS1_11comp_targetILNS1_3genE3ELNS1_11target_archE908ELNS1_3gpuE7ELNS1_3repE0EEENS1_30default_config_static_selectorELNS0_4arch9wavefront6targetE0EEEvS14_.kd
    .uniform_work_group_size: 1
    .uses_dynamic_stack: false
    .vgpr_count:     0
    .vgpr_spill_count: 0
    .wavefront_size: 32
  - .args:
      - .offset:         0
        .size:           104
        .value_kind:     by_value
    .group_segment_fixed_size: 0
    .kernarg_segment_align: 8
    .kernarg_segment_size: 104
    .language:       OpenCL C
    .language_version:
      - 2
      - 0
    .max_flat_workgroup_size: 128
    .name:           _ZN7rocprim17ROCPRIM_400000_NS6detail17trampoline_kernelINS0_14default_configENS1_22reduce_config_selectorIN6thrust23THRUST_200600_302600_NS5tupleIblNS6_9null_typeES8_S8_S8_S8_S8_S8_S8_EEEEZNS1_11reduce_implILb1ES3_NS6_12zip_iteratorINS7_INS6_11hip_rocprim26transform_input_iterator_tIbNSD_35transform_pair_of_input_iterators_tIbNS6_6detail15normal_iteratorINS6_10device_ptrIKfEEEESL_NS6_8equal_toIfEEEENSG_9not_fun_tINSD_8identityEEEEENSD_19counting_iterator_tIlEES8_S8_S8_S8_S8_S8_S8_S8_EEEEPS9_S9_NSD_9__find_if7functorIS9_EEEE10hipError_tPvRmT1_T2_T3_mT4_P12ihipStream_tbEUlT_E0_NS1_11comp_targetILNS1_3genE2ELNS1_11target_archE906ELNS1_3gpuE6ELNS1_3repE0EEENS1_30default_config_static_selectorELNS0_4arch9wavefront6targetE0EEEvS14_
    .private_segment_fixed_size: 0
    .sgpr_count:     0
    .sgpr_spill_count: 0
    .symbol:         _ZN7rocprim17ROCPRIM_400000_NS6detail17trampoline_kernelINS0_14default_configENS1_22reduce_config_selectorIN6thrust23THRUST_200600_302600_NS5tupleIblNS6_9null_typeES8_S8_S8_S8_S8_S8_S8_EEEEZNS1_11reduce_implILb1ES3_NS6_12zip_iteratorINS7_INS6_11hip_rocprim26transform_input_iterator_tIbNSD_35transform_pair_of_input_iterators_tIbNS6_6detail15normal_iteratorINS6_10device_ptrIKfEEEESL_NS6_8equal_toIfEEEENSG_9not_fun_tINSD_8identityEEEEENSD_19counting_iterator_tIlEES8_S8_S8_S8_S8_S8_S8_S8_EEEEPS9_S9_NSD_9__find_if7functorIS9_EEEE10hipError_tPvRmT1_T2_T3_mT4_P12ihipStream_tbEUlT_E0_NS1_11comp_targetILNS1_3genE2ELNS1_11target_archE906ELNS1_3gpuE6ELNS1_3repE0EEENS1_30default_config_static_selectorELNS0_4arch9wavefront6targetE0EEEvS14_.kd
    .uniform_work_group_size: 1
    .uses_dynamic_stack: false
    .vgpr_count:     0
    .vgpr_spill_count: 0
    .wavefront_size: 32
  - .args:
      - .offset:         0
        .size:           104
        .value_kind:     by_value
    .group_segment_fixed_size: 0
    .kernarg_segment_align: 8
    .kernarg_segment_size: 104
    .language:       OpenCL C
    .language_version:
      - 2
      - 0
    .max_flat_workgroup_size: 256
    .name:           _ZN7rocprim17ROCPRIM_400000_NS6detail17trampoline_kernelINS0_14default_configENS1_22reduce_config_selectorIN6thrust23THRUST_200600_302600_NS5tupleIblNS6_9null_typeES8_S8_S8_S8_S8_S8_S8_EEEEZNS1_11reduce_implILb1ES3_NS6_12zip_iteratorINS7_INS6_11hip_rocprim26transform_input_iterator_tIbNSD_35transform_pair_of_input_iterators_tIbNS6_6detail15normal_iteratorINS6_10device_ptrIKfEEEESL_NS6_8equal_toIfEEEENSG_9not_fun_tINSD_8identityEEEEENSD_19counting_iterator_tIlEES8_S8_S8_S8_S8_S8_S8_S8_EEEEPS9_S9_NSD_9__find_if7functorIS9_EEEE10hipError_tPvRmT1_T2_T3_mT4_P12ihipStream_tbEUlT_E0_NS1_11comp_targetILNS1_3genE10ELNS1_11target_archE1201ELNS1_3gpuE5ELNS1_3repE0EEENS1_30default_config_static_selectorELNS0_4arch9wavefront6targetE0EEEvS14_
    .private_segment_fixed_size: 0
    .sgpr_count:     0
    .sgpr_spill_count: 0
    .symbol:         _ZN7rocprim17ROCPRIM_400000_NS6detail17trampoline_kernelINS0_14default_configENS1_22reduce_config_selectorIN6thrust23THRUST_200600_302600_NS5tupleIblNS6_9null_typeES8_S8_S8_S8_S8_S8_S8_EEEEZNS1_11reduce_implILb1ES3_NS6_12zip_iteratorINS7_INS6_11hip_rocprim26transform_input_iterator_tIbNSD_35transform_pair_of_input_iterators_tIbNS6_6detail15normal_iteratorINS6_10device_ptrIKfEEEESL_NS6_8equal_toIfEEEENSG_9not_fun_tINSD_8identityEEEEENSD_19counting_iterator_tIlEES8_S8_S8_S8_S8_S8_S8_S8_EEEEPS9_S9_NSD_9__find_if7functorIS9_EEEE10hipError_tPvRmT1_T2_T3_mT4_P12ihipStream_tbEUlT_E0_NS1_11comp_targetILNS1_3genE10ELNS1_11target_archE1201ELNS1_3gpuE5ELNS1_3repE0EEENS1_30default_config_static_selectorELNS0_4arch9wavefront6targetE0EEEvS14_.kd
    .uniform_work_group_size: 1
    .uses_dynamic_stack: false
    .vgpr_count:     0
    .vgpr_spill_count: 0
    .wavefront_size: 32
  - .args:
      - .offset:         0
        .size:           104
        .value_kind:     by_value
    .group_segment_fixed_size: 0
    .kernarg_segment_align: 8
    .kernarg_segment_size: 104
    .language:       OpenCL C
    .language_version:
      - 2
      - 0
    .max_flat_workgroup_size: 256
    .name:           _ZN7rocprim17ROCPRIM_400000_NS6detail17trampoline_kernelINS0_14default_configENS1_22reduce_config_selectorIN6thrust23THRUST_200600_302600_NS5tupleIblNS6_9null_typeES8_S8_S8_S8_S8_S8_S8_EEEEZNS1_11reduce_implILb1ES3_NS6_12zip_iteratorINS7_INS6_11hip_rocprim26transform_input_iterator_tIbNSD_35transform_pair_of_input_iterators_tIbNS6_6detail15normal_iteratorINS6_10device_ptrIKfEEEESL_NS6_8equal_toIfEEEENSG_9not_fun_tINSD_8identityEEEEENSD_19counting_iterator_tIlEES8_S8_S8_S8_S8_S8_S8_S8_EEEEPS9_S9_NSD_9__find_if7functorIS9_EEEE10hipError_tPvRmT1_T2_T3_mT4_P12ihipStream_tbEUlT_E0_NS1_11comp_targetILNS1_3genE10ELNS1_11target_archE1200ELNS1_3gpuE4ELNS1_3repE0EEENS1_30default_config_static_selectorELNS0_4arch9wavefront6targetE0EEEvS14_
    .private_segment_fixed_size: 0
    .sgpr_count:     0
    .sgpr_spill_count: 0
    .symbol:         _ZN7rocprim17ROCPRIM_400000_NS6detail17trampoline_kernelINS0_14default_configENS1_22reduce_config_selectorIN6thrust23THRUST_200600_302600_NS5tupleIblNS6_9null_typeES8_S8_S8_S8_S8_S8_S8_EEEEZNS1_11reduce_implILb1ES3_NS6_12zip_iteratorINS7_INS6_11hip_rocprim26transform_input_iterator_tIbNSD_35transform_pair_of_input_iterators_tIbNS6_6detail15normal_iteratorINS6_10device_ptrIKfEEEESL_NS6_8equal_toIfEEEENSG_9not_fun_tINSD_8identityEEEEENSD_19counting_iterator_tIlEES8_S8_S8_S8_S8_S8_S8_S8_EEEEPS9_S9_NSD_9__find_if7functorIS9_EEEE10hipError_tPvRmT1_T2_T3_mT4_P12ihipStream_tbEUlT_E0_NS1_11comp_targetILNS1_3genE10ELNS1_11target_archE1200ELNS1_3gpuE4ELNS1_3repE0EEENS1_30default_config_static_selectorELNS0_4arch9wavefront6targetE0EEEvS14_.kd
    .uniform_work_group_size: 1
    .uses_dynamic_stack: false
    .vgpr_count:     0
    .vgpr_spill_count: 0
    .wavefront_size: 32
  - .args:
      - .offset:         0
        .size:           104
        .value_kind:     by_value
    .group_segment_fixed_size: 0
    .kernarg_segment_align: 8
    .kernarg_segment_size: 104
    .language:       OpenCL C
    .language_version:
      - 2
      - 0
    .max_flat_workgroup_size: 256
    .name:           _ZN7rocprim17ROCPRIM_400000_NS6detail17trampoline_kernelINS0_14default_configENS1_22reduce_config_selectorIN6thrust23THRUST_200600_302600_NS5tupleIblNS6_9null_typeES8_S8_S8_S8_S8_S8_S8_EEEEZNS1_11reduce_implILb1ES3_NS6_12zip_iteratorINS7_INS6_11hip_rocprim26transform_input_iterator_tIbNSD_35transform_pair_of_input_iterators_tIbNS6_6detail15normal_iteratorINS6_10device_ptrIKfEEEESL_NS6_8equal_toIfEEEENSG_9not_fun_tINSD_8identityEEEEENSD_19counting_iterator_tIlEES8_S8_S8_S8_S8_S8_S8_S8_EEEEPS9_S9_NSD_9__find_if7functorIS9_EEEE10hipError_tPvRmT1_T2_T3_mT4_P12ihipStream_tbEUlT_E0_NS1_11comp_targetILNS1_3genE9ELNS1_11target_archE1100ELNS1_3gpuE3ELNS1_3repE0EEENS1_30default_config_static_selectorELNS0_4arch9wavefront6targetE0EEEvS14_
    .private_segment_fixed_size: 0
    .sgpr_count:     0
    .sgpr_spill_count: 0
    .symbol:         _ZN7rocprim17ROCPRIM_400000_NS6detail17trampoline_kernelINS0_14default_configENS1_22reduce_config_selectorIN6thrust23THRUST_200600_302600_NS5tupleIblNS6_9null_typeES8_S8_S8_S8_S8_S8_S8_EEEEZNS1_11reduce_implILb1ES3_NS6_12zip_iteratorINS7_INS6_11hip_rocprim26transform_input_iterator_tIbNSD_35transform_pair_of_input_iterators_tIbNS6_6detail15normal_iteratorINS6_10device_ptrIKfEEEESL_NS6_8equal_toIfEEEENSG_9not_fun_tINSD_8identityEEEEENSD_19counting_iterator_tIlEES8_S8_S8_S8_S8_S8_S8_S8_EEEEPS9_S9_NSD_9__find_if7functorIS9_EEEE10hipError_tPvRmT1_T2_T3_mT4_P12ihipStream_tbEUlT_E0_NS1_11comp_targetILNS1_3genE9ELNS1_11target_archE1100ELNS1_3gpuE3ELNS1_3repE0EEENS1_30default_config_static_selectorELNS0_4arch9wavefront6targetE0EEEvS14_.kd
    .uniform_work_group_size: 1
    .uses_dynamic_stack: false
    .vgpr_count:     0
    .vgpr_spill_count: 0
    .wavefront_size: 32
  - .args:
      - .offset:         0
        .size:           104
        .value_kind:     by_value
    .group_segment_fixed_size: 0
    .kernarg_segment_align: 8
    .kernarg_segment_size: 104
    .language:       OpenCL C
    .language_version:
      - 2
      - 0
    .max_flat_workgroup_size: 256
    .name:           _ZN7rocprim17ROCPRIM_400000_NS6detail17trampoline_kernelINS0_14default_configENS1_22reduce_config_selectorIN6thrust23THRUST_200600_302600_NS5tupleIblNS6_9null_typeES8_S8_S8_S8_S8_S8_S8_EEEEZNS1_11reduce_implILb1ES3_NS6_12zip_iteratorINS7_INS6_11hip_rocprim26transform_input_iterator_tIbNSD_35transform_pair_of_input_iterators_tIbNS6_6detail15normal_iteratorINS6_10device_ptrIKfEEEESL_NS6_8equal_toIfEEEENSG_9not_fun_tINSD_8identityEEEEENSD_19counting_iterator_tIlEES8_S8_S8_S8_S8_S8_S8_S8_EEEEPS9_S9_NSD_9__find_if7functorIS9_EEEE10hipError_tPvRmT1_T2_T3_mT4_P12ihipStream_tbEUlT_E0_NS1_11comp_targetILNS1_3genE8ELNS1_11target_archE1030ELNS1_3gpuE2ELNS1_3repE0EEENS1_30default_config_static_selectorELNS0_4arch9wavefront6targetE0EEEvS14_
    .private_segment_fixed_size: 0
    .sgpr_count:     0
    .sgpr_spill_count: 0
    .symbol:         _ZN7rocprim17ROCPRIM_400000_NS6detail17trampoline_kernelINS0_14default_configENS1_22reduce_config_selectorIN6thrust23THRUST_200600_302600_NS5tupleIblNS6_9null_typeES8_S8_S8_S8_S8_S8_S8_EEEEZNS1_11reduce_implILb1ES3_NS6_12zip_iteratorINS7_INS6_11hip_rocprim26transform_input_iterator_tIbNSD_35transform_pair_of_input_iterators_tIbNS6_6detail15normal_iteratorINS6_10device_ptrIKfEEEESL_NS6_8equal_toIfEEEENSG_9not_fun_tINSD_8identityEEEEENSD_19counting_iterator_tIlEES8_S8_S8_S8_S8_S8_S8_S8_EEEEPS9_S9_NSD_9__find_if7functorIS9_EEEE10hipError_tPvRmT1_T2_T3_mT4_P12ihipStream_tbEUlT_E0_NS1_11comp_targetILNS1_3genE8ELNS1_11target_archE1030ELNS1_3gpuE2ELNS1_3repE0EEENS1_30default_config_static_selectorELNS0_4arch9wavefront6targetE0EEEvS14_.kd
    .uniform_work_group_size: 1
    .uses_dynamic_stack: false
    .vgpr_count:     0
    .vgpr_spill_count: 0
    .wavefront_size: 32
  - .args:
      - .offset:         0
        .size:           88
        .value_kind:     by_value
    .group_segment_fixed_size: 320
    .kernarg_segment_align: 8
    .kernarg_segment_size: 88
    .language:       OpenCL C
    .language_version:
      - 2
      - 0
    .max_flat_workgroup_size: 128
    .name:           _ZN7rocprim17ROCPRIM_400000_NS6detail17trampoline_kernelINS0_14default_configENS1_22reduce_config_selectorIN6thrust23THRUST_200600_302600_NS5tupleIblNS6_9null_typeES8_S8_S8_S8_S8_S8_S8_EEEEZNS1_11reduce_implILb1ES3_NS6_12zip_iteratorINS7_INS6_11hip_rocprim26transform_input_iterator_tIbNSD_35transform_pair_of_input_iterators_tIbNS6_6detail15normal_iteratorINS6_10device_ptrIKfEEEESL_NS6_8equal_toIfEEEENSG_9not_fun_tINSD_8identityEEEEENSD_19counting_iterator_tIlEES8_S8_S8_S8_S8_S8_S8_S8_EEEEPS9_S9_NSD_9__find_if7functorIS9_EEEE10hipError_tPvRmT1_T2_T3_mT4_P12ihipStream_tbEUlT_E1_NS1_11comp_targetILNS1_3genE0ELNS1_11target_archE4294967295ELNS1_3gpuE0ELNS1_3repE0EEENS1_30default_config_static_selectorELNS0_4arch9wavefront6targetE0EEEvS14_
    .private_segment_fixed_size: 0
    .sgpr_count:     30
    .sgpr_spill_count: 0
    .symbol:         _ZN7rocprim17ROCPRIM_400000_NS6detail17trampoline_kernelINS0_14default_configENS1_22reduce_config_selectorIN6thrust23THRUST_200600_302600_NS5tupleIblNS6_9null_typeES8_S8_S8_S8_S8_S8_S8_EEEEZNS1_11reduce_implILb1ES3_NS6_12zip_iteratorINS7_INS6_11hip_rocprim26transform_input_iterator_tIbNSD_35transform_pair_of_input_iterators_tIbNS6_6detail15normal_iteratorINS6_10device_ptrIKfEEEESL_NS6_8equal_toIfEEEENSG_9not_fun_tINSD_8identityEEEEENSD_19counting_iterator_tIlEES8_S8_S8_S8_S8_S8_S8_S8_EEEEPS9_S9_NSD_9__find_if7functorIS9_EEEE10hipError_tPvRmT1_T2_T3_mT4_P12ihipStream_tbEUlT_E1_NS1_11comp_targetILNS1_3genE0ELNS1_11target_archE4294967295ELNS1_3gpuE0ELNS1_3repE0EEENS1_30default_config_static_selectorELNS0_4arch9wavefront6targetE0EEEvS14_.kd
    .uniform_work_group_size: 1
    .uses_dynamic_stack: false
    .vgpr_count:     28
    .vgpr_spill_count: 0
    .wavefront_size: 32
  - .args:
      - .offset:         0
        .size:           88
        .value_kind:     by_value
    .group_segment_fixed_size: 0
    .kernarg_segment_align: 8
    .kernarg_segment_size: 88
    .language:       OpenCL C
    .language_version:
      - 2
      - 0
    .max_flat_workgroup_size: 256
    .name:           _ZN7rocprim17ROCPRIM_400000_NS6detail17trampoline_kernelINS0_14default_configENS1_22reduce_config_selectorIN6thrust23THRUST_200600_302600_NS5tupleIblNS6_9null_typeES8_S8_S8_S8_S8_S8_S8_EEEEZNS1_11reduce_implILb1ES3_NS6_12zip_iteratorINS7_INS6_11hip_rocprim26transform_input_iterator_tIbNSD_35transform_pair_of_input_iterators_tIbNS6_6detail15normal_iteratorINS6_10device_ptrIKfEEEESL_NS6_8equal_toIfEEEENSG_9not_fun_tINSD_8identityEEEEENSD_19counting_iterator_tIlEES8_S8_S8_S8_S8_S8_S8_S8_EEEEPS9_S9_NSD_9__find_if7functorIS9_EEEE10hipError_tPvRmT1_T2_T3_mT4_P12ihipStream_tbEUlT_E1_NS1_11comp_targetILNS1_3genE5ELNS1_11target_archE942ELNS1_3gpuE9ELNS1_3repE0EEENS1_30default_config_static_selectorELNS0_4arch9wavefront6targetE0EEEvS14_
    .private_segment_fixed_size: 0
    .sgpr_count:     0
    .sgpr_spill_count: 0
    .symbol:         _ZN7rocprim17ROCPRIM_400000_NS6detail17trampoline_kernelINS0_14default_configENS1_22reduce_config_selectorIN6thrust23THRUST_200600_302600_NS5tupleIblNS6_9null_typeES8_S8_S8_S8_S8_S8_S8_EEEEZNS1_11reduce_implILb1ES3_NS6_12zip_iteratorINS7_INS6_11hip_rocprim26transform_input_iterator_tIbNSD_35transform_pair_of_input_iterators_tIbNS6_6detail15normal_iteratorINS6_10device_ptrIKfEEEESL_NS6_8equal_toIfEEEENSG_9not_fun_tINSD_8identityEEEEENSD_19counting_iterator_tIlEES8_S8_S8_S8_S8_S8_S8_S8_EEEEPS9_S9_NSD_9__find_if7functorIS9_EEEE10hipError_tPvRmT1_T2_T3_mT4_P12ihipStream_tbEUlT_E1_NS1_11comp_targetILNS1_3genE5ELNS1_11target_archE942ELNS1_3gpuE9ELNS1_3repE0EEENS1_30default_config_static_selectorELNS0_4arch9wavefront6targetE0EEEvS14_.kd
    .uniform_work_group_size: 1
    .uses_dynamic_stack: false
    .vgpr_count:     0
    .vgpr_spill_count: 0
    .wavefront_size: 32
  - .args:
      - .offset:         0
        .size:           88
        .value_kind:     by_value
    .group_segment_fixed_size: 0
    .kernarg_segment_align: 8
    .kernarg_segment_size: 88
    .language:       OpenCL C
    .language_version:
      - 2
      - 0
    .max_flat_workgroup_size: 256
    .name:           _ZN7rocprim17ROCPRIM_400000_NS6detail17trampoline_kernelINS0_14default_configENS1_22reduce_config_selectorIN6thrust23THRUST_200600_302600_NS5tupleIblNS6_9null_typeES8_S8_S8_S8_S8_S8_S8_EEEEZNS1_11reduce_implILb1ES3_NS6_12zip_iteratorINS7_INS6_11hip_rocprim26transform_input_iterator_tIbNSD_35transform_pair_of_input_iterators_tIbNS6_6detail15normal_iteratorINS6_10device_ptrIKfEEEESL_NS6_8equal_toIfEEEENSG_9not_fun_tINSD_8identityEEEEENSD_19counting_iterator_tIlEES8_S8_S8_S8_S8_S8_S8_S8_EEEEPS9_S9_NSD_9__find_if7functorIS9_EEEE10hipError_tPvRmT1_T2_T3_mT4_P12ihipStream_tbEUlT_E1_NS1_11comp_targetILNS1_3genE4ELNS1_11target_archE910ELNS1_3gpuE8ELNS1_3repE0EEENS1_30default_config_static_selectorELNS0_4arch9wavefront6targetE0EEEvS14_
    .private_segment_fixed_size: 0
    .sgpr_count:     0
    .sgpr_spill_count: 0
    .symbol:         _ZN7rocprim17ROCPRIM_400000_NS6detail17trampoline_kernelINS0_14default_configENS1_22reduce_config_selectorIN6thrust23THRUST_200600_302600_NS5tupleIblNS6_9null_typeES8_S8_S8_S8_S8_S8_S8_EEEEZNS1_11reduce_implILb1ES3_NS6_12zip_iteratorINS7_INS6_11hip_rocprim26transform_input_iterator_tIbNSD_35transform_pair_of_input_iterators_tIbNS6_6detail15normal_iteratorINS6_10device_ptrIKfEEEESL_NS6_8equal_toIfEEEENSG_9not_fun_tINSD_8identityEEEEENSD_19counting_iterator_tIlEES8_S8_S8_S8_S8_S8_S8_S8_EEEEPS9_S9_NSD_9__find_if7functorIS9_EEEE10hipError_tPvRmT1_T2_T3_mT4_P12ihipStream_tbEUlT_E1_NS1_11comp_targetILNS1_3genE4ELNS1_11target_archE910ELNS1_3gpuE8ELNS1_3repE0EEENS1_30default_config_static_selectorELNS0_4arch9wavefront6targetE0EEEvS14_.kd
    .uniform_work_group_size: 1
    .uses_dynamic_stack: false
    .vgpr_count:     0
    .vgpr_spill_count: 0
    .wavefront_size: 32
  - .args:
      - .offset:         0
        .size:           88
        .value_kind:     by_value
    .group_segment_fixed_size: 0
    .kernarg_segment_align: 8
    .kernarg_segment_size: 88
    .language:       OpenCL C
    .language_version:
      - 2
      - 0
    .max_flat_workgroup_size: 128
    .name:           _ZN7rocprim17ROCPRIM_400000_NS6detail17trampoline_kernelINS0_14default_configENS1_22reduce_config_selectorIN6thrust23THRUST_200600_302600_NS5tupleIblNS6_9null_typeES8_S8_S8_S8_S8_S8_S8_EEEEZNS1_11reduce_implILb1ES3_NS6_12zip_iteratorINS7_INS6_11hip_rocprim26transform_input_iterator_tIbNSD_35transform_pair_of_input_iterators_tIbNS6_6detail15normal_iteratorINS6_10device_ptrIKfEEEESL_NS6_8equal_toIfEEEENSG_9not_fun_tINSD_8identityEEEEENSD_19counting_iterator_tIlEES8_S8_S8_S8_S8_S8_S8_S8_EEEEPS9_S9_NSD_9__find_if7functorIS9_EEEE10hipError_tPvRmT1_T2_T3_mT4_P12ihipStream_tbEUlT_E1_NS1_11comp_targetILNS1_3genE3ELNS1_11target_archE908ELNS1_3gpuE7ELNS1_3repE0EEENS1_30default_config_static_selectorELNS0_4arch9wavefront6targetE0EEEvS14_
    .private_segment_fixed_size: 0
    .sgpr_count:     0
    .sgpr_spill_count: 0
    .symbol:         _ZN7rocprim17ROCPRIM_400000_NS6detail17trampoline_kernelINS0_14default_configENS1_22reduce_config_selectorIN6thrust23THRUST_200600_302600_NS5tupleIblNS6_9null_typeES8_S8_S8_S8_S8_S8_S8_EEEEZNS1_11reduce_implILb1ES3_NS6_12zip_iteratorINS7_INS6_11hip_rocprim26transform_input_iterator_tIbNSD_35transform_pair_of_input_iterators_tIbNS6_6detail15normal_iteratorINS6_10device_ptrIKfEEEESL_NS6_8equal_toIfEEEENSG_9not_fun_tINSD_8identityEEEEENSD_19counting_iterator_tIlEES8_S8_S8_S8_S8_S8_S8_S8_EEEEPS9_S9_NSD_9__find_if7functorIS9_EEEE10hipError_tPvRmT1_T2_T3_mT4_P12ihipStream_tbEUlT_E1_NS1_11comp_targetILNS1_3genE3ELNS1_11target_archE908ELNS1_3gpuE7ELNS1_3repE0EEENS1_30default_config_static_selectorELNS0_4arch9wavefront6targetE0EEEvS14_.kd
    .uniform_work_group_size: 1
    .uses_dynamic_stack: false
    .vgpr_count:     0
    .vgpr_spill_count: 0
    .wavefront_size: 32
  - .args:
      - .offset:         0
        .size:           88
        .value_kind:     by_value
    .group_segment_fixed_size: 0
    .kernarg_segment_align: 8
    .kernarg_segment_size: 88
    .language:       OpenCL C
    .language_version:
      - 2
      - 0
    .max_flat_workgroup_size: 128
    .name:           _ZN7rocprim17ROCPRIM_400000_NS6detail17trampoline_kernelINS0_14default_configENS1_22reduce_config_selectorIN6thrust23THRUST_200600_302600_NS5tupleIblNS6_9null_typeES8_S8_S8_S8_S8_S8_S8_EEEEZNS1_11reduce_implILb1ES3_NS6_12zip_iteratorINS7_INS6_11hip_rocprim26transform_input_iterator_tIbNSD_35transform_pair_of_input_iterators_tIbNS6_6detail15normal_iteratorINS6_10device_ptrIKfEEEESL_NS6_8equal_toIfEEEENSG_9not_fun_tINSD_8identityEEEEENSD_19counting_iterator_tIlEES8_S8_S8_S8_S8_S8_S8_S8_EEEEPS9_S9_NSD_9__find_if7functorIS9_EEEE10hipError_tPvRmT1_T2_T3_mT4_P12ihipStream_tbEUlT_E1_NS1_11comp_targetILNS1_3genE2ELNS1_11target_archE906ELNS1_3gpuE6ELNS1_3repE0EEENS1_30default_config_static_selectorELNS0_4arch9wavefront6targetE0EEEvS14_
    .private_segment_fixed_size: 0
    .sgpr_count:     0
    .sgpr_spill_count: 0
    .symbol:         _ZN7rocprim17ROCPRIM_400000_NS6detail17trampoline_kernelINS0_14default_configENS1_22reduce_config_selectorIN6thrust23THRUST_200600_302600_NS5tupleIblNS6_9null_typeES8_S8_S8_S8_S8_S8_S8_EEEEZNS1_11reduce_implILb1ES3_NS6_12zip_iteratorINS7_INS6_11hip_rocprim26transform_input_iterator_tIbNSD_35transform_pair_of_input_iterators_tIbNS6_6detail15normal_iteratorINS6_10device_ptrIKfEEEESL_NS6_8equal_toIfEEEENSG_9not_fun_tINSD_8identityEEEEENSD_19counting_iterator_tIlEES8_S8_S8_S8_S8_S8_S8_S8_EEEEPS9_S9_NSD_9__find_if7functorIS9_EEEE10hipError_tPvRmT1_T2_T3_mT4_P12ihipStream_tbEUlT_E1_NS1_11comp_targetILNS1_3genE2ELNS1_11target_archE906ELNS1_3gpuE6ELNS1_3repE0EEENS1_30default_config_static_selectorELNS0_4arch9wavefront6targetE0EEEvS14_.kd
    .uniform_work_group_size: 1
    .uses_dynamic_stack: false
    .vgpr_count:     0
    .vgpr_spill_count: 0
    .wavefront_size: 32
  - .args:
      - .offset:         0
        .size:           88
        .value_kind:     by_value
    .group_segment_fixed_size: 0
    .kernarg_segment_align: 8
    .kernarg_segment_size: 88
    .language:       OpenCL C
    .language_version:
      - 2
      - 0
    .max_flat_workgroup_size: 256
    .name:           _ZN7rocprim17ROCPRIM_400000_NS6detail17trampoline_kernelINS0_14default_configENS1_22reduce_config_selectorIN6thrust23THRUST_200600_302600_NS5tupleIblNS6_9null_typeES8_S8_S8_S8_S8_S8_S8_EEEEZNS1_11reduce_implILb1ES3_NS6_12zip_iteratorINS7_INS6_11hip_rocprim26transform_input_iterator_tIbNSD_35transform_pair_of_input_iterators_tIbNS6_6detail15normal_iteratorINS6_10device_ptrIKfEEEESL_NS6_8equal_toIfEEEENSG_9not_fun_tINSD_8identityEEEEENSD_19counting_iterator_tIlEES8_S8_S8_S8_S8_S8_S8_S8_EEEEPS9_S9_NSD_9__find_if7functorIS9_EEEE10hipError_tPvRmT1_T2_T3_mT4_P12ihipStream_tbEUlT_E1_NS1_11comp_targetILNS1_3genE10ELNS1_11target_archE1201ELNS1_3gpuE5ELNS1_3repE0EEENS1_30default_config_static_selectorELNS0_4arch9wavefront6targetE0EEEvS14_
    .private_segment_fixed_size: 0
    .sgpr_count:     0
    .sgpr_spill_count: 0
    .symbol:         _ZN7rocprim17ROCPRIM_400000_NS6detail17trampoline_kernelINS0_14default_configENS1_22reduce_config_selectorIN6thrust23THRUST_200600_302600_NS5tupleIblNS6_9null_typeES8_S8_S8_S8_S8_S8_S8_EEEEZNS1_11reduce_implILb1ES3_NS6_12zip_iteratorINS7_INS6_11hip_rocprim26transform_input_iterator_tIbNSD_35transform_pair_of_input_iterators_tIbNS6_6detail15normal_iteratorINS6_10device_ptrIKfEEEESL_NS6_8equal_toIfEEEENSG_9not_fun_tINSD_8identityEEEEENSD_19counting_iterator_tIlEES8_S8_S8_S8_S8_S8_S8_S8_EEEEPS9_S9_NSD_9__find_if7functorIS9_EEEE10hipError_tPvRmT1_T2_T3_mT4_P12ihipStream_tbEUlT_E1_NS1_11comp_targetILNS1_3genE10ELNS1_11target_archE1201ELNS1_3gpuE5ELNS1_3repE0EEENS1_30default_config_static_selectorELNS0_4arch9wavefront6targetE0EEEvS14_.kd
    .uniform_work_group_size: 1
    .uses_dynamic_stack: false
    .vgpr_count:     0
    .vgpr_spill_count: 0
    .wavefront_size: 32
  - .args:
      - .offset:         0
        .size:           88
        .value_kind:     by_value
    .group_segment_fixed_size: 0
    .kernarg_segment_align: 8
    .kernarg_segment_size: 88
    .language:       OpenCL C
    .language_version:
      - 2
      - 0
    .max_flat_workgroup_size: 256
    .name:           _ZN7rocprim17ROCPRIM_400000_NS6detail17trampoline_kernelINS0_14default_configENS1_22reduce_config_selectorIN6thrust23THRUST_200600_302600_NS5tupleIblNS6_9null_typeES8_S8_S8_S8_S8_S8_S8_EEEEZNS1_11reduce_implILb1ES3_NS6_12zip_iteratorINS7_INS6_11hip_rocprim26transform_input_iterator_tIbNSD_35transform_pair_of_input_iterators_tIbNS6_6detail15normal_iteratorINS6_10device_ptrIKfEEEESL_NS6_8equal_toIfEEEENSG_9not_fun_tINSD_8identityEEEEENSD_19counting_iterator_tIlEES8_S8_S8_S8_S8_S8_S8_S8_EEEEPS9_S9_NSD_9__find_if7functorIS9_EEEE10hipError_tPvRmT1_T2_T3_mT4_P12ihipStream_tbEUlT_E1_NS1_11comp_targetILNS1_3genE10ELNS1_11target_archE1200ELNS1_3gpuE4ELNS1_3repE0EEENS1_30default_config_static_selectorELNS0_4arch9wavefront6targetE0EEEvS14_
    .private_segment_fixed_size: 0
    .sgpr_count:     0
    .sgpr_spill_count: 0
    .symbol:         _ZN7rocprim17ROCPRIM_400000_NS6detail17trampoline_kernelINS0_14default_configENS1_22reduce_config_selectorIN6thrust23THRUST_200600_302600_NS5tupleIblNS6_9null_typeES8_S8_S8_S8_S8_S8_S8_EEEEZNS1_11reduce_implILb1ES3_NS6_12zip_iteratorINS7_INS6_11hip_rocprim26transform_input_iterator_tIbNSD_35transform_pair_of_input_iterators_tIbNS6_6detail15normal_iteratorINS6_10device_ptrIKfEEEESL_NS6_8equal_toIfEEEENSG_9not_fun_tINSD_8identityEEEEENSD_19counting_iterator_tIlEES8_S8_S8_S8_S8_S8_S8_S8_EEEEPS9_S9_NSD_9__find_if7functorIS9_EEEE10hipError_tPvRmT1_T2_T3_mT4_P12ihipStream_tbEUlT_E1_NS1_11comp_targetILNS1_3genE10ELNS1_11target_archE1200ELNS1_3gpuE4ELNS1_3repE0EEENS1_30default_config_static_selectorELNS0_4arch9wavefront6targetE0EEEvS14_.kd
    .uniform_work_group_size: 1
    .uses_dynamic_stack: false
    .vgpr_count:     0
    .vgpr_spill_count: 0
    .wavefront_size: 32
  - .args:
      - .offset:         0
        .size:           88
        .value_kind:     by_value
    .group_segment_fixed_size: 0
    .kernarg_segment_align: 8
    .kernarg_segment_size: 88
    .language:       OpenCL C
    .language_version:
      - 2
      - 0
    .max_flat_workgroup_size: 256
    .name:           _ZN7rocprim17ROCPRIM_400000_NS6detail17trampoline_kernelINS0_14default_configENS1_22reduce_config_selectorIN6thrust23THRUST_200600_302600_NS5tupleIblNS6_9null_typeES8_S8_S8_S8_S8_S8_S8_EEEEZNS1_11reduce_implILb1ES3_NS6_12zip_iteratorINS7_INS6_11hip_rocprim26transform_input_iterator_tIbNSD_35transform_pair_of_input_iterators_tIbNS6_6detail15normal_iteratorINS6_10device_ptrIKfEEEESL_NS6_8equal_toIfEEEENSG_9not_fun_tINSD_8identityEEEEENSD_19counting_iterator_tIlEES8_S8_S8_S8_S8_S8_S8_S8_EEEEPS9_S9_NSD_9__find_if7functorIS9_EEEE10hipError_tPvRmT1_T2_T3_mT4_P12ihipStream_tbEUlT_E1_NS1_11comp_targetILNS1_3genE9ELNS1_11target_archE1100ELNS1_3gpuE3ELNS1_3repE0EEENS1_30default_config_static_selectorELNS0_4arch9wavefront6targetE0EEEvS14_
    .private_segment_fixed_size: 0
    .sgpr_count:     0
    .sgpr_spill_count: 0
    .symbol:         _ZN7rocprim17ROCPRIM_400000_NS6detail17trampoline_kernelINS0_14default_configENS1_22reduce_config_selectorIN6thrust23THRUST_200600_302600_NS5tupleIblNS6_9null_typeES8_S8_S8_S8_S8_S8_S8_EEEEZNS1_11reduce_implILb1ES3_NS6_12zip_iteratorINS7_INS6_11hip_rocprim26transform_input_iterator_tIbNSD_35transform_pair_of_input_iterators_tIbNS6_6detail15normal_iteratorINS6_10device_ptrIKfEEEESL_NS6_8equal_toIfEEEENSG_9not_fun_tINSD_8identityEEEEENSD_19counting_iterator_tIlEES8_S8_S8_S8_S8_S8_S8_S8_EEEEPS9_S9_NSD_9__find_if7functorIS9_EEEE10hipError_tPvRmT1_T2_T3_mT4_P12ihipStream_tbEUlT_E1_NS1_11comp_targetILNS1_3genE9ELNS1_11target_archE1100ELNS1_3gpuE3ELNS1_3repE0EEENS1_30default_config_static_selectorELNS0_4arch9wavefront6targetE0EEEvS14_.kd
    .uniform_work_group_size: 1
    .uses_dynamic_stack: false
    .vgpr_count:     0
    .vgpr_spill_count: 0
    .wavefront_size: 32
  - .args:
      - .offset:         0
        .size:           88
        .value_kind:     by_value
    .group_segment_fixed_size: 0
    .kernarg_segment_align: 8
    .kernarg_segment_size: 88
    .language:       OpenCL C
    .language_version:
      - 2
      - 0
    .max_flat_workgroup_size: 256
    .name:           _ZN7rocprim17ROCPRIM_400000_NS6detail17trampoline_kernelINS0_14default_configENS1_22reduce_config_selectorIN6thrust23THRUST_200600_302600_NS5tupleIblNS6_9null_typeES8_S8_S8_S8_S8_S8_S8_EEEEZNS1_11reduce_implILb1ES3_NS6_12zip_iteratorINS7_INS6_11hip_rocprim26transform_input_iterator_tIbNSD_35transform_pair_of_input_iterators_tIbNS6_6detail15normal_iteratorINS6_10device_ptrIKfEEEESL_NS6_8equal_toIfEEEENSG_9not_fun_tINSD_8identityEEEEENSD_19counting_iterator_tIlEES8_S8_S8_S8_S8_S8_S8_S8_EEEEPS9_S9_NSD_9__find_if7functorIS9_EEEE10hipError_tPvRmT1_T2_T3_mT4_P12ihipStream_tbEUlT_E1_NS1_11comp_targetILNS1_3genE8ELNS1_11target_archE1030ELNS1_3gpuE2ELNS1_3repE0EEENS1_30default_config_static_selectorELNS0_4arch9wavefront6targetE0EEEvS14_
    .private_segment_fixed_size: 0
    .sgpr_count:     0
    .sgpr_spill_count: 0
    .symbol:         _ZN7rocprim17ROCPRIM_400000_NS6detail17trampoline_kernelINS0_14default_configENS1_22reduce_config_selectorIN6thrust23THRUST_200600_302600_NS5tupleIblNS6_9null_typeES8_S8_S8_S8_S8_S8_S8_EEEEZNS1_11reduce_implILb1ES3_NS6_12zip_iteratorINS7_INS6_11hip_rocprim26transform_input_iterator_tIbNSD_35transform_pair_of_input_iterators_tIbNS6_6detail15normal_iteratorINS6_10device_ptrIKfEEEESL_NS6_8equal_toIfEEEENSG_9not_fun_tINSD_8identityEEEEENSD_19counting_iterator_tIlEES8_S8_S8_S8_S8_S8_S8_S8_EEEEPS9_S9_NSD_9__find_if7functorIS9_EEEE10hipError_tPvRmT1_T2_T3_mT4_P12ihipStream_tbEUlT_E1_NS1_11comp_targetILNS1_3genE8ELNS1_11target_archE1030ELNS1_3gpuE2ELNS1_3repE0EEENS1_30default_config_static_selectorELNS0_4arch9wavefront6targetE0EEEvS14_.kd
    .uniform_work_group_size: 1
    .uses_dynamic_stack: false
    .vgpr_count:     0
    .vgpr_spill_count: 0
    .wavefront_size: 32
  - .args:
      - .offset:         0
        .size:           16
        .value_kind:     by_value
      - .offset:         16
        .size:           8
        .value_kind:     by_value
      - .offset:         24
        .size:           8
        .value_kind:     by_value
    .group_segment_fixed_size: 0
    .kernarg_segment_align: 8
    .kernarg_segment_size: 32
    .language:       OpenCL C
    .language_version:
      - 2
      - 0
    .max_flat_workgroup_size: 256
    .name:           _ZN6thrust23THRUST_200600_302600_NS11hip_rocprim14__parallel_for6kernelILj256ENS1_20__uninitialized_fill7functorINS0_10device_ptrIyEEyEEmLj1EEEvT0_T1_SA_
    .private_segment_fixed_size: 0
    .sgpr_count:     14
    .sgpr_spill_count: 0
    .symbol:         _ZN6thrust23THRUST_200600_302600_NS11hip_rocprim14__parallel_for6kernelILj256ENS1_20__uninitialized_fill7functorINS0_10device_ptrIyEEyEEmLj1EEEvT0_T1_SA_.kd
    .uniform_work_group_size: 1
    .uses_dynamic_stack: false
    .vgpr_count:     4
    .vgpr_spill_count: 0
    .wavefront_size: 32
  - .args:
      - .offset:         0
        .size:           64
        .value_kind:     by_value
      - .offset:         64
        .size:           4
        .value_kind:     hidden_block_count_x
      - .offset:         68
        .size:           4
        .value_kind:     hidden_block_count_y
      - .offset:         72
        .size:           4
        .value_kind:     hidden_block_count_z
      - .offset:         76
        .size:           2
        .value_kind:     hidden_group_size_x
      - .offset:         78
        .size:           2
        .value_kind:     hidden_group_size_y
      - .offset:         80
        .size:           2
        .value_kind:     hidden_group_size_z
      - .offset:         82
        .size:           2
        .value_kind:     hidden_remainder_x
      - .offset:         84
        .size:           2
        .value_kind:     hidden_remainder_y
      - .offset:         86
        .size:           2
        .value_kind:     hidden_remainder_z
      - .offset:         104
        .size:           8
        .value_kind:     hidden_global_offset_x
      - .offset:         112
        .size:           8
        .value_kind:     hidden_global_offset_y
      - .offset:         120
        .size:           8
        .value_kind:     hidden_global_offset_z
      - .offset:         128
        .size:           2
        .value_kind:     hidden_grid_dims
    .group_segment_fixed_size: 0
    .kernarg_segment_align: 8
    .kernarg_segment_size: 320
    .language:       OpenCL C
    .language_version:
      - 2
      - 0
    .max_flat_workgroup_size: 512
    .name:           _ZN7rocprim17ROCPRIM_400000_NS6detail17trampoline_kernelINS0_14default_configENS1_21merge_config_selectorINS0_5tupleIJyyEEENS0_10empty_typeEEEZNS1_10merge_implIS3_NS0_12zip_iteratorINS5_IJN6thrust23THRUST_200600_302600_NS6detail15normal_iteratorINSC_10device_ptrIKyEEEESI_EEEEESK_NSA_INS5_IJNSE_INSF_IyEEEESM_EEEEEPS7_SP_SP_NSC_11hip_rocprim7__merge17predicate_wrapperIyyNSC_4lessIyEEEEEE10hipError_tPvRmT0_T1_T2_T3_T4_T5_mmT6_P12ihipStream_tbEUlT_E_NS1_11comp_targetILNS1_3genE0ELNS1_11target_archE4294967295ELNS1_3gpuE0ELNS1_3repE0EEENS1_30default_config_static_selectorELNS0_4arch9wavefront6targetE0EEEvS10_
    .private_segment_fixed_size: 0
    .sgpr_count:     16
    .sgpr_spill_count: 0
    .symbol:         _ZN7rocprim17ROCPRIM_400000_NS6detail17trampoline_kernelINS0_14default_configENS1_21merge_config_selectorINS0_5tupleIJyyEEENS0_10empty_typeEEEZNS1_10merge_implIS3_NS0_12zip_iteratorINS5_IJN6thrust23THRUST_200600_302600_NS6detail15normal_iteratorINSC_10device_ptrIKyEEEESI_EEEEESK_NSA_INS5_IJNSE_INSF_IyEEEESM_EEEEEPS7_SP_SP_NSC_11hip_rocprim7__merge17predicate_wrapperIyyNSC_4lessIyEEEEEE10hipError_tPvRmT0_T1_T2_T3_T4_T5_mmT6_P12ihipStream_tbEUlT_E_NS1_11comp_targetILNS1_3genE0ELNS1_11target_archE4294967295ELNS1_3gpuE0ELNS1_3repE0EEENS1_30default_config_static_selectorELNS0_4arch9wavefront6targetE0EEEvS10_.kd
    .uniform_work_group_size: 1
    .uses_dynamic_stack: false
    .vgpr_count:     18
    .vgpr_spill_count: 0
    .wavefront_size: 32
  - .args:
      - .offset:         0
        .size:           64
        .value_kind:     by_value
    .group_segment_fixed_size: 0
    .kernarg_segment_align: 8
    .kernarg_segment_size: 64
    .language:       OpenCL C
    .language_version:
      - 2
      - 0
    .max_flat_workgroup_size: 256
    .name:           _ZN7rocprim17ROCPRIM_400000_NS6detail17trampoline_kernelINS0_14default_configENS1_21merge_config_selectorINS0_5tupleIJyyEEENS0_10empty_typeEEEZNS1_10merge_implIS3_NS0_12zip_iteratorINS5_IJN6thrust23THRUST_200600_302600_NS6detail15normal_iteratorINSC_10device_ptrIKyEEEESI_EEEEESK_NSA_INS5_IJNSE_INSF_IyEEEESM_EEEEEPS7_SP_SP_NSC_11hip_rocprim7__merge17predicate_wrapperIyyNSC_4lessIyEEEEEE10hipError_tPvRmT0_T1_T2_T3_T4_T5_mmT6_P12ihipStream_tbEUlT_E_NS1_11comp_targetILNS1_3genE5ELNS1_11target_archE942ELNS1_3gpuE9ELNS1_3repE0EEENS1_30default_config_static_selectorELNS0_4arch9wavefront6targetE0EEEvS10_
    .private_segment_fixed_size: 0
    .sgpr_count:     0
    .sgpr_spill_count: 0
    .symbol:         _ZN7rocprim17ROCPRIM_400000_NS6detail17trampoline_kernelINS0_14default_configENS1_21merge_config_selectorINS0_5tupleIJyyEEENS0_10empty_typeEEEZNS1_10merge_implIS3_NS0_12zip_iteratorINS5_IJN6thrust23THRUST_200600_302600_NS6detail15normal_iteratorINSC_10device_ptrIKyEEEESI_EEEEESK_NSA_INS5_IJNSE_INSF_IyEEEESM_EEEEEPS7_SP_SP_NSC_11hip_rocprim7__merge17predicate_wrapperIyyNSC_4lessIyEEEEEE10hipError_tPvRmT0_T1_T2_T3_T4_T5_mmT6_P12ihipStream_tbEUlT_E_NS1_11comp_targetILNS1_3genE5ELNS1_11target_archE942ELNS1_3gpuE9ELNS1_3repE0EEENS1_30default_config_static_selectorELNS0_4arch9wavefront6targetE0EEEvS10_.kd
    .uniform_work_group_size: 1
    .uses_dynamic_stack: false
    .vgpr_count:     0
    .vgpr_spill_count: 0
    .wavefront_size: 32
  - .args:
      - .offset:         0
        .size:           64
        .value_kind:     by_value
    .group_segment_fixed_size: 0
    .kernarg_segment_align: 8
    .kernarg_segment_size: 64
    .language:       OpenCL C
    .language_version:
      - 2
      - 0
    .max_flat_workgroup_size: 512
    .name:           _ZN7rocprim17ROCPRIM_400000_NS6detail17trampoline_kernelINS0_14default_configENS1_21merge_config_selectorINS0_5tupleIJyyEEENS0_10empty_typeEEEZNS1_10merge_implIS3_NS0_12zip_iteratorINS5_IJN6thrust23THRUST_200600_302600_NS6detail15normal_iteratorINSC_10device_ptrIKyEEEESI_EEEEESK_NSA_INS5_IJNSE_INSF_IyEEEESM_EEEEEPS7_SP_SP_NSC_11hip_rocprim7__merge17predicate_wrapperIyyNSC_4lessIyEEEEEE10hipError_tPvRmT0_T1_T2_T3_T4_T5_mmT6_P12ihipStream_tbEUlT_E_NS1_11comp_targetILNS1_3genE4ELNS1_11target_archE910ELNS1_3gpuE8ELNS1_3repE0EEENS1_30default_config_static_selectorELNS0_4arch9wavefront6targetE0EEEvS10_
    .private_segment_fixed_size: 0
    .sgpr_count:     0
    .sgpr_spill_count: 0
    .symbol:         _ZN7rocprim17ROCPRIM_400000_NS6detail17trampoline_kernelINS0_14default_configENS1_21merge_config_selectorINS0_5tupleIJyyEEENS0_10empty_typeEEEZNS1_10merge_implIS3_NS0_12zip_iteratorINS5_IJN6thrust23THRUST_200600_302600_NS6detail15normal_iteratorINSC_10device_ptrIKyEEEESI_EEEEESK_NSA_INS5_IJNSE_INSF_IyEEEESM_EEEEEPS7_SP_SP_NSC_11hip_rocprim7__merge17predicate_wrapperIyyNSC_4lessIyEEEEEE10hipError_tPvRmT0_T1_T2_T3_T4_T5_mmT6_P12ihipStream_tbEUlT_E_NS1_11comp_targetILNS1_3genE4ELNS1_11target_archE910ELNS1_3gpuE8ELNS1_3repE0EEENS1_30default_config_static_selectorELNS0_4arch9wavefront6targetE0EEEvS10_.kd
    .uniform_work_group_size: 1
    .uses_dynamic_stack: false
    .vgpr_count:     0
    .vgpr_spill_count: 0
    .wavefront_size: 32
  - .args:
      - .offset:         0
        .size:           64
        .value_kind:     by_value
    .group_segment_fixed_size: 0
    .kernarg_segment_align: 8
    .kernarg_segment_size: 64
    .language:       OpenCL C
    .language_version:
      - 2
      - 0
    .max_flat_workgroup_size: 512
    .name:           _ZN7rocprim17ROCPRIM_400000_NS6detail17trampoline_kernelINS0_14default_configENS1_21merge_config_selectorINS0_5tupleIJyyEEENS0_10empty_typeEEEZNS1_10merge_implIS3_NS0_12zip_iteratorINS5_IJN6thrust23THRUST_200600_302600_NS6detail15normal_iteratorINSC_10device_ptrIKyEEEESI_EEEEESK_NSA_INS5_IJNSE_INSF_IyEEEESM_EEEEEPS7_SP_SP_NSC_11hip_rocprim7__merge17predicate_wrapperIyyNSC_4lessIyEEEEEE10hipError_tPvRmT0_T1_T2_T3_T4_T5_mmT6_P12ihipStream_tbEUlT_E_NS1_11comp_targetILNS1_3genE3ELNS1_11target_archE908ELNS1_3gpuE7ELNS1_3repE0EEENS1_30default_config_static_selectorELNS0_4arch9wavefront6targetE0EEEvS10_
    .private_segment_fixed_size: 0
    .sgpr_count:     0
    .sgpr_spill_count: 0
    .symbol:         _ZN7rocprim17ROCPRIM_400000_NS6detail17trampoline_kernelINS0_14default_configENS1_21merge_config_selectorINS0_5tupleIJyyEEENS0_10empty_typeEEEZNS1_10merge_implIS3_NS0_12zip_iteratorINS5_IJN6thrust23THRUST_200600_302600_NS6detail15normal_iteratorINSC_10device_ptrIKyEEEESI_EEEEESK_NSA_INS5_IJNSE_INSF_IyEEEESM_EEEEEPS7_SP_SP_NSC_11hip_rocprim7__merge17predicate_wrapperIyyNSC_4lessIyEEEEEE10hipError_tPvRmT0_T1_T2_T3_T4_T5_mmT6_P12ihipStream_tbEUlT_E_NS1_11comp_targetILNS1_3genE3ELNS1_11target_archE908ELNS1_3gpuE7ELNS1_3repE0EEENS1_30default_config_static_selectorELNS0_4arch9wavefront6targetE0EEEvS10_.kd
    .uniform_work_group_size: 1
    .uses_dynamic_stack: false
    .vgpr_count:     0
    .vgpr_spill_count: 0
    .wavefront_size: 32
  - .args:
      - .offset:         0
        .size:           64
        .value_kind:     by_value
    .group_segment_fixed_size: 0
    .kernarg_segment_align: 8
    .kernarg_segment_size: 64
    .language:       OpenCL C
    .language_version:
      - 2
      - 0
    .max_flat_workgroup_size: 512
    .name:           _ZN7rocprim17ROCPRIM_400000_NS6detail17trampoline_kernelINS0_14default_configENS1_21merge_config_selectorINS0_5tupleIJyyEEENS0_10empty_typeEEEZNS1_10merge_implIS3_NS0_12zip_iteratorINS5_IJN6thrust23THRUST_200600_302600_NS6detail15normal_iteratorINSC_10device_ptrIKyEEEESI_EEEEESK_NSA_INS5_IJNSE_INSF_IyEEEESM_EEEEEPS7_SP_SP_NSC_11hip_rocprim7__merge17predicate_wrapperIyyNSC_4lessIyEEEEEE10hipError_tPvRmT0_T1_T2_T3_T4_T5_mmT6_P12ihipStream_tbEUlT_E_NS1_11comp_targetILNS1_3genE2ELNS1_11target_archE906ELNS1_3gpuE6ELNS1_3repE0EEENS1_30default_config_static_selectorELNS0_4arch9wavefront6targetE0EEEvS10_
    .private_segment_fixed_size: 0
    .sgpr_count:     0
    .sgpr_spill_count: 0
    .symbol:         _ZN7rocprim17ROCPRIM_400000_NS6detail17trampoline_kernelINS0_14default_configENS1_21merge_config_selectorINS0_5tupleIJyyEEENS0_10empty_typeEEEZNS1_10merge_implIS3_NS0_12zip_iteratorINS5_IJN6thrust23THRUST_200600_302600_NS6detail15normal_iteratorINSC_10device_ptrIKyEEEESI_EEEEESK_NSA_INS5_IJNSE_INSF_IyEEEESM_EEEEEPS7_SP_SP_NSC_11hip_rocprim7__merge17predicate_wrapperIyyNSC_4lessIyEEEEEE10hipError_tPvRmT0_T1_T2_T3_T4_T5_mmT6_P12ihipStream_tbEUlT_E_NS1_11comp_targetILNS1_3genE2ELNS1_11target_archE906ELNS1_3gpuE6ELNS1_3repE0EEENS1_30default_config_static_selectorELNS0_4arch9wavefront6targetE0EEEvS10_.kd
    .uniform_work_group_size: 1
    .uses_dynamic_stack: false
    .vgpr_count:     0
    .vgpr_spill_count: 0
    .wavefront_size: 32
  - .args:
      - .offset:         0
        .size:           64
        .value_kind:     by_value
    .group_segment_fixed_size: 0
    .kernarg_segment_align: 8
    .kernarg_segment_size: 64
    .language:       OpenCL C
    .language_version:
      - 2
      - 0
    .max_flat_workgroup_size: 512
    .name:           _ZN7rocprim17ROCPRIM_400000_NS6detail17trampoline_kernelINS0_14default_configENS1_21merge_config_selectorINS0_5tupleIJyyEEENS0_10empty_typeEEEZNS1_10merge_implIS3_NS0_12zip_iteratorINS5_IJN6thrust23THRUST_200600_302600_NS6detail15normal_iteratorINSC_10device_ptrIKyEEEESI_EEEEESK_NSA_INS5_IJNSE_INSF_IyEEEESM_EEEEEPS7_SP_SP_NSC_11hip_rocprim7__merge17predicate_wrapperIyyNSC_4lessIyEEEEEE10hipError_tPvRmT0_T1_T2_T3_T4_T5_mmT6_P12ihipStream_tbEUlT_E_NS1_11comp_targetILNS1_3genE10ELNS1_11target_archE1201ELNS1_3gpuE5ELNS1_3repE0EEENS1_30default_config_static_selectorELNS0_4arch9wavefront6targetE0EEEvS10_
    .private_segment_fixed_size: 0
    .sgpr_count:     0
    .sgpr_spill_count: 0
    .symbol:         _ZN7rocprim17ROCPRIM_400000_NS6detail17trampoline_kernelINS0_14default_configENS1_21merge_config_selectorINS0_5tupleIJyyEEENS0_10empty_typeEEEZNS1_10merge_implIS3_NS0_12zip_iteratorINS5_IJN6thrust23THRUST_200600_302600_NS6detail15normal_iteratorINSC_10device_ptrIKyEEEESI_EEEEESK_NSA_INS5_IJNSE_INSF_IyEEEESM_EEEEEPS7_SP_SP_NSC_11hip_rocprim7__merge17predicate_wrapperIyyNSC_4lessIyEEEEEE10hipError_tPvRmT0_T1_T2_T3_T4_T5_mmT6_P12ihipStream_tbEUlT_E_NS1_11comp_targetILNS1_3genE10ELNS1_11target_archE1201ELNS1_3gpuE5ELNS1_3repE0EEENS1_30default_config_static_selectorELNS0_4arch9wavefront6targetE0EEEvS10_.kd
    .uniform_work_group_size: 1
    .uses_dynamic_stack: false
    .vgpr_count:     0
    .vgpr_spill_count: 0
    .wavefront_size: 32
  - .args:
      - .offset:         0
        .size:           64
        .value_kind:     by_value
    .group_segment_fixed_size: 0
    .kernarg_segment_align: 8
    .kernarg_segment_size: 64
    .language:       OpenCL C
    .language_version:
      - 2
      - 0
    .max_flat_workgroup_size: 256
    .name:           _ZN7rocprim17ROCPRIM_400000_NS6detail17trampoline_kernelINS0_14default_configENS1_21merge_config_selectorINS0_5tupleIJyyEEENS0_10empty_typeEEEZNS1_10merge_implIS3_NS0_12zip_iteratorINS5_IJN6thrust23THRUST_200600_302600_NS6detail15normal_iteratorINSC_10device_ptrIKyEEEESI_EEEEESK_NSA_INS5_IJNSE_INSF_IyEEEESM_EEEEEPS7_SP_SP_NSC_11hip_rocprim7__merge17predicate_wrapperIyyNSC_4lessIyEEEEEE10hipError_tPvRmT0_T1_T2_T3_T4_T5_mmT6_P12ihipStream_tbEUlT_E_NS1_11comp_targetILNS1_3genE10ELNS1_11target_archE1200ELNS1_3gpuE4ELNS1_3repE0EEENS1_30default_config_static_selectorELNS0_4arch9wavefront6targetE0EEEvS10_
    .private_segment_fixed_size: 0
    .sgpr_count:     0
    .sgpr_spill_count: 0
    .symbol:         _ZN7rocprim17ROCPRIM_400000_NS6detail17trampoline_kernelINS0_14default_configENS1_21merge_config_selectorINS0_5tupleIJyyEEENS0_10empty_typeEEEZNS1_10merge_implIS3_NS0_12zip_iteratorINS5_IJN6thrust23THRUST_200600_302600_NS6detail15normal_iteratorINSC_10device_ptrIKyEEEESI_EEEEESK_NSA_INS5_IJNSE_INSF_IyEEEESM_EEEEEPS7_SP_SP_NSC_11hip_rocprim7__merge17predicate_wrapperIyyNSC_4lessIyEEEEEE10hipError_tPvRmT0_T1_T2_T3_T4_T5_mmT6_P12ihipStream_tbEUlT_E_NS1_11comp_targetILNS1_3genE10ELNS1_11target_archE1200ELNS1_3gpuE4ELNS1_3repE0EEENS1_30default_config_static_selectorELNS0_4arch9wavefront6targetE0EEEvS10_.kd
    .uniform_work_group_size: 1
    .uses_dynamic_stack: false
    .vgpr_count:     0
    .vgpr_spill_count: 0
    .wavefront_size: 32
  - .args:
      - .offset:         0
        .size:           64
        .value_kind:     by_value
    .group_segment_fixed_size: 0
    .kernarg_segment_align: 8
    .kernarg_segment_size: 64
    .language:       OpenCL C
    .language_version:
      - 2
      - 0
    .max_flat_workgroup_size: 1024
    .name:           _ZN7rocprim17ROCPRIM_400000_NS6detail17trampoline_kernelINS0_14default_configENS1_21merge_config_selectorINS0_5tupleIJyyEEENS0_10empty_typeEEEZNS1_10merge_implIS3_NS0_12zip_iteratorINS5_IJN6thrust23THRUST_200600_302600_NS6detail15normal_iteratorINSC_10device_ptrIKyEEEESI_EEEEESK_NSA_INS5_IJNSE_INSF_IyEEEESM_EEEEEPS7_SP_SP_NSC_11hip_rocprim7__merge17predicate_wrapperIyyNSC_4lessIyEEEEEE10hipError_tPvRmT0_T1_T2_T3_T4_T5_mmT6_P12ihipStream_tbEUlT_E_NS1_11comp_targetILNS1_3genE9ELNS1_11target_archE1100ELNS1_3gpuE3ELNS1_3repE0EEENS1_30default_config_static_selectorELNS0_4arch9wavefront6targetE0EEEvS10_
    .private_segment_fixed_size: 0
    .sgpr_count:     0
    .sgpr_spill_count: 0
    .symbol:         _ZN7rocprim17ROCPRIM_400000_NS6detail17trampoline_kernelINS0_14default_configENS1_21merge_config_selectorINS0_5tupleIJyyEEENS0_10empty_typeEEEZNS1_10merge_implIS3_NS0_12zip_iteratorINS5_IJN6thrust23THRUST_200600_302600_NS6detail15normal_iteratorINSC_10device_ptrIKyEEEESI_EEEEESK_NSA_INS5_IJNSE_INSF_IyEEEESM_EEEEEPS7_SP_SP_NSC_11hip_rocprim7__merge17predicate_wrapperIyyNSC_4lessIyEEEEEE10hipError_tPvRmT0_T1_T2_T3_T4_T5_mmT6_P12ihipStream_tbEUlT_E_NS1_11comp_targetILNS1_3genE9ELNS1_11target_archE1100ELNS1_3gpuE3ELNS1_3repE0EEENS1_30default_config_static_selectorELNS0_4arch9wavefront6targetE0EEEvS10_.kd
    .uniform_work_group_size: 1
    .uses_dynamic_stack: false
    .vgpr_count:     0
    .vgpr_spill_count: 0
    .wavefront_size: 32
  - .args:
      - .offset:         0
        .size:           64
        .value_kind:     by_value
    .group_segment_fixed_size: 0
    .kernarg_segment_align: 8
    .kernarg_segment_size: 64
    .language:       OpenCL C
    .language_version:
      - 2
      - 0
    .max_flat_workgroup_size: 256
    .name:           _ZN7rocprim17ROCPRIM_400000_NS6detail17trampoline_kernelINS0_14default_configENS1_21merge_config_selectorINS0_5tupleIJyyEEENS0_10empty_typeEEEZNS1_10merge_implIS3_NS0_12zip_iteratorINS5_IJN6thrust23THRUST_200600_302600_NS6detail15normal_iteratorINSC_10device_ptrIKyEEEESI_EEEEESK_NSA_INS5_IJNSE_INSF_IyEEEESM_EEEEEPS7_SP_SP_NSC_11hip_rocprim7__merge17predicate_wrapperIyyNSC_4lessIyEEEEEE10hipError_tPvRmT0_T1_T2_T3_T4_T5_mmT6_P12ihipStream_tbEUlT_E_NS1_11comp_targetILNS1_3genE8ELNS1_11target_archE1030ELNS1_3gpuE2ELNS1_3repE0EEENS1_30default_config_static_selectorELNS0_4arch9wavefront6targetE0EEEvS10_
    .private_segment_fixed_size: 0
    .sgpr_count:     0
    .sgpr_spill_count: 0
    .symbol:         _ZN7rocprim17ROCPRIM_400000_NS6detail17trampoline_kernelINS0_14default_configENS1_21merge_config_selectorINS0_5tupleIJyyEEENS0_10empty_typeEEEZNS1_10merge_implIS3_NS0_12zip_iteratorINS5_IJN6thrust23THRUST_200600_302600_NS6detail15normal_iteratorINSC_10device_ptrIKyEEEESI_EEEEESK_NSA_INS5_IJNSE_INSF_IyEEEESM_EEEEEPS7_SP_SP_NSC_11hip_rocprim7__merge17predicate_wrapperIyyNSC_4lessIyEEEEEE10hipError_tPvRmT0_T1_T2_T3_T4_T5_mmT6_P12ihipStream_tbEUlT_E_NS1_11comp_targetILNS1_3genE8ELNS1_11target_archE1030ELNS1_3gpuE2ELNS1_3repE0EEENS1_30default_config_static_selectorELNS0_4arch9wavefront6targetE0EEEvS10_.kd
    .uniform_work_group_size: 1
    .uses_dynamic_stack: false
    .vgpr_count:     0
    .vgpr_spill_count: 0
    .wavefront_size: 32
  - .args:
      - .offset:         0
        .size:           112
        .value_kind:     by_value
    .group_segment_fixed_size: 16896
    .kernarg_segment_align: 8
    .kernarg_segment_size: 112
    .language:       OpenCL C
    .language_version:
      - 2
      - 0
    .max_flat_workgroup_size: 512
    .name:           _ZN7rocprim17ROCPRIM_400000_NS6detail17trampoline_kernelINS0_14default_configENS1_21merge_config_selectorINS0_5tupleIJyyEEENS0_10empty_typeEEEZNS1_10merge_implIS3_NS0_12zip_iteratorINS5_IJN6thrust23THRUST_200600_302600_NS6detail15normal_iteratorINSC_10device_ptrIKyEEEESI_EEEEESK_NSA_INS5_IJNSE_INSF_IyEEEESM_EEEEEPS7_SP_SP_NSC_11hip_rocprim7__merge17predicate_wrapperIyyNSC_4lessIyEEEEEE10hipError_tPvRmT0_T1_T2_T3_T4_T5_mmT6_P12ihipStream_tbEUlT_E0_NS1_11comp_targetILNS1_3genE0ELNS1_11target_archE4294967295ELNS1_3gpuE0ELNS1_3repE0EEENS1_30default_config_static_selectorELNS0_4arch9wavefront6targetE0EEEvS10_
    .private_segment_fixed_size: 0
    .sgpr_count:     27
    .sgpr_spill_count: 0
    .symbol:         _ZN7rocprim17ROCPRIM_400000_NS6detail17trampoline_kernelINS0_14default_configENS1_21merge_config_selectorINS0_5tupleIJyyEEENS0_10empty_typeEEEZNS1_10merge_implIS3_NS0_12zip_iteratorINS5_IJN6thrust23THRUST_200600_302600_NS6detail15normal_iteratorINSC_10device_ptrIKyEEEESI_EEEEESK_NSA_INS5_IJNSE_INSF_IyEEEESM_EEEEEPS7_SP_SP_NSC_11hip_rocprim7__merge17predicate_wrapperIyyNSC_4lessIyEEEEEE10hipError_tPvRmT0_T1_T2_T3_T4_T5_mmT6_P12ihipStream_tbEUlT_E0_NS1_11comp_targetILNS1_3genE0ELNS1_11target_archE4294967295ELNS1_3gpuE0ELNS1_3repE0EEENS1_30default_config_static_selectorELNS0_4arch9wavefront6targetE0EEEvS10_.kd
    .uniform_work_group_size: 1
    .uses_dynamic_stack: false
    .vgpr_count:     23
    .vgpr_spill_count: 0
    .wavefront_size: 32
  - .args:
      - .offset:         0
        .size:           112
        .value_kind:     by_value
    .group_segment_fixed_size: 0
    .kernarg_segment_align: 8
    .kernarg_segment_size: 112
    .language:       OpenCL C
    .language_version:
      - 2
      - 0
    .max_flat_workgroup_size: 256
    .name:           _ZN7rocprim17ROCPRIM_400000_NS6detail17trampoline_kernelINS0_14default_configENS1_21merge_config_selectorINS0_5tupleIJyyEEENS0_10empty_typeEEEZNS1_10merge_implIS3_NS0_12zip_iteratorINS5_IJN6thrust23THRUST_200600_302600_NS6detail15normal_iteratorINSC_10device_ptrIKyEEEESI_EEEEESK_NSA_INS5_IJNSE_INSF_IyEEEESM_EEEEEPS7_SP_SP_NSC_11hip_rocprim7__merge17predicate_wrapperIyyNSC_4lessIyEEEEEE10hipError_tPvRmT0_T1_T2_T3_T4_T5_mmT6_P12ihipStream_tbEUlT_E0_NS1_11comp_targetILNS1_3genE5ELNS1_11target_archE942ELNS1_3gpuE9ELNS1_3repE0EEENS1_30default_config_static_selectorELNS0_4arch9wavefront6targetE0EEEvS10_
    .private_segment_fixed_size: 0
    .sgpr_count:     0
    .sgpr_spill_count: 0
    .symbol:         _ZN7rocprim17ROCPRIM_400000_NS6detail17trampoline_kernelINS0_14default_configENS1_21merge_config_selectorINS0_5tupleIJyyEEENS0_10empty_typeEEEZNS1_10merge_implIS3_NS0_12zip_iteratorINS5_IJN6thrust23THRUST_200600_302600_NS6detail15normal_iteratorINSC_10device_ptrIKyEEEESI_EEEEESK_NSA_INS5_IJNSE_INSF_IyEEEESM_EEEEEPS7_SP_SP_NSC_11hip_rocprim7__merge17predicate_wrapperIyyNSC_4lessIyEEEEEE10hipError_tPvRmT0_T1_T2_T3_T4_T5_mmT6_P12ihipStream_tbEUlT_E0_NS1_11comp_targetILNS1_3genE5ELNS1_11target_archE942ELNS1_3gpuE9ELNS1_3repE0EEENS1_30default_config_static_selectorELNS0_4arch9wavefront6targetE0EEEvS10_.kd
    .uniform_work_group_size: 1
    .uses_dynamic_stack: false
    .vgpr_count:     0
    .vgpr_spill_count: 0
    .wavefront_size: 32
  - .args:
      - .offset:         0
        .size:           112
        .value_kind:     by_value
    .group_segment_fixed_size: 0
    .kernarg_segment_align: 8
    .kernarg_segment_size: 112
    .language:       OpenCL C
    .language_version:
      - 2
      - 0
    .max_flat_workgroup_size: 512
    .name:           _ZN7rocprim17ROCPRIM_400000_NS6detail17trampoline_kernelINS0_14default_configENS1_21merge_config_selectorINS0_5tupleIJyyEEENS0_10empty_typeEEEZNS1_10merge_implIS3_NS0_12zip_iteratorINS5_IJN6thrust23THRUST_200600_302600_NS6detail15normal_iteratorINSC_10device_ptrIKyEEEESI_EEEEESK_NSA_INS5_IJNSE_INSF_IyEEEESM_EEEEEPS7_SP_SP_NSC_11hip_rocprim7__merge17predicate_wrapperIyyNSC_4lessIyEEEEEE10hipError_tPvRmT0_T1_T2_T3_T4_T5_mmT6_P12ihipStream_tbEUlT_E0_NS1_11comp_targetILNS1_3genE4ELNS1_11target_archE910ELNS1_3gpuE8ELNS1_3repE0EEENS1_30default_config_static_selectorELNS0_4arch9wavefront6targetE0EEEvS10_
    .private_segment_fixed_size: 0
    .sgpr_count:     0
    .sgpr_spill_count: 0
    .symbol:         _ZN7rocprim17ROCPRIM_400000_NS6detail17trampoline_kernelINS0_14default_configENS1_21merge_config_selectorINS0_5tupleIJyyEEENS0_10empty_typeEEEZNS1_10merge_implIS3_NS0_12zip_iteratorINS5_IJN6thrust23THRUST_200600_302600_NS6detail15normal_iteratorINSC_10device_ptrIKyEEEESI_EEEEESK_NSA_INS5_IJNSE_INSF_IyEEEESM_EEEEEPS7_SP_SP_NSC_11hip_rocprim7__merge17predicate_wrapperIyyNSC_4lessIyEEEEEE10hipError_tPvRmT0_T1_T2_T3_T4_T5_mmT6_P12ihipStream_tbEUlT_E0_NS1_11comp_targetILNS1_3genE4ELNS1_11target_archE910ELNS1_3gpuE8ELNS1_3repE0EEENS1_30default_config_static_selectorELNS0_4arch9wavefront6targetE0EEEvS10_.kd
    .uniform_work_group_size: 1
    .uses_dynamic_stack: false
    .vgpr_count:     0
    .vgpr_spill_count: 0
    .wavefront_size: 32
  - .args:
      - .offset:         0
        .size:           112
        .value_kind:     by_value
    .group_segment_fixed_size: 0
    .kernarg_segment_align: 8
    .kernarg_segment_size: 112
    .language:       OpenCL C
    .language_version:
      - 2
      - 0
    .max_flat_workgroup_size: 512
    .name:           _ZN7rocprim17ROCPRIM_400000_NS6detail17trampoline_kernelINS0_14default_configENS1_21merge_config_selectorINS0_5tupleIJyyEEENS0_10empty_typeEEEZNS1_10merge_implIS3_NS0_12zip_iteratorINS5_IJN6thrust23THRUST_200600_302600_NS6detail15normal_iteratorINSC_10device_ptrIKyEEEESI_EEEEESK_NSA_INS5_IJNSE_INSF_IyEEEESM_EEEEEPS7_SP_SP_NSC_11hip_rocprim7__merge17predicate_wrapperIyyNSC_4lessIyEEEEEE10hipError_tPvRmT0_T1_T2_T3_T4_T5_mmT6_P12ihipStream_tbEUlT_E0_NS1_11comp_targetILNS1_3genE3ELNS1_11target_archE908ELNS1_3gpuE7ELNS1_3repE0EEENS1_30default_config_static_selectorELNS0_4arch9wavefront6targetE0EEEvS10_
    .private_segment_fixed_size: 0
    .sgpr_count:     0
    .sgpr_spill_count: 0
    .symbol:         _ZN7rocprim17ROCPRIM_400000_NS6detail17trampoline_kernelINS0_14default_configENS1_21merge_config_selectorINS0_5tupleIJyyEEENS0_10empty_typeEEEZNS1_10merge_implIS3_NS0_12zip_iteratorINS5_IJN6thrust23THRUST_200600_302600_NS6detail15normal_iteratorINSC_10device_ptrIKyEEEESI_EEEEESK_NSA_INS5_IJNSE_INSF_IyEEEESM_EEEEEPS7_SP_SP_NSC_11hip_rocprim7__merge17predicate_wrapperIyyNSC_4lessIyEEEEEE10hipError_tPvRmT0_T1_T2_T3_T4_T5_mmT6_P12ihipStream_tbEUlT_E0_NS1_11comp_targetILNS1_3genE3ELNS1_11target_archE908ELNS1_3gpuE7ELNS1_3repE0EEENS1_30default_config_static_selectorELNS0_4arch9wavefront6targetE0EEEvS10_.kd
    .uniform_work_group_size: 1
    .uses_dynamic_stack: false
    .vgpr_count:     0
    .vgpr_spill_count: 0
    .wavefront_size: 32
  - .args:
      - .offset:         0
        .size:           112
        .value_kind:     by_value
    .group_segment_fixed_size: 0
    .kernarg_segment_align: 8
    .kernarg_segment_size: 112
    .language:       OpenCL C
    .language_version:
      - 2
      - 0
    .max_flat_workgroup_size: 512
    .name:           _ZN7rocprim17ROCPRIM_400000_NS6detail17trampoline_kernelINS0_14default_configENS1_21merge_config_selectorINS0_5tupleIJyyEEENS0_10empty_typeEEEZNS1_10merge_implIS3_NS0_12zip_iteratorINS5_IJN6thrust23THRUST_200600_302600_NS6detail15normal_iteratorINSC_10device_ptrIKyEEEESI_EEEEESK_NSA_INS5_IJNSE_INSF_IyEEEESM_EEEEEPS7_SP_SP_NSC_11hip_rocprim7__merge17predicate_wrapperIyyNSC_4lessIyEEEEEE10hipError_tPvRmT0_T1_T2_T3_T4_T5_mmT6_P12ihipStream_tbEUlT_E0_NS1_11comp_targetILNS1_3genE2ELNS1_11target_archE906ELNS1_3gpuE6ELNS1_3repE0EEENS1_30default_config_static_selectorELNS0_4arch9wavefront6targetE0EEEvS10_
    .private_segment_fixed_size: 0
    .sgpr_count:     0
    .sgpr_spill_count: 0
    .symbol:         _ZN7rocprim17ROCPRIM_400000_NS6detail17trampoline_kernelINS0_14default_configENS1_21merge_config_selectorINS0_5tupleIJyyEEENS0_10empty_typeEEEZNS1_10merge_implIS3_NS0_12zip_iteratorINS5_IJN6thrust23THRUST_200600_302600_NS6detail15normal_iteratorINSC_10device_ptrIKyEEEESI_EEEEESK_NSA_INS5_IJNSE_INSF_IyEEEESM_EEEEEPS7_SP_SP_NSC_11hip_rocprim7__merge17predicate_wrapperIyyNSC_4lessIyEEEEEE10hipError_tPvRmT0_T1_T2_T3_T4_T5_mmT6_P12ihipStream_tbEUlT_E0_NS1_11comp_targetILNS1_3genE2ELNS1_11target_archE906ELNS1_3gpuE6ELNS1_3repE0EEENS1_30default_config_static_selectorELNS0_4arch9wavefront6targetE0EEEvS10_.kd
    .uniform_work_group_size: 1
    .uses_dynamic_stack: false
    .vgpr_count:     0
    .vgpr_spill_count: 0
    .wavefront_size: 32
  - .args:
      - .offset:         0
        .size:           112
        .value_kind:     by_value
    .group_segment_fixed_size: 0
    .kernarg_segment_align: 8
    .kernarg_segment_size: 112
    .language:       OpenCL C
    .language_version:
      - 2
      - 0
    .max_flat_workgroup_size: 512
    .name:           _ZN7rocprim17ROCPRIM_400000_NS6detail17trampoline_kernelINS0_14default_configENS1_21merge_config_selectorINS0_5tupleIJyyEEENS0_10empty_typeEEEZNS1_10merge_implIS3_NS0_12zip_iteratorINS5_IJN6thrust23THRUST_200600_302600_NS6detail15normal_iteratorINSC_10device_ptrIKyEEEESI_EEEEESK_NSA_INS5_IJNSE_INSF_IyEEEESM_EEEEEPS7_SP_SP_NSC_11hip_rocprim7__merge17predicate_wrapperIyyNSC_4lessIyEEEEEE10hipError_tPvRmT0_T1_T2_T3_T4_T5_mmT6_P12ihipStream_tbEUlT_E0_NS1_11comp_targetILNS1_3genE10ELNS1_11target_archE1201ELNS1_3gpuE5ELNS1_3repE0EEENS1_30default_config_static_selectorELNS0_4arch9wavefront6targetE0EEEvS10_
    .private_segment_fixed_size: 0
    .sgpr_count:     0
    .sgpr_spill_count: 0
    .symbol:         _ZN7rocprim17ROCPRIM_400000_NS6detail17trampoline_kernelINS0_14default_configENS1_21merge_config_selectorINS0_5tupleIJyyEEENS0_10empty_typeEEEZNS1_10merge_implIS3_NS0_12zip_iteratorINS5_IJN6thrust23THRUST_200600_302600_NS6detail15normal_iteratorINSC_10device_ptrIKyEEEESI_EEEEESK_NSA_INS5_IJNSE_INSF_IyEEEESM_EEEEEPS7_SP_SP_NSC_11hip_rocprim7__merge17predicate_wrapperIyyNSC_4lessIyEEEEEE10hipError_tPvRmT0_T1_T2_T3_T4_T5_mmT6_P12ihipStream_tbEUlT_E0_NS1_11comp_targetILNS1_3genE10ELNS1_11target_archE1201ELNS1_3gpuE5ELNS1_3repE0EEENS1_30default_config_static_selectorELNS0_4arch9wavefront6targetE0EEEvS10_.kd
    .uniform_work_group_size: 1
    .uses_dynamic_stack: false
    .vgpr_count:     0
    .vgpr_spill_count: 0
    .wavefront_size: 32
  - .args:
      - .offset:         0
        .size:           112
        .value_kind:     by_value
    .group_segment_fixed_size: 0
    .kernarg_segment_align: 8
    .kernarg_segment_size: 112
    .language:       OpenCL C
    .language_version:
      - 2
      - 0
    .max_flat_workgroup_size: 256
    .name:           _ZN7rocprim17ROCPRIM_400000_NS6detail17trampoline_kernelINS0_14default_configENS1_21merge_config_selectorINS0_5tupleIJyyEEENS0_10empty_typeEEEZNS1_10merge_implIS3_NS0_12zip_iteratorINS5_IJN6thrust23THRUST_200600_302600_NS6detail15normal_iteratorINSC_10device_ptrIKyEEEESI_EEEEESK_NSA_INS5_IJNSE_INSF_IyEEEESM_EEEEEPS7_SP_SP_NSC_11hip_rocprim7__merge17predicate_wrapperIyyNSC_4lessIyEEEEEE10hipError_tPvRmT0_T1_T2_T3_T4_T5_mmT6_P12ihipStream_tbEUlT_E0_NS1_11comp_targetILNS1_3genE10ELNS1_11target_archE1200ELNS1_3gpuE4ELNS1_3repE0EEENS1_30default_config_static_selectorELNS0_4arch9wavefront6targetE0EEEvS10_
    .private_segment_fixed_size: 0
    .sgpr_count:     0
    .sgpr_spill_count: 0
    .symbol:         _ZN7rocprim17ROCPRIM_400000_NS6detail17trampoline_kernelINS0_14default_configENS1_21merge_config_selectorINS0_5tupleIJyyEEENS0_10empty_typeEEEZNS1_10merge_implIS3_NS0_12zip_iteratorINS5_IJN6thrust23THRUST_200600_302600_NS6detail15normal_iteratorINSC_10device_ptrIKyEEEESI_EEEEESK_NSA_INS5_IJNSE_INSF_IyEEEESM_EEEEEPS7_SP_SP_NSC_11hip_rocprim7__merge17predicate_wrapperIyyNSC_4lessIyEEEEEE10hipError_tPvRmT0_T1_T2_T3_T4_T5_mmT6_P12ihipStream_tbEUlT_E0_NS1_11comp_targetILNS1_3genE10ELNS1_11target_archE1200ELNS1_3gpuE4ELNS1_3repE0EEENS1_30default_config_static_selectorELNS0_4arch9wavefront6targetE0EEEvS10_.kd
    .uniform_work_group_size: 1
    .uses_dynamic_stack: false
    .vgpr_count:     0
    .vgpr_spill_count: 0
    .wavefront_size: 32
  - .args:
      - .offset:         0
        .size:           112
        .value_kind:     by_value
    .group_segment_fixed_size: 0
    .kernarg_segment_align: 8
    .kernarg_segment_size: 112
    .language:       OpenCL C
    .language_version:
      - 2
      - 0
    .max_flat_workgroup_size: 1024
    .name:           _ZN7rocprim17ROCPRIM_400000_NS6detail17trampoline_kernelINS0_14default_configENS1_21merge_config_selectorINS0_5tupleIJyyEEENS0_10empty_typeEEEZNS1_10merge_implIS3_NS0_12zip_iteratorINS5_IJN6thrust23THRUST_200600_302600_NS6detail15normal_iteratorINSC_10device_ptrIKyEEEESI_EEEEESK_NSA_INS5_IJNSE_INSF_IyEEEESM_EEEEEPS7_SP_SP_NSC_11hip_rocprim7__merge17predicate_wrapperIyyNSC_4lessIyEEEEEE10hipError_tPvRmT0_T1_T2_T3_T4_T5_mmT6_P12ihipStream_tbEUlT_E0_NS1_11comp_targetILNS1_3genE9ELNS1_11target_archE1100ELNS1_3gpuE3ELNS1_3repE0EEENS1_30default_config_static_selectorELNS0_4arch9wavefront6targetE0EEEvS10_
    .private_segment_fixed_size: 0
    .sgpr_count:     0
    .sgpr_spill_count: 0
    .symbol:         _ZN7rocprim17ROCPRIM_400000_NS6detail17trampoline_kernelINS0_14default_configENS1_21merge_config_selectorINS0_5tupleIJyyEEENS0_10empty_typeEEEZNS1_10merge_implIS3_NS0_12zip_iteratorINS5_IJN6thrust23THRUST_200600_302600_NS6detail15normal_iteratorINSC_10device_ptrIKyEEEESI_EEEEESK_NSA_INS5_IJNSE_INSF_IyEEEESM_EEEEEPS7_SP_SP_NSC_11hip_rocprim7__merge17predicate_wrapperIyyNSC_4lessIyEEEEEE10hipError_tPvRmT0_T1_T2_T3_T4_T5_mmT6_P12ihipStream_tbEUlT_E0_NS1_11comp_targetILNS1_3genE9ELNS1_11target_archE1100ELNS1_3gpuE3ELNS1_3repE0EEENS1_30default_config_static_selectorELNS0_4arch9wavefront6targetE0EEEvS10_.kd
    .uniform_work_group_size: 1
    .uses_dynamic_stack: false
    .vgpr_count:     0
    .vgpr_spill_count: 0
    .wavefront_size: 32
  - .args:
      - .offset:         0
        .size:           112
        .value_kind:     by_value
    .group_segment_fixed_size: 0
    .kernarg_segment_align: 8
    .kernarg_segment_size: 112
    .language:       OpenCL C
    .language_version:
      - 2
      - 0
    .max_flat_workgroup_size: 256
    .name:           _ZN7rocprim17ROCPRIM_400000_NS6detail17trampoline_kernelINS0_14default_configENS1_21merge_config_selectorINS0_5tupleIJyyEEENS0_10empty_typeEEEZNS1_10merge_implIS3_NS0_12zip_iteratorINS5_IJN6thrust23THRUST_200600_302600_NS6detail15normal_iteratorINSC_10device_ptrIKyEEEESI_EEEEESK_NSA_INS5_IJNSE_INSF_IyEEEESM_EEEEEPS7_SP_SP_NSC_11hip_rocprim7__merge17predicate_wrapperIyyNSC_4lessIyEEEEEE10hipError_tPvRmT0_T1_T2_T3_T4_T5_mmT6_P12ihipStream_tbEUlT_E0_NS1_11comp_targetILNS1_3genE8ELNS1_11target_archE1030ELNS1_3gpuE2ELNS1_3repE0EEENS1_30default_config_static_selectorELNS0_4arch9wavefront6targetE0EEEvS10_
    .private_segment_fixed_size: 0
    .sgpr_count:     0
    .sgpr_spill_count: 0
    .symbol:         _ZN7rocprim17ROCPRIM_400000_NS6detail17trampoline_kernelINS0_14default_configENS1_21merge_config_selectorINS0_5tupleIJyyEEENS0_10empty_typeEEEZNS1_10merge_implIS3_NS0_12zip_iteratorINS5_IJN6thrust23THRUST_200600_302600_NS6detail15normal_iteratorINSC_10device_ptrIKyEEEESI_EEEEESK_NSA_INS5_IJNSE_INSF_IyEEEESM_EEEEEPS7_SP_SP_NSC_11hip_rocprim7__merge17predicate_wrapperIyyNSC_4lessIyEEEEEE10hipError_tPvRmT0_T1_T2_T3_T4_T5_mmT6_P12ihipStream_tbEUlT_E0_NS1_11comp_targetILNS1_3genE8ELNS1_11target_archE1030ELNS1_3gpuE2ELNS1_3repE0EEENS1_30default_config_static_selectorELNS0_4arch9wavefront6targetE0EEEvS10_.kd
    .uniform_work_group_size: 1
    .uses_dynamic_stack: false
    .vgpr_count:     0
    .vgpr_spill_count: 0
    .wavefront_size: 32
  - .args:
      - .offset:         0
        .size:           104
        .value_kind:     by_value
    .group_segment_fixed_size: 128
    .kernarg_segment_align: 8
    .kernarg_segment_size: 104
    .language:       OpenCL C
    .language_version:
      - 2
      - 0
    .max_flat_workgroup_size: 128
    .name:           _ZN7rocprim17ROCPRIM_400000_NS6detail17trampoline_kernelINS0_14default_configENS1_22reduce_config_selectorIN6thrust23THRUST_200600_302600_NS5tupleIblNS6_9null_typeES8_S8_S8_S8_S8_S8_S8_EEEEZNS1_11reduce_implILb1ES3_NS6_12zip_iteratorINS7_INS6_11hip_rocprim26transform_input_iterator_tIbNSD_35transform_pair_of_input_iterators_tIbNS6_6detail15normal_iteratorINS6_10device_ptrIKyEEEESL_NS6_8equal_toIyEEEENSG_9not_fun_tINSD_8identityEEEEENSD_19counting_iterator_tIlEES8_S8_S8_S8_S8_S8_S8_S8_EEEEPS9_S9_NSD_9__find_if7functorIS9_EEEE10hipError_tPvRmT1_T2_T3_mT4_P12ihipStream_tbEUlT_E0_NS1_11comp_targetILNS1_3genE0ELNS1_11target_archE4294967295ELNS1_3gpuE0ELNS1_3repE0EEENS1_30default_config_static_selectorELNS0_4arch9wavefront6targetE0EEEvS14_
    .private_segment_fixed_size: 0
    .sgpr_count:     30
    .sgpr_spill_count: 0
    .symbol:         _ZN7rocprim17ROCPRIM_400000_NS6detail17trampoline_kernelINS0_14default_configENS1_22reduce_config_selectorIN6thrust23THRUST_200600_302600_NS5tupleIblNS6_9null_typeES8_S8_S8_S8_S8_S8_S8_EEEEZNS1_11reduce_implILb1ES3_NS6_12zip_iteratorINS7_INS6_11hip_rocprim26transform_input_iterator_tIbNSD_35transform_pair_of_input_iterators_tIbNS6_6detail15normal_iteratorINS6_10device_ptrIKyEEEESL_NS6_8equal_toIyEEEENSG_9not_fun_tINSD_8identityEEEEENSD_19counting_iterator_tIlEES8_S8_S8_S8_S8_S8_S8_S8_EEEEPS9_S9_NSD_9__find_if7functorIS9_EEEE10hipError_tPvRmT1_T2_T3_mT4_P12ihipStream_tbEUlT_E0_NS1_11comp_targetILNS1_3genE0ELNS1_11target_archE4294967295ELNS1_3gpuE0ELNS1_3repE0EEENS1_30default_config_static_selectorELNS0_4arch9wavefront6targetE0EEEvS14_.kd
    .uniform_work_group_size: 1
    .uses_dynamic_stack: false
    .vgpr_count:     16
    .vgpr_spill_count: 0
    .wavefront_size: 32
  - .args:
      - .offset:         0
        .size:           104
        .value_kind:     by_value
    .group_segment_fixed_size: 0
    .kernarg_segment_align: 8
    .kernarg_segment_size: 104
    .language:       OpenCL C
    .language_version:
      - 2
      - 0
    .max_flat_workgroup_size: 256
    .name:           _ZN7rocprim17ROCPRIM_400000_NS6detail17trampoline_kernelINS0_14default_configENS1_22reduce_config_selectorIN6thrust23THRUST_200600_302600_NS5tupleIblNS6_9null_typeES8_S8_S8_S8_S8_S8_S8_EEEEZNS1_11reduce_implILb1ES3_NS6_12zip_iteratorINS7_INS6_11hip_rocprim26transform_input_iterator_tIbNSD_35transform_pair_of_input_iterators_tIbNS6_6detail15normal_iteratorINS6_10device_ptrIKyEEEESL_NS6_8equal_toIyEEEENSG_9not_fun_tINSD_8identityEEEEENSD_19counting_iterator_tIlEES8_S8_S8_S8_S8_S8_S8_S8_EEEEPS9_S9_NSD_9__find_if7functorIS9_EEEE10hipError_tPvRmT1_T2_T3_mT4_P12ihipStream_tbEUlT_E0_NS1_11comp_targetILNS1_3genE5ELNS1_11target_archE942ELNS1_3gpuE9ELNS1_3repE0EEENS1_30default_config_static_selectorELNS0_4arch9wavefront6targetE0EEEvS14_
    .private_segment_fixed_size: 0
    .sgpr_count:     0
    .sgpr_spill_count: 0
    .symbol:         _ZN7rocprim17ROCPRIM_400000_NS6detail17trampoline_kernelINS0_14default_configENS1_22reduce_config_selectorIN6thrust23THRUST_200600_302600_NS5tupleIblNS6_9null_typeES8_S8_S8_S8_S8_S8_S8_EEEEZNS1_11reduce_implILb1ES3_NS6_12zip_iteratorINS7_INS6_11hip_rocprim26transform_input_iterator_tIbNSD_35transform_pair_of_input_iterators_tIbNS6_6detail15normal_iteratorINS6_10device_ptrIKyEEEESL_NS6_8equal_toIyEEEENSG_9not_fun_tINSD_8identityEEEEENSD_19counting_iterator_tIlEES8_S8_S8_S8_S8_S8_S8_S8_EEEEPS9_S9_NSD_9__find_if7functorIS9_EEEE10hipError_tPvRmT1_T2_T3_mT4_P12ihipStream_tbEUlT_E0_NS1_11comp_targetILNS1_3genE5ELNS1_11target_archE942ELNS1_3gpuE9ELNS1_3repE0EEENS1_30default_config_static_selectorELNS0_4arch9wavefront6targetE0EEEvS14_.kd
    .uniform_work_group_size: 1
    .uses_dynamic_stack: false
    .vgpr_count:     0
    .vgpr_spill_count: 0
    .wavefront_size: 32
  - .args:
      - .offset:         0
        .size:           104
        .value_kind:     by_value
    .group_segment_fixed_size: 0
    .kernarg_segment_align: 8
    .kernarg_segment_size: 104
    .language:       OpenCL C
    .language_version:
      - 2
      - 0
    .max_flat_workgroup_size: 256
    .name:           _ZN7rocprim17ROCPRIM_400000_NS6detail17trampoline_kernelINS0_14default_configENS1_22reduce_config_selectorIN6thrust23THRUST_200600_302600_NS5tupleIblNS6_9null_typeES8_S8_S8_S8_S8_S8_S8_EEEEZNS1_11reduce_implILb1ES3_NS6_12zip_iteratorINS7_INS6_11hip_rocprim26transform_input_iterator_tIbNSD_35transform_pair_of_input_iterators_tIbNS6_6detail15normal_iteratorINS6_10device_ptrIKyEEEESL_NS6_8equal_toIyEEEENSG_9not_fun_tINSD_8identityEEEEENSD_19counting_iterator_tIlEES8_S8_S8_S8_S8_S8_S8_S8_EEEEPS9_S9_NSD_9__find_if7functorIS9_EEEE10hipError_tPvRmT1_T2_T3_mT4_P12ihipStream_tbEUlT_E0_NS1_11comp_targetILNS1_3genE4ELNS1_11target_archE910ELNS1_3gpuE8ELNS1_3repE0EEENS1_30default_config_static_selectorELNS0_4arch9wavefront6targetE0EEEvS14_
    .private_segment_fixed_size: 0
    .sgpr_count:     0
    .sgpr_spill_count: 0
    .symbol:         _ZN7rocprim17ROCPRIM_400000_NS6detail17trampoline_kernelINS0_14default_configENS1_22reduce_config_selectorIN6thrust23THRUST_200600_302600_NS5tupleIblNS6_9null_typeES8_S8_S8_S8_S8_S8_S8_EEEEZNS1_11reduce_implILb1ES3_NS6_12zip_iteratorINS7_INS6_11hip_rocprim26transform_input_iterator_tIbNSD_35transform_pair_of_input_iterators_tIbNS6_6detail15normal_iteratorINS6_10device_ptrIKyEEEESL_NS6_8equal_toIyEEEENSG_9not_fun_tINSD_8identityEEEEENSD_19counting_iterator_tIlEES8_S8_S8_S8_S8_S8_S8_S8_EEEEPS9_S9_NSD_9__find_if7functorIS9_EEEE10hipError_tPvRmT1_T2_T3_mT4_P12ihipStream_tbEUlT_E0_NS1_11comp_targetILNS1_3genE4ELNS1_11target_archE910ELNS1_3gpuE8ELNS1_3repE0EEENS1_30default_config_static_selectorELNS0_4arch9wavefront6targetE0EEEvS14_.kd
    .uniform_work_group_size: 1
    .uses_dynamic_stack: false
    .vgpr_count:     0
    .vgpr_spill_count: 0
    .wavefront_size: 32
  - .args:
      - .offset:         0
        .size:           104
        .value_kind:     by_value
    .group_segment_fixed_size: 0
    .kernarg_segment_align: 8
    .kernarg_segment_size: 104
    .language:       OpenCL C
    .language_version:
      - 2
      - 0
    .max_flat_workgroup_size: 128
    .name:           _ZN7rocprim17ROCPRIM_400000_NS6detail17trampoline_kernelINS0_14default_configENS1_22reduce_config_selectorIN6thrust23THRUST_200600_302600_NS5tupleIblNS6_9null_typeES8_S8_S8_S8_S8_S8_S8_EEEEZNS1_11reduce_implILb1ES3_NS6_12zip_iteratorINS7_INS6_11hip_rocprim26transform_input_iterator_tIbNSD_35transform_pair_of_input_iterators_tIbNS6_6detail15normal_iteratorINS6_10device_ptrIKyEEEESL_NS6_8equal_toIyEEEENSG_9not_fun_tINSD_8identityEEEEENSD_19counting_iterator_tIlEES8_S8_S8_S8_S8_S8_S8_S8_EEEEPS9_S9_NSD_9__find_if7functorIS9_EEEE10hipError_tPvRmT1_T2_T3_mT4_P12ihipStream_tbEUlT_E0_NS1_11comp_targetILNS1_3genE3ELNS1_11target_archE908ELNS1_3gpuE7ELNS1_3repE0EEENS1_30default_config_static_selectorELNS0_4arch9wavefront6targetE0EEEvS14_
    .private_segment_fixed_size: 0
    .sgpr_count:     0
    .sgpr_spill_count: 0
    .symbol:         _ZN7rocprim17ROCPRIM_400000_NS6detail17trampoline_kernelINS0_14default_configENS1_22reduce_config_selectorIN6thrust23THRUST_200600_302600_NS5tupleIblNS6_9null_typeES8_S8_S8_S8_S8_S8_S8_EEEEZNS1_11reduce_implILb1ES3_NS6_12zip_iteratorINS7_INS6_11hip_rocprim26transform_input_iterator_tIbNSD_35transform_pair_of_input_iterators_tIbNS6_6detail15normal_iteratorINS6_10device_ptrIKyEEEESL_NS6_8equal_toIyEEEENSG_9not_fun_tINSD_8identityEEEEENSD_19counting_iterator_tIlEES8_S8_S8_S8_S8_S8_S8_S8_EEEEPS9_S9_NSD_9__find_if7functorIS9_EEEE10hipError_tPvRmT1_T2_T3_mT4_P12ihipStream_tbEUlT_E0_NS1_11comp_targetILNS1_3genE3ELNS1_11target_archE908ELNS1_3gpuE7ELNS1_3repE0EEENS1_30default_config_static_selectorELNS0_4arch9wavefront6targetE0EEEvS14_.kd
    .uniform_work_group_size: 1
    .uses_dynamic_stack: false
    .vgpr_count:     0
    .vgpr_spill_count: 0
    .wavefront_size: 32
  - .args:
      - .offset:         0
        .size:           104
        .value_kind:     by_value
    .group_segment_fixed_size: 0
    .kernarg_segment_align: 8
    .kernarg_segment_size: 104
    .language:       OpenCL C
    .language_version:
      - 2
      - 0
    .max_flat_workgroup_size: 128
    .name:           _ZN7rocprim17ROCPRIM_400000_NS6detail17trampoline_kernelINS0_14default_configENS1_22reduce_config_selectorIN6thrust23THRUST_200600_302600_NS5tupleIblNS6_9null_typeES8_S8_S8_S8_S8_S8_S8_EEEEZNS1_11reduce_implILb1ES3_NS6_12zip_iteratorINS7_INS6_11hip_rocprim26transform_input_iterator_tIbNSD_35transform_pair_of_input_iterators_tIbNS6_6detail15normal_iteratorINS6_10device_ptrIKyEEEESL_NS6_8equal_toIyEEEENSG_9not_fun_tINSD_8identityEEEEENSD_19counting_iterator_tIlEES8_S8_S8_S8_S8_S8_S8_S8_EEEEPS9_S9_NSD_9__find_if7functorIS9_EEEE10hipError_tPvRmT1_T2_T3_mT4_P12ihipStream_tbEUlT_E0_NS1_11comp_targetILNS1_3genE2ELNS1_11target_archE906ELNS1_3gpuE6ELNS1_3repE0EEENS1_30default_config_static_selectorELNS0_4arch9wavefront6targetE0EEEvS14_
    .private_segment_fixed_size: 0
    .sgpr_count:     0
    .sgpr_spill_count: 0
    .symbol:         _ZN7rocprim17ROCPRIM_400000_NS6detail17trampoline_kernelINS0_14default_configENS1_22reduce_config_selectorIN6thrust23THRUST_200600_302600_NS5tupleIblNS6_9null_typeES8_S8_S8_S8_S8_S8_S8_EEEEZNS1_11reduce_implILb1ES3_NS6_12zip_iteratorINS7_INS6_11hip_rocprim26transform_input_iterator_tIbNSD_35transform_pair_of_input_iterators_tIbNS6_6detail15normal_iteratorINS6_10device_ptrIKyEEEESL_NS6_8equal_toIyEEEENSG_9not_fun_tINSD_8identityEEEEENSD_19counting_iterator_tIlEES8_S8_S8_S8_S8_S8_S8_S8_EEEEPS9_S9_NSD_9__find_if7functorIS9_EEEE10hipError_tPvRmT1_T2_T3_mT4_P12ihipStream_tbEUlT_E0_NS1_11comp_targetILNS1_3genE2ELNS1_11target_archE906ELNS1_3gpuE6ELNS1_3repE0EEENS1_30default_config_static_selectorELNS0_4arch9wavefront6targetE0EEEvS14_.kd
    .uniform_work_group_size: 1
    .uses_dynamic_stack: false
    .vgpr_count:     0
    .vgpr_spill_count: 0
    .wavefront_size: 32
  - .args:
      - .offset:         0
        .size:           104
        .value_kind:     by_value
    .group_segment_fixed_size: 0
    .kernarg_segment_align: 8
    .kernarg_segment_size: 104
    .language:       OpenCL C
    .language_version:
      - 2
      - 0
    .max_flat_workgroup_size: 256
    .name:           _ZN7rocprim17ROCPRIM_400000_NS6detail17trampoline_kernelINS0_14default_configENS1_22reduce_config_selectorIN6thrust23THRUST_200600_302600_NS5tupleIblNS6_9null_typeES8_S8_S8_S8_S8_S8_S8_EEEEZNS1_11reduce_implILb1ES3_NS6_12zip_iteratorINS7_INS6_11hip_rocprim26transform_input_iterator_tIbNSD_35transform_pair_of_input_iterators_tIbNS6_6detail15normal_iteratorINS6_10device_ptrIKyEEEESL_NS6_8equal_toIyEEEENSG_9not_fun_tINSD_8identityEEEEENSD_19counting_iterator_tIlEES8_S8_S8_S8_S8_S8_S8_S8_EEEEPS9_S9_NSD_9__find_if7functorIS9_EEEE10hipError_tPvRmT1_T2_T3_mT4_P12ihipStream_tbEUlT_E0_NS1_11comp_targetILNS1_3genE10ELNS1_11target_archE1201ELNS1_3gpuE5ELNS1_3repE0EEENS1_30default_config_static_selectorELNS0_4arch9wavefront6targetE0EEEvS14_
    .private_segment_fixed_size: 0
    .sgpr_count:     0
    .sgpr_spill_count: 0
    .symbol:         _ZN7rocprim17ROCPRIM_400000_NS6detail17trampoline_kernelINS0_14default_configENS1_22reduce_config_selectorIN6thrust23THRUST_200600_302600_NS5tupleIblNS6_9null_typeES8_S8_S8_S8_S8_S8_S8_EEEEZNS1_11reduce_implILb1ES3_NS6_12zip_iteratorINS7_INS6_11hip_rocprim26transform_input_iterator_tIbNSD_35transform_pair_of_input_iterators_tIbNS6_6detail15normal_iteratorINS6_10device_ptrIKyEEEESL_NS6_8equal_toIyEEEENSG_9not_fun_tINSD_8identityEEEEENSD_19counting_iterator_tIlEES8_S8_S8_S8_S8_S8_S8_S8_EEEEPS9_S9_NSD_9__find_if7functorIS9_EEEE10hipError_tPvRmT1_T2_T3_mT4_P12ihipStream_tbEUlT_E0_NS1_11comp_targetILNS1_3genE10ELNS1_11target_archE1201ELNS1_3gpuE5ELNS1_3repE0EEENS1_30default_config_static_selectorELNS0_4arch9wavefront6targetE0EEEvS14_.kd
    .uniform_work_group_size: 1
    .uses_dynamic_stack: false
    .vgpr_count:     0
    .vgpr_spill_count: 0
    .wavefront_size: 32
  - .args:
      - .offset:         0
        .size:           104
        .value_kind:     by_value
    .group_segment_fixed_size: 0
    .kernarg_segment_align: 8
    .kernarg_segment_size: 104
    .language:       OpenCL C
    .language_version:
      - 2
      - 0
    .max_flat_workgroup_size: 256
    .name:           _ZN7rocprim17ROCPRIM_400000_NS6detail17trampoline_kernelINS0_14default_configENS1_22reduce_config_selectorIN6thrust23THRUST_200600_302600_NS5tupleIblNS6_9null_typeES8_S8_S8_S8_S8_S8_S8_EEEEZNS1_11reduce_implILb1ES3_NS6_12zip_iteratorINS7_INS6_11hip_rocprim26transform_input_iterator_tIbNSD_35transform_pair_of_input_iterators_tIbNS6_6detail15normal_iteratorINS6_10device_ptrIKyEEEESL_NS6_8equal_toIyEEEENSG_9not_fun_tINSD_8identityEEEEENSD_19counting_iterator_tIlEES8_S8_S8_S8_S8_S8_S8_S8_EEEEPS9_S9_NSD_9__find_if7functorIS9_EEEE10hipError_tPvRmT1_T2_T3_mT4_P12ihipStream_tbEUlT_E0_NS1_11comp_targetILNS1_3genE10ELNS1_11target_archE1200ELNS1_3gpuE4ELNS1_3repE0EEENS1_30default_config_static_selectorELNS0_4arch9wavefront6targetE0EEEvS14_
    .private_segment_fixed_size: 0
    .sgpr_count:     0
    .sgpr_spill_count: 0
    .symbol:         _ZN7rocprim17ROCPRIM_400000_NS6detail17trampoline_kernelINS0_14default_configENS1_22reduce_config_selectorIN6thrust23THRUST_200600_302600_NS5tupleIblNS6_9null_typeES8_S8_S8_S8_S8_S8_S8_EEEEZNS1_11reduce_implILb1ES3_NS6_12zip_iteratorINS7_INS6_11hip_rocprim26transform_input_iterator_tIbNSD_35transform_pair_of_input_iterators_tIbNS6_6detail15normal_iteratorINS6_10device_ptrIKyEEEESL_NS6_8equal_toIyEEEENSG_9not_fun_tINSD_8identityEEEEENSD_19counting_iterator_tIlEES8_S8_S8_S8_S8_S8_S8_S8_EEEEPS9_S9_NSD_9__find_if7functorIS9_EEEE10hipError_tPvRmT1_T2_T3_mT4_P12ihipStream_tbEUlT_E0_NS1_11comp_targetILNS1_3genE10ELNS1_11target_archE1200ELNS1_3gpuE4ELNS1_3repE0EEENS1_30default_config_static_selectorELNS0_4arch9wavefront6targetE0EEEvS14_.kd
    .uniform_work_group_size: 1
    .uses_dynamic_stack: false
    .vgpr_count:     0
    .vgpr_spill_count: 0
    .wavefront_size: 32
  - .args:
      - .offset:         0
        .size:           104
        .value_kind:     by_value
    .group_segment_fixed_size: 0
    .kernarg_segment_align: 8
    .kernarg_segment_size: 104
    .language:       OpenCL C
    .language_version:
      - 2
      - 0
    .max_flat_workgroup_size: 256
    .name:           _ZN7rocprim17ROCPRIM_400000_NS6detail17trampoline_kernelINS0_14default_configENS1_22reduce_config_selectorIN6thrust23THRUST_200600_302600_NS5tupleIblNS6_9null_typeES8_S8_S8_S8_S8_S8_S8_EEEEZNS1_11reduce_implILb1ES3_NS6_12zip_iteratorINS7_INS6_11hip_rocprim26transform_input_iterator_tIbNSD_35transform_pair_of_input_iterators_tIbNS6_6detail15normal_iteratorINS6_10device_ptrIKyEEEESL_NS6_8equal_toIyEEEENSG_9not_fun_tINSD_8identityEEEEENSD_19counting_iterator_tIlEES8_S8_S8_S8_S8_S8_S8_S8_EEEEPS9_S9_NSD_9__find_if7functorIS9_EEEE10hipError_tPvRmT1_T2_T3_mT4_P12ihipStream_tbEUlT_E0_NS1_11comp_targetILNS1_3genE9ELNS1_11target_archE1100ELNS1_3gpuE3ELNS1_3repE0EEENS1_30default_config_static_selectorELNS0_4arch9wavefront6targetE0EEEvS14_
    .private_segment_fixed_size: 0
    .sgpr_count:     0
    .sgpr_spill_count: 0
    .symbol:         _ZN7rocprim17ROCPRIM_400000_NS6detail17trampoline_kernelINS0_14default_configENS1_22reduce_config_selectorIN6thrust23THRUST_200600_302600_NS5tupleIblNS6_9null_typeES8_S8_S8_S8_S8_S8_S8_EEEEZNS1_11reduce_implILb1ES3_NS6_12zip_iteratorINS7_INS6_11hip_rocprim26transform_input_iterator_tIbNSD_35transform_pair_of_input_iterators_tIbNS6_6detail15normal_iteratorINS6_10device_ptrIKyEEEESL_NS6_8equal_toIyEEEENSG_9not_fun_tINSD_8identityEEEEENSD_19counting_iterator_tIlEES8_S8_S8_S8_S8_S8_S8_S8_EEEEPS9_S9_NSD_9__find_if7functorIS9_EEEE10hipError_tPvRmT1_T2_T3_mT4_P12ihipStream_tbEUlT_E0_NS1_11comp_targetILNS1_3genE9ELNS1_11target_archE1100ELNS1_3gpuE3ELNS1_3repE0EEENS1_30default_config_static_selectorELNS0_4arch9wavefront6targetE0EEEvS14_.kd
    .uniform_work_group_size: 1
    .uses_dynamic_stack: false
    .vgpr_count:     0
    .vgpr_spill_count: 0
    .wavefront_size: 32
  - .args:
      - .offset:         0
        .size:           104
        .value_kind:     by_value
    .group_segment_fixed_size: 0
    .kernarg_segment_align: 8
    .kernarg_segment_size: 104
    .language:       OpenCL C
    .language_version:
      - 2
      - 0
    .max_flat_workgroup_size: 256
    .name:           _ZN7rocprim17ROCPRIM_400000_NS6detail17trampoline_kernelINS0_14default_configENS1_22reduce_config_selectorIN6thrust23THRUST_200600_302600_NS5tupleIblNS6_9null_typeES8_S8_S8_S8_S8_S8_S8_EEEEZNS1_11reduce_implILb1ES3_NS6_12zip_iteratorINS7_INS6_11hip_rocprim26transform_input_iterator_tIbNSD_35transform_pair_of_input_iterators_tIbNS6_6detail15normal_iteratorINS6_10device_ptrIKyEEEESL_NS6_8equal_toIyEEEENSG_9not_fun_tINSD_8identityEEEEENSD_19counting_iterator_tIlEES8_S8_S8_S8_S8_S8_S8_S8_EEEEPS9_S9_NSD_9__find_if7functorIS9_EEEE10hipError_tPvRmT1_T2_T3_mT4_P12ihipStream_tbEUlT_E0_NS1_11comp_targetILNS1_3genE8ELNS1_11target_archE1030ELNS1_3gpuE2ELNS1_3repE0EEENS1_30default_config_static_selectorELNS0_4arch9wavefront6targetE0EEEvS14_
    .private_segment_fixed_size: 0
    .sgpr_count:     0
    .sgpr_spill_count: 0
    .symbol:         _ZN7rocprim17ROCPRIM_400000_NS6detail17trampoline_kernelINS0_14default_configENS1_22reduce_config_selectorIN6thrust23THRUST_200600_302600_NS5tupleIblNS6_9null_typeES8_S8_S8_S8_S8_S8_S8_EEEEZNS1_11reduce_implILb1ES3_NS6_12zip_iteratorINS7_INS6_11hip_rocprim26transform_input_iterator_tIbNSD_35transform_pair_of_input_iterators_tIbNS6_6detail15normal_iteratorINS6_10device_ptrIKyEEEESL_NS6_8equal_toIyEEEENSG_9not_fun_tINSD_8identityEEEEENSD_19counting_iterator_tIlEES8_S8_S8_S8_S8_S8_S8_S8_EEEEPS9_S9_NSD_9__find_if7functorIS9_EEEE10hipError_tPvRmT1_T2_T3_mT4_P12ihipStream_tbEUlT_E0_NS1_11comp_targetILNS1_3genE8ELNS1_11target_archE1030ELNS1_3gpuE2ELNS1_3repE0EEENS1_30default_config_static_selectorELNS0_4arch9wavefront6targetE0EEEvS14_.kd
    .uniform_work_group_size: 1
    .uses_dynamic_stack: false
    .vgpr_count:     0
    .vgpr_spill_count: 0
    .wavefront_size: 32
  - .args:
      - .offset:         0
        .size:           88
        .value_kind:     by_value
    .group_segment_fixed_size: 320
    .kernarg_segment_align: 8
    .kernarg_segment_size: 88
    .language:       OpenCL C
    .language_version:
      - 2
      - 0
    .max_flat_workgroup_size: 128
    .name:           _ZN7rocprim17ROCPRIM_400000_NS6detail17trampoline_kernelINS0_14default_configENS1_22reduce_config_selectorIN6thrust23THRUST_200600_302600_NS5tupleIblNS6_9null_typeES8_S8_S8_S8_S8_S8_S8_EEEEZNS1_11reduce_implILb1ES3_NS6_12zip_iteratorINS7_INS6_11hip_rocprim26transform_input_iterator_tIbNSD_35transform_pair_of_input_iterators_tIbNS6_6detail15normal_iteratorINS6_10device_ptrIKyEEEESL_NS6_8equal_toIyEEEENSG_9not_fun_tINSD_8identityEEEEENSD_19counting_iterator_tIlEES8_S8_S8_S8_S8_S8_S8_S8_EEEEPS9_S9_NSD_9__find_if7functorIS9_EEEE10hipError_tPvRmT1_T2_T3_mT4_P12ihipStream_tbEUlT_E1_NS1_11comp_targetILNS1_3genE0ELNS1_11target_archE4294967295ELNS1_3gpuE0ELNS1_3repE0EEENS1_30default_config_static_selectorELNS0_4arch9wavefront6targetE0EEEvS14_
    .private_segment_fixed_size: 0
    .sgpr_count:     30
    .sgpr_spill_count: 0
    .symbol:         _ZN7rocprim17ROCPRIM_400000_NS6detail17trampoline_kernelINS0_14default_configENS1_22reduce_config_selectorIN6thrust23THRUST_200600_302600_NS5tupleIblNS6_9null_typeES8_S8_S8_S8_S8_S8_S8_EEEEZNS1_11reduce_implILb1ES3_NS6_12zip_iteratorINS7_INS6_11hip_rocprim26transform_input_iterator_tIbNSD_35transform_pair_of_input_iterators_tIbNS6_6detail15normal_iteratorINS6_10device_ptrIKyEEEESL_NS6_8equal_toIyEEEENSG_9not_fun_tINSD_8identityEEEEENSD_19counting_iterator_tIlEES8_S8_S8_S8_S8_S8_S8_S8_EEEEPS9_S9_NSD_9__find_if7functorIS9_EEEE10hipError_tPvRmT1_T2_T3_mT4_P12ihipStream_tbEUlT_E1_NS1_11comp_targetILNS1_3genE0ELNS1_11target_archE4294967295ELNS1_3gpuE0ELNS1_3repE0EEENS1_30default_config_static_selectorELNS0_4arch9wavefront6targetE0EEEvS14_.kd
    .uniform_work_group_size: 1
    .uses_dynamic_stack: false
    .vgpr_count:     36
    .vgpr_spill_count: 0
    .wavefront_size: 32
  - .args:
      - .offset:         0
        .size:           88
        .value_kind:     by_value
    .group_segment_fixed_size: 0
    .kernarg_segment_align: 8
    .kernarg_segment_size: 88
    .language:       OpenCL C
    .language_version:
      - 2
      - 0
    .max_flat_workgroup_size: 256
    .name:           _ZN7rocprim17ROCPRIM_400000_NS6detail17trampoline_kernelINS0_14default_configENS1_22reduce_config_selectorIN6thrust23THRUST_200600_302600_NS5tupleIblNS6_9null_typeES8_S8_S8_S8_S8_S8_S8_EEEEZNS1_11reduce_implILb1ES3_NS6_12zip_iteratorINS7_INS6_11hip_rocprim26transform_input_iterator_tIbNSD_35transform_pair_of_input_iterators_tIbNS6_6detail15normal_iteratorINS6_10device_ptrIKyEEEESL_NS6_8equal_toIyEEEENSG_9not_fun_tINSD_8identityEEEEENSD_19counting_iterator_tIlEES8_S8_S8_S8_S8_S8_S8_S8_EEEEPS9_S9_NSD_9__find_if7functorIS9_EEEE10hipError_tPvRmT1_T2_T3_mT4_P12ihipStream_tbEUlT_E1_NS1_11comp_targetILNS1_3genE5ELNS1_11target_archE942ELNS1_3gpuE9ELNS1_3repE0EEENS1_30default_config_static_selectorELNS0_4arch9wavefront6targetE0EEEvS14_
    .private_segment_fixed_size: 0
    .sgpr_count:     0
    .sgpr_spill_count: 0
    .symbol:         _ZN7rocprim17ROCPRIM_400000_NS6detail17trampoline_kernelINS0_14default_configENS1_22reduce_config_selectorIN6thrust23THRUST_200600_302600_NS5tupleIblNS6_9null_typeES8_S8_S8_S8_S8_S8_S8_EEEEZNS1_11reduce_implILb1ES3_NS6_12zip_iteratorINS7_INS6_11hip_rocprim26transform_input_iterator_tIbNSD_35transform_pair_of_input_iterators_tIbNS6_6detail15normal_iteratorINS6_10device_ptrIKyEEEESL_NS6_8equal_toIyEEEENSG_9not_fun_tINSD_8identityEEEEENSD_19counting_iterator_tIlEES8_S8_S8_S8_S8_S8_S8_S8_EEEEPS9_S9_NSD_9__find_if7functorIS9_EEEE10hipError_tPvRmT1_T2_T3_mT4_P12ihipStream_tbEUlT_E1_NS1_11comp_targetILNS1_3genE5ELNS1_11target_archE942ELNS1_3gpuE9ELNS1_3repE0EEENS1_30default_config_static_selectorELNS0_4arch9wavefront6targetE0EEEvS14_.kd
    .uniform_work_group_size: 1
    .uses_dynamic_stack: false
    .vgpr_count:     0
    .vgpr_spill_count: 0
    .wavefront_size: 32
  - .args:
      - .offset:         0
        .size:           88
        .value_kind:     by_value
    .group_segment_fixed_size: 0
    .kernarg_segment_align: 8
    .kernarg_segment_size: 88
    .language:       OpenCL C
    .language_version:
      - 2
      - 0
    .max_flat_workgroup_size: 256
    .name:           _ZN7rocprim17ROCPRIM_400000_NS6detail17trampoline_kernelINS0_14default_configENS1_22reduce_config_selectorIN6thrust23THRUST_200600_302600_NS5tupleIblNS6_9null_typeES8_S8_S8_S8_S8_S8_S8_EEEEZNS1_11reduce_implILb1ES3_NS6_12zip_iteratorINS7_INS6_11hip_rocprim26transform_input_iterator_tIbNSD_35transform_pair_of_input_iterators_tIbNS6_6detail15normal_iteratorINS6_10device_ptrIKyEEEESL_NS6_8equal_toIyEEEENSG_9not_fun_tINSD_8identityEEEEENSD_19counting_iterator_tIlEES8_S8_S8_S8_S8_S8_S8_S8_EEEEPS9_S9_NSD_9__find_if7functorIS9_EEEE10hipError_tPvRmT1_T2_T3_mT4_P12ihipStream_tbEUlT_E1_NS1_11comp_targetILNS1_3genE4ELNS1_11target_archE910ELNS1_3gpuE8ELNS1_3repE0EEENS1_30default_config_static_selectorELNS0_4arch9wavefront6targetE0EEEvS14_
    .private_segment_fixed_size: 0
    .sgpr_count:     0
    .sgpr_spill_count: 0
    .symbol:         _ZN7rocprim17ROCPRIM_400000_NS6detail17trampoline_kernelINS0_14default_configENS1_22reduce_config_selectorIN6thrust23THRUST_200600_302600_NS5tupleIblNS6_9null_typeES8_S8_S8_S8_S8_S8_S8_EEEEZNS1_11reduce_implILb1ES3_NS6_12zip_iteratorINS7_INS6_11hip_rocprim26transform_input_iterator_tIbNSD_35transform_pair_of_input_iterators_tIbNS6_6detail15normal_iteratorINS6_10device_ptrIKyEEEESL_NS6_8equal_toIyEEEENSG_9not_fun_tINSD_8identityEEEEENSD_19counting_iterator_tIlEES8_S8_S8_S8_S8_S8_S8_S8_EEEEPS9_S9_NSD_9__find_if7functorIS9_EEEE10hipError_tPvRmT1_T2_T3_mT4_P12ihipStream_tbEUlT_E1_NS1_11comp_targetILNS1_3genE4ELNS1_11target_archE910ELNS1_3gpuE8ELNS1_3repE0EEENS1_30default_config_static_selectorELNS0_4arch9wavefront6targetE0EEEvS14_.kd
    .uniform_work_group_size: 1
    .uses_dynamic_stack: false
    .vgpr_count:     0
    .vgpr_spill_count: 0
    .wavefront_size: 32
  - .args:
      - .offset:         0
        .size:           88
        .value_kind:     by_value
    .group_segment_fixed_size: 0
    .kernarg_segment_align: 8
    .kernarg_segment_size: 88
    .language:       OpenCL C
    .language_version:
      - 2
      - 0
    .max_flat_workgroup_size: 128
    .name:           _ZN7rocprim17ROCPRIM_400000_NS6detail17trampoline_kernelINS0_14default_configENS1_22reduce_config_selectorIN6thrust23THRUST_200600_302600_NS5tupleIblNS6_9null_typeES8_S8_S8_S8_S8_S8_S8_EEEEZNS1_11reduce_implILb1ES3_NS6_12zip_iteratorINS7_INS6_11hip_rocprim26transform_input_iterator_tIbNSD_35transform_pair_of_input_iterators_tIbNS6_6detail15normal_iteratorINS6_10device_ptrIKyEEEESL_NS6_8equal_toIyEEEENSG_9not_fun_tINSD_8identityEEEEENSD_19counting_iterator_tIlEES8_S8_S8_S8_S8_S8_S8_S8_EEEEPS9_S9_NSD_9__find_if7functorIS9_EEEE10hipError_tPvRmT1_T2_T3_mT4_P12ihipStream_tbEUlT_E1_NS1_11comp_targetILNS1_3genE3ELNS1_11target_archE908ELNS1_3gpuE7ELNS1_3repE0EEENS1_30default_config_static_selectorELNS0_4arch9wavefront6targetE0EEEvS14_
    .private_segment_fixed_size: 0
    .sgpr_count:     0
    .sgpr_spill_count: 0
    .symbol:         _ZN7rocprim17ROCPRIM_400000_NS6detail17trampoline_kernelINS0_14default_configENS1_22reduce_config_selectorIN6thrust23THRUST_200600_302600_NS5tupleIblNS6_9null_typeES8_S8_S8_S8_S8_S8_S8_EEEEZNS1_11reduce_implILb1ES3_NS6_12zip_iteratorINS7_INS6_11hip_rocprim26transform_input_iterator_tIbNSD_35transform_pair_of_input_iterators_tIbNS6_6detail15normal_iteratorINS6_10device_ptrIKyEEEESL_NS6_8equal_toIyEEEENSG_9not_fun_tINSD_8identityEEEEENSD_19counting_iterator_tIlEES8_S8_S8_S8_S8_S8_S8_S8_EEEEPS9_S9_NSD_9__find_if7functorIS9_EEEE10hipError_tPvRmT1_T2_T3_mT4_P12ihipStream_tbEUlT_E1_NS1_11comp_targetILNS1_3genE3ELNS1_11target_archE908ELNS1_3gpuE7ELNS1_3repE0EEENS1_30default_config_static_selectorELNS0_4arch9wavefront6targetE0EEEvS14_.kd
    .uniform_work_group_size: 1
    .uses_dynamic_stack: false
    .vgpr_count:     0
    .vgpr_spill_count: 0
    .wavefront_size: 32
  - .args:
      - .offset:         0
        .size:           88
        .value_kind:     by_value
    .group_segment_fixed_size: 0
    .kernarg_segment_align: 8
    .kernarg_segment_size: 88
    .language:       OpenCL C
    .language_version:
      - 2
      - 0
    .max_flat_workgroup_size: 128
    .name:           _ZN7rocprim17ROCPRIM_400000_NS6detail17trampoline_kernelINS0_14default_configENS1_22reduce_config_selectorIN6thrust23THRUST_200600_302600_NS5tupleIblNS6_9null_typeES8_S8_S8_S8_S8_S8_S8_EEEEZNS1_11reduce_implILb1ES3_NS6_12zip_iteratorINS7_INS6_11hip_rocprim26transform_input_iterator_tIbNSD_35transform_pair_of_input_iterators_tIbNS6_6detail15normal_iteratorINS6_10device_ptrIKyEEEESL_NS6_8equal_toIyEEEENSG_9not_fun_tINSD_8identityEEEEENSD_19counting_iterator_tIlEES8_S8_S8_S8_S8_S8_S8_S8_EEEEPS9_S9_NSD_9__find_if7functorIS9_EEEE10hipError_tPvRmT1_T2_T3_mT4_P12ihipStream_tbEUlT_E1_NS1_11comp_targetILNS1_3genE2ELNS1_11target_archE906ELNS1_3gpuE6ELNS1_3repE0EEENS1_30default_config_static_selectorELNS0_4arch9wavefront6targetE0EEEvS14_
    .private_segment_fixed_size: 0
    .sgpr_count:     0
    .sgpr_spill_count: 0
    .symbol:         _ZN7rocprim17ROCPRIM_400000_NS6detail17trampoline_kernelINS0_14default_configENS1_22reduce_config_selectorIN6thrust23THRUST_200600_302600_NS5tupleIblNS6_9null_typeES8_S8_S8_S8_S8_S8_S8_EEEEZNS1_11reduce_implILb1ES3_NS6_12zip_iteratorINS7_INS6_11hip_rocprim26transform_input_iterator_tIbNSD_35transform_pair_of_input_iterators_tIbNS6_6detail15normal_iteratorINS6_10device_ptrIKyEEEESL_NS6_8equal_toIyEEEENSG_9not_fun_tINSD_8identityEEEEENSD_19counting_iterator_tIlEES8_S8_S8_S8_S8_S8_S8_S8_EEEEPS9_S9_NSD_9__find_if7functorIS9_EEEE10hipError_tPvRmT1_T2_T3_mT4_P12ihipStream_tbEUlT_E1_NS1_11comp_targetILNS1_3genE2ELNS1_11target_archE906ELNS1_3gpuE6ELNS1_3repE0EEENS1_30default_config_static_selectorELNS0_4arch9wavefront6targetE0EEEvS14_.kd
    .uniform_work_group_size: 1
    .uses_dynamic_stack: false
    .vgpr_count:     0
    .vgpr_spill_count: 0
    .wavefront_size: 32
  - .args:
      - .offset:         0
        .size:           88
        .value_kind:     by_value
    .group_segment_fixed_size: 0
    .kernarg_segment_align: 8
    .kernarg_segment_size: 88
    .language:       OpenCL C
    .language_version:
      - 2
      - 0
    .max_flat_workgroup_size: 256
    .name:           _ZN7rocprim17ROCPRIM_400000_NS6detail17trampoline_kernelINS0_14default_configENS1_22reduce_config_selectorIN6thrust23THRUST_200600_302600_NS5tupleIblNS6_9null_typeES8_S8_S8_S8_S8_S8_S8_EEEEZNS1_11reduce_implILb1ES3_NS6_12zip_iteratorINS7_INS6_11hip_rocprim26transform_input_iterator_tIbNSD_35transform_pair_of_input_iterators_tIbNS6_6detail15normal_iteratorINS6_10device_ptrIKyEEEESL_NS6_8equal_toIyEEEENSG_9not_fun_tINSD_8identityEEEEENSD_19counting_iterator_tIlEES8_S8_S8_S8_S8_S8_S8_S8_EEEEPS9_S9_NSD_9__find_if7functorIS9_EEEE10hipError_tPvRmT1_T2_T3_mT4_P12ihipStream_tbEUlT_E1_NS1_11comp_targetILNS1_3genE10ELNS1_11target_archE1201ELNS1_3gpuE5ELNS1_3repE0EEENS1_30default_config_static_selectorELNS0_4arch9wavefront6targetE0EEEvS14_
    .private_segment_fixed_size: 0
    .sgpr_count:     0
    .sgpr_spill_count: 0
    .symbol:         _ZN7rocprim17ROCPRIM_400000_NS6detail17trampoline_kernelINS0_14default_configENS1_22reduce_config_selectorIN6thrust23THRUST_200600_302600_NS5tupleIblNS6_9null_typeES8_S8_S8_S8_S8_S8_S8_EEEEZNS1_11reduce_implILb1ES3_NS6_12zip_iteratorINS7_INS6_11hip_rocprim26transform_input_iterator_tIbNSD_35transform_pair_of_input_iterators_tIbNS6_6detail15normal_iteratorINS6_10device_ptrIKyEEEESL_NS6_8equal_toIyEEEENSG_9not_fun_tINSD_8identityEEEEENSD_19counting_iterator_tIlEES8_S8_S8_S8_S8_S8_S8_S8_EEEEPS9_S9_NSD_9__find_if7functorIS9_EEEE10hipError_tPvRmT1_T2_T3_mT4_P12ihipStream_tbEUlT_E1_NS1_11comp_targetILNS1_3genE10ELNS1_11target_archE1201ELNS1_3gpuE5ELNS1_3repE0EEENS1_30default_config_static_selectorELNS0_4arch9wavefront6targetE0EEEvS14_.kd
    .uniform_work_group_size: 1
    .uses_dynamic_stack: false
    .vgpr_count:     0
    .vgpr_spill_count: 0
    .wavefront_size: 32
  - .args:
      - .offset:         0
        .size:           88
        .value_kind:     by_value
    .group_segment_fixed_size: 0
    .kernarg_segment_align: 8
    .kernarg_segment_size: 88
    .language:       OpenCL C
    .language_version:
      - 2
      - 0
    .max_flat_workgroup_size: 256
    .name:           _ZN7rocprim17ROCPRIM_400000_NS6detail17trampoline_kernelINS0_14default_configENS1_22reduce_config_selectorIN6thrust23THRUST_200600_302600_NS5tupleIblNS6_9null_typeES8_S8_S8_S8_S8_S8_S8_EEEEZNS1_11reduce_implILb1ES3_NS6_12zip_iteratorINS7_INS6_11hip_rocprim26transform_input_iterator_tIbNSD_35transform_pair_of_input_iterators_tIbNS6_6detail15normal_iteratorINS6_10device_ptrIKyEEEESL_NS6_8equal_toIyEEEENSG_9not_fun_tINSD_8identityEEEEENSD_19counting_iterator_tIlEES8_S8_S8_S8_S8_S8_S8_S8_EEEEPS9_S9_NSD_9__find_if7functorIS9_EEEE10hipError_tPvRmT1_T2_T3_mT4_P12ihipStream_tbEUlT_E1_NS1_11comp_targetILNS1_3genE10ELNS1_11target_archE1200ELNS1_3gpuE4ELNS1_3repE0EEENS1_30default_config_static_selectorELNS0_4arch9wavefront6targetE0EEEvS14_
    .private_segment_fixed_size: 0
    .sgpr_count:     0
    .sgpr_spill_count: 0
    .symbol:         _ZN7rocprim17ROCPRIM_400000_NS6detail17trampoline_kernelINS0_14default_configENS1_22reduce_config_selectorIN6thrust23THRUST_200600_302600_NS5tupleIblNS6_9null_typeES8_S8_S8_S8_S8_S8_S8_EEEEZNS1_11reduce_implILb1ES3_NS6_12zip_iteratorINS7_INS6_11hip_rocprim26transform_input_iterator_tIbNSD_35transform_pair_of_input_iterators_tIbNS6_6detail15normal_iteratorINS6_10device_ptrIKyEEEESL_NS6_8equal_toIyEEEENSG_9not_fun_tINSD_8identityEEEEENSD_19counting_iterator_tIlEES8_S8_S8_S8_S8_S8_S8_S8_EEEEPS9_S9_NSD_9__find_if7functorIS9_EEEE10hipError_tPvRmT1_T2_T3_mT4_P12ihipStream_tbEUlT_E1_NS1_11comp_targetILNS1_3genE10ELNS1_11target_archE1200ELNS1_3gpuE4ELNS1_3repE0EEENS1_30default_config_static_selectorELNS0_4arch9wavefront6targetE0EEEvS14_.kd
    .uniform_work_group_size: 1
    .uses_dynamic_stack: false
    .vgpr_count:     0
    .vgpr_spill_count: 0
    .wavefront_size: 32
  - .args:
      - .offset:         0
        .size:           88
        .value_kind:     by_value
    .group_segment_fixed_size: 0
    .kernarg_segment_align: 8
    .kernarg_segment_size: 88
    .language:       OpenCL C
    .language_version:
      - 2
      - 0
    .max_flat_workgroup_size: 256
    .name:           _ZN7rocprim17ROCPRIM_400000_NS6detail17trampoline_kernelINS0_14default_configENS1_22reduce_config_selectorIN6thrust23THRUST_200600_302600_NS5tupleIblNS6_9null_typeES8_S8_S8_S8_S8_S8_S8_EEEEZNS1_11reduce_implILb1ES3_NS6_12zip_iteratorINS7_INS6_11hip_rocprim26transform_input_iterator_tIbNSD_35transform_pair_of_input_iterators_tIbNS6_6detail15normal_iteratorINS6_10device_ptrIKyEEEESL_NS6_8equal_toIyEEEENSG_9not_fun_tINSD_8identityEEEEENSD_19counting_iterator_tIlEES8_S8_S8_S8_S8_S8_S8_S8_EEEEPS9_S9_NSD_9__find_if7functorIS9_EEEE10hipError_tPvRmT1_T2_T3_mT4_P12ihipStream_tbEUlT_E1_NS1_11comp_targetILNS1_3genE9ELNS1_11target_archE1100ELNS1_3gpuE3ELNS1_3repE0EEENS1_30default_config_static_selectorELNS0_4arch9wavefront6targetE0EEEvS14_
    .private_segment_fixed_size: 0
    .sgpr_count:     0
    .sgpr_spill_count: 0
    .symbol:         _ZN7rocprim17ROCPRIM_400000_NS6detail17trampoline_kernelINS0_14default_configENS1_22reduce_config_selectorIN6thrust23THRUST_200600_302600_NS5tupleIblNS6_9null_typeES8_S8_S8_S8_S8_S8_S8_EEEEZNS1_11reduce_implILb1ES3_NS6_12zip_iteratorINS7_INS6_11hip_rocprim26transform_input_iterator_tIbNSD_35transform_pair_of_input_iterators_tIbNS6_6detail15normal_iteratorINS6_10device_ptrIKyEEEESL_NS6_8equal_toIyEEEENSG_9not_fun_tINSD_8identityEEEEENSD_19counting_iterator_tIlEES8_S8_S8_S8_S8_S8_S8_S8_EEEEPS9_S9_NSD_9__find_if7functorIS9_EEEE10hipError_tPvRmT1_T2_T3_mT4_P12ihipStream_tbEUlT_E1_NS1_11comp_targetILNS1_3genE9ELNS1_11target_archE1100ELNS1_3gpuE3ELNS1_3repE0EEENS1_30default_config_static_selectorELNS0_4arch9wavefront6targetE0EEEvS14_.kd
    .uniform_work_group_size: 1
    .uses_dynamic_stack: false
    .vgpr_count:     0
    .vgpr_spill_count: 0
    .wavefront_size: 32
  - .args:
      - .offset:         0
        .size:           88
        .value_kind:     by_value
    .group_segment_fixed_size: 0
    .kernarg_segment_align: 8
    .kernarg_segment_size: 88
    .language:       OpenCL C
    .language_version:
      - 2
      - 0
    .max_flat_workgroup_size: 256
    .name:           _ZN7rocprim17ROCPRIM_400000_NS6detail17trampoline_kernelINS0_14default_configENS1_22reduce_config_selectorIN6thrust23THRUST_200600_302600_NS5tupleIblNS6_9null_typeES8_S8_S8_S8_S8_S8_S8_EEEEZNS1_11reduce_implILb1ES3_NS6_12zip_iteratorINS7_INS6_11hip_rocprim26transform_input_iterator_tIbNSD_35transform_pair_of_input_iterators_tIbNS6_6detail15normal_iteratorINS6_10device_ptrIKyEEEESL_NS6_8equal_toIyEEEENSG_9not_fun_tINSD_8identityEEEEENSD_19counting_iterator_tIlEES8_S8_S8_S8_S8_S8_S8_S8_EEEEPS9_S9_NSD_9__find_if7functorIS9_EEEE10hipError_tPvRmT1_T2_T3_mT4_P12ihipStream_tbEUlT_E1_NS1_11comp_targetILNS1_3genE8ELNS1_11target_archE1030ELNS1_3gpuE2ELNS1_3repE0EEENS1_30default_config_static_selectorELNS0_4arch9wavefront6targetE0EEEvS14_
    .private_segment_fixed_size: 0
    .sgpr_count:     0
    .sgpr_spill_count: 0
    .symbol:         _ZN7rocprim17ROCPRIM_400000_NS6detail17trampoline_kernelINS0_14default_configENS1_22reduce_config_selectorIN6thrust23THRUST_200600_302600_NS5tupleIblNS6_9null_typeES8_S8_S8_S8_S8_S8_S8_EEEEZNS1_11reduce_implILb1ES3_NS6_12zip_iteratorINS7_INS6_11hip_rocprim26transform_input_iterator_tIbNSD_35transform_pair_of_input_iterators_tIbNS6_6detail15normal_iteratorINS6_10device_ptrIKyEEEESL_NS6_8equal_toIyEEEENSG_9not_fun_tINSD_8identityEEEEENSD_19counting_iterator_tIlEES8_S8_S8_S8_S8_S8_S8_S8_EEEEPS9_S9_NSD_9__find_if7functorIS9_EEEE10hipError_tPvRmT1_T2_T3_mT4_P12ihipStream_tbEUlT_E1_NS1_11comp_targetILNS1_3genE8ELNS1_11target_archE1030ELNS1_3gpuE2ELNS1_3repE0EEENS1_30default_config_static_selectorELNS0_4arch9wavefront6targetE0EEEvS14_.kd
    .uniform_work_group_size: 1
    .uses_dynamic_stack: false
    .vgpr_count:     0
    .vgpr_spill_count: 0
    .wavefront_size: 32
  - .args:
      - .offset:         0
        .size:           16
        .value_kind:     by_value
      - .offset:         16
        .size:           8
        .value_kind:     by_value
      - .offset:         24
        .size:           8
        .value_kind:     by_value
    .group_segment_fixed_size: 0
    .kernarg_segment_align: 8
    .kernarg_segment_size: 32
    .language:       OpenCL C
    .language_version:
      - 2
      - 0
    .max_flat_workgroup_size: 256
    .name:           _ZN6thrust23THRUST_200600_302600_NS11hip_rocprim14__parallel_for6kernelILj256ENS1_20__uninitialized_fill7functorINS0_10device_ptrIjEEjEEmLj1EEEvT0_T1_SA_
    .private_segment_fixed_size: 0
    .sgpr_count:     14
    .sgpr_spill_count: 0
    .symbol:         _ZN6thrust23THRUST_200600_302600_NS11hip_rocprim14__parallel_for6kernelILj256ENS1_20__uninitialized_fill7functorINS0_10device_ptrIjEEjEEmLj1EEEvT0_T1_SA_.kd
    .uniform_work_group_size: 1
    .uses_dynamic_stack: false
    .vgpr_count:     2
    .vgpr_spill_count: 0
    .wavefront_size: 32
  - .args:
      - .offset:         0
        .size:           64
        .value_kind:     by_value
      - .offset:         64
        .size:           4
        .value_kind:     hidden_block_count_x
      - .offset:         68
        .size:           4
        .value_kind:     hidden_block_count_y
      - .offset:         72
        .size:           4
        .value_kind:     hidden_block_count_z
      - .offset:         76
        .size:           2
        .value_kind:     hidden_group_size_x
      - .offset:         78
        .size:           2
        .value_kind:     hidden_group_size_y
      - .offset:         80
        .size:           2
        .value_kind:     hidden_group_size_z
      - .offset:         82
        .size:           2
        .value_kind:     hidden_remainder_x
      - .offset:         84
        .size:           2
        .value_kind:     hidden_remainder_y
      - .offset:         86
        .size:           2
        .value_kind:     hidden_remainder_z
      - .offset:         104
        .size:           8
        .value_kind:     hidden_global_offset_x
      - .offset:         112
        .size:           8
        .value_kind:     hidden_global_offset_y
      - .offset:         120
        .size:           8
        .value_kind:     hidden_global_offset_z
      - .offset:         128
        .size:           2
        .value_kind:     hidden_grid_dims
    .group_segment_fixed_size: 0
    .kernarg_segment_align: 8
    .kernarg_segment_size: 320
    .language:       OpenCL C
    .language_version:
      - 2
      - 0
    .max_flat_workgroup_size: 256
    .name:           _ZN7rocprim17ROCPRIM_400000_NS6detail17trampoline_kernelINS0_14default_configENS1_21merge_config_selectorINS0_5tupleIJjjEEENS0_10empty_typeEEEZNS1_10merge_implIS3_NS0_12zip_iteratorINS5_IJN6thrust23THRUST_200600_302600_NS6detail15normal_iteratorINSC_10device_ptrIKjEEEESI_EEEEESK_NSA_INS5_IJNSE_INSF_IjEEEESM_EEEEEPS7_SP_SP_NSC_11hip_rocprim7__merge17predicate_wrapperIjjNSC_4lessIjEEEEEE10hipError_tPvRmT0_T1_T2_T3_T4_T5_mmT6_P12ihipStream_tbEUlT_E_NS1_11comp_targetILNS1_3genE0ELNS1_11target_archE4294967295ELNS1_3gpuE0ELNS1_3repE0EEENS1_30default_config_static_selectorELNS0_4arch9wavefront6targetE0EEEvS10_
    .private_segment_fixed_size: 0
    .sgpr_count:     16
    .sgpr_spill_count: 0
    .symbol:         _ZN7rocprim17ROCPRIM_400000_NS6detail17trampoline_kernelINS0_14default_configENS1_21merge_config_selectorINS0_5tupleIJjjEEENS0_10empty_typeEEEZNS1_10merge_implIS3_NS0_12zip_iteratorINS5_IJN6thrust23THRUST_200600_302600_NS6detail15normal_iteratorINSC_10device_ptrIKjEEEESI_EEEEESK_NSA_INS5_IJNSE_INSF_IjEEEESM_EEEEEPS7_SP_SP_NSC_11hip_rocprim7__merge17predicate_wrapperIjjNSC_4lessIjEEEEEE10hipError_tPvRmT0_T1_T2_T3_T4_T5_mmT6_P12ihipStream_tbEUlT_E_NS1_11comp_targetILNS1_3genE0ELNS1_11target_archE4294967295ELNS1_3gpuE0ELNS1_3repE0EEENS1_30default_config_static_selectorELNS0_4arch9wavefront6targetE0EEEvS10_.kd
    .uniform_work_group_size: 1
    .uses_dynamic_stack: false
    .vgpr_count:     15
    .vgpr_spill_count: 0
    .wavefront_size: 32
  - .args:
      - .offset:         0
        .size:           64
        .value_kind:     by_value
    .group_segment_fixed_size: 0
    .kernarg_segment_align: 8
    .kernarg_segment_size: 64
    .language:       OpenCL C
    .language_version:
      - 2
      - 0
    .max_flat_workgroup_size: 256
    .name:           _ZN7rocprim17ROCPRIM_400000_NS6detail17trampoline_kernelINS0_14default_configENS1_21merge_config_selectorINS0_5tupleIJjjEEENS0_10empty_typeEEEZNS1_10merge_implIS3_NS0_12zip_iteratorINS5_IJN6thrust23THRUST_200600_302600_NS6detail15normal_iteratorINSC_10device_ptrIKjEEEESI_EEEEESK_NSA_INS5_IJNSE_INSF_IjEEEESM_EEEEEPS7_SP_SP_NSC_11hip_rocprim7__merge17predicate_wrapperIjjNSC_4lessIjEEEEEE10hipError_tPvRmT0_T1_T2_T3_T4_T5_mmT6_P12ihipStream_tbEUlT_E_NS1_11comp_targetILNS1_3genE5ELNS1_11target_archE942ELNS1_3gpuE9ELNS1_3repE0EEENS1_30default_config_static_selectorELNS0_4arch9wavefront6targetE0EEEvS10_
    .private_segment_fixed_size: 0
    .sgpr_count:     0
    .sgpr_spill_count: 0
    .symbol:         _ZN7rocprim17ROCPRIM_400000_NS6detail17trampoline_kernelINS0_14default_configENS1_21merge_config_selectorINS0_5tupleIJjjEEENS0_10empty_typeEEEZNS1_10merge_implIS3_NS0_12zip_iteratorINS5_IJN6thrust23THRUST_200600_302600_NS6detail15normal_iteratorINSC_10device_ptrIKjEEEESI_EEEEESK_NSA_INS5_IJNSE_INSF_IjEEEESM_EEEEEPS7_SP_SP_NSC_11hip_rocprim7__merge17predicate_wrapperIjjNSC_4lessIjEEEEEE10hipError_tPvRmT0_T1_T2_T3_T4_T5_mmT6_P12ihipStream_tbEUlT_E_NS1_11comp_targetILNS1_3genE5ELNS1_11target_archE942ELNS1_3gpuE9ELNS1_3repE0EEENS1_30default_config_static_selectorELNS0_4arch9wavefront6targetE0EEEvS10_.kd
    .uniform_work_group_size: 1
    .uses_dynamic_stack: false
    .vgpr_count:     0
    .vgpr_spill_count: 0
    .wavefront_size: 32
  - .args:
      - .offset:         0
        .size:           64
        .value_kind:     by_value
    .group_segment_fixed_size: 0
    .kernarg_segment_align: 8
    .kernarg_segment_size: 64
    .language:       OpenCL C
    .language_version:
      - 2
      - 0
    .max_flat_workgroup_size: 256
    .name:           _ZN7rocprim17ROCPRIM_400000_NS6detail17trampoline_kernelINS0_14default_configENS1_21merge_config_selectorINS0_5tupleIJjjEEENS0_10empty_typeEEEZNS1_10merge_implIS3_NS0_12zip_iteratorINS5_IJN6thrust23THRUST_200600_302600_NS6detail15normal_iteratorINSC_10device_ptrIKjEEEESI_EEEEESK_NSA_INS5_IJNSE_INSF_IjEEEESM_EEEEEPS7_SP_SP_NSC_11hip_rocprim7__merge17predicate_wrapperIjjNSC_4lessIjEEEEEE10hipError_tPvRmT0_T1_T2_T3_T4_T5_mmT6_P12ihipStream_tbEUlT_E_NS1_11comp_targetILNS1_3genE4ELNS1_11target_archE910ELNS1_3gpuE8ELNS1_3repE0EEENS1_30default_config_static_selectorELNS0_4arch9wavefront6targetE0EEEvS10_
    .private_segment_fixed_size: 0
    .sgpr_count:     0
    .sgpr_spill_count: 0
    .symbol:         _ZN7rocprim17ROCPRIM_400000_NS6detail17trampoline_kernelINS0_14default_configENS1_21merge_config_selectorINS0_5tupleIJjjEEENS0_10empty_typeEEEZNS1_10merge_implIS3_NS0_12zip_iteratorINS5_IJN6thrust23THRUST_200600_302600_NS6detail15normal_iteratorINSC_10device_ptrIKjEEEESI_EEEEESK_NSA_INS5_IJNSE_INSF_IjEEEESM_EEEEEPS7_SP_SP_NSC_11hip_rocprim7__merge17predicate_wrapperIjjNSC_4lessIjEEEEEE10hipError_tPvRmT0_T1_T2_T3_T4_T5_mmT6_P12ihipStream_tbEUlT_E_NS1_11comp_targetILNS1_3genE4ELNS1_11target_archE910ELNS1_3gpuE8ELNS1_3repE0EEENS1_30default_config_static_selectorELNS0_4arch9wavefront6targetE0EEEvS10_.kd
    .uniform_work_group_size: 1
    .uses_dynamic_stack: false
    .vgpr_count:     0
    .vgpr_spill_count: 0
    .wavefront_size: 32
  - .args:
      - .offset:         0
        .size:           64
        .value_kind:     by_value
    .group_segment_fixed_size: 0
    .kernarg_segment_align: 8
    .kernarg_segment_size: 64
    .language:       OpenCL C
    .language_version:
      - 2
      - 0
    .max_flat_workgroup_size: 256
    .name:           _ZN7rocprim17ROCPRIM_400000_NS6detail17trampoline_kernelINS0_14default_configENS1_21merge_config_selectorINS0_5tupleIJjjEEENS0_10empty_typeEEEZNS1_10merge_implIS3_NS0_12zip_iteratorINS5_IJN6thrust23THRUST_200600_302600_NS6detail15normal_iteratorINSC_10device_ptrIKjEEEESI_EEEEESK_NSA_INS5_IJNSE_INSF_IjEEEESM_EEEEEPS7_SP_SP_NSC_11hip_rocprim7__merge17predicate_wrapperIjjNSC_4lessIjEEEEEE10hipError_tPvRmT0_T1_T2_T3_T4_T5_mmT6_P12ihipStream_tbEUlT_E_NS1_11comp_targetILNS1_3genE3ELNS1_11target_archE908ELNS1_3gpuE7ELNS1_3repE0EEENS1_30default_config_static_selectorELNS0_4arch9wavefront6targetE0EEEvS10_
    .private_segment_fixed_size: 0
    .sgpr_count:     0
    .sgpr_spill_count: 0
    .symbol:         _ZN7rocprim17ROCPRIM_400000_NS6detail17trampoline_kernelINS0_14default_configENS1_21merge_config_selectorINS0_5tupleIJjjEEENS0_10empty_typeEEEZNS1_10merge_implIS3_NS0_12zip_iteratorINS5_IJN6thrust23THRUST_200600_302600_NS6detail15normal_iteratorINSC_10device_ptrIKjEEEESI_EEEEESK_NSA_INS5_IJNSE_INSF_IjEEEESM_EEEEEPS7_SP_SP_NSC_11hip_rocprim7__merge17predicate_wrapperIjjNSC_4lessIjEEEEEE10hipError_tPvRmT0_T1_T2_T3_T4_T5_mmT6_P12ihipStream_tbEUlT_E_NS1_11comp_targetILNS1_3genE3ELNS1_11target_archE908ELNS1_3gpuE7ELNS1_3repE0EEENS1_30default_config_static_selectorELNS0_4arch9wavefront6targetE0EEEvS10_.kd
    .uniform_work_group_size: 1
    .uses_dynamic_stack: false
    .vgpr_count:     0
    .vgpr_spill_count: 0
    .wavefront_size: 32
  - .args:
      - .offset:         0
        .size:           64
        .value_kind:     by_value
    .group_segment_fixed_size: 0
    .kernarg_segment_align: 8
    .kernarg_segment_size: 64
    .language:       OpenCL C
    .language_version:
      - 2
      - 0
    .max_flat_workgroup_size: 256
    .name:           _ZN7rocprim17ROCPRIM_400000_NS6detail17trampoline_kernelINS0_14default_configENS1_21merge_config_selectorINS0_5tupleIJjjEEENS0_10empty_typeEEEZNS1_10merge_implIS3_NS0_12zip_iteratorINS5_IJN6thrust23THRUST_200600_302600_NS6detail15normal_iteratorINSC_10device_ptrIKjEEEESI_EEEEESK_NSA_INS5_IJNSE_INSF_IjEEEESM_EEEEEPS7_SP_SP_NSC_11hip_rocprim7__merge17predicate_wrapperIjjNSC_4lessIjEEEEEE10hipError_tPvRmT0_T1_T2_T3_T4_T5_mmT6_P12ihipStream_tbEUlT_E_NS1_11comp_targetILNS1_3genE2ELNS1_11target_archE906ELNS1_3gpuE6ELNS1_3repE0EEENS1_30default_config_static_selectorELNS0_4arch9wavefront6targetE0EEEvS10_
    .private_segment_fixed_size: 0
    .sgpr_count:     0
    .sgpr_spill_count: 0
    .symbol:         _ZN7rocprim17ROCPRIM_400000_NS6detail17trampoline_kernelINS0_14default_configENS1_21merge_config_selectorINS0_5tupleIJjjEEENS0_10empty_typeEEEZNS1_10merge_implIS3_NS0_12zip_iteratorINS5_IJN6thrust23THRUST_200600_302600_NS6detail15normal_iteratorINSC_10device_ptrIKjEEEESI_EEEEESK_NSA_INS5_IJNSE_INSF_IjEEEESM_EEEEEPS7_SP_SP_NSC_11hip_rocprim7__merge17predicate_wrapperIjjNSC_4lessIjEEEEEE10hipError_tPvRmT0_T1_T2_T3_T4_T5_mmT6_P12ihipStream_tbEUlT_E_NS1_11comp_targetILNS1_3genE2ELNS1_11target_archE906ELNS1_3gpuE6ELNS1_3repE0EEENS1_30default_config_static_selectorELNS0_4arch9wavefront6targetE0EEEvS10_.kd
    .uniform_work_group_size: 1
    .uses_dynamic_stack: false
    .vgpr_count:     0
    .vgpr_spill_count: 0
    .wavefront_size: 32
  - .args:
      - .offset:         0
        .size:           64
        .value_kind:     by_value
    .group_segment_fixed_size: 0
    .kernarg_segment_align: 8
    .kernarg_segment_size: 64
    .language:       OpenCL C
    .language_version:
      - 2
      - 0
    .max_flat_workgroup_size: 512
    .name:           _ZN7rocprim17ROCPRIM_400000_NS6detail17trampoline_kernelINS0_14default_configENS1_21merge_config_selectorINS0_5tupleIJjjEEENS0_10empty_typeEEEZNS1_10merge_implIS3_NS0_12zip_iteratorINS5_IJN6thrust23THRUST_200600_302600_NS6detail15normal_iteratorINSC_10device_ptrIKjEEEESI_EEEEESK_NSA_INS5_IJNSE_INSF_IjEEEESM_EEEEEPS7_SP_SP_NSC_11hip_rocprim7__merge17predicate_wrapperIjjNSC_4lessIjEEEEEE10hipError_tPvRmT0_T1_T2_T3_T4_T5_mmT6_P12ihipStream_tbEUlT_E_NS1_11comp_targetILNS1_3genE10ELNS1_11target_archE1201ELNS1_3gpuE5ELNS1_3repE0EEENS1_30default_config_static_selectorELNS0_4arch9wavefront6targetE0EEEvS10_
    .private_segment_fixed_size: 0
    .sgpr_count:     0
    .sgpr_spill_count: 0
    .symbol:         _ZN7rocprim17ROCPRIM_400000_NS6detail17trampoline_kernelINS0_14default_configENS1_21merge_config_selectorINS0_5tupleIJjjEEENS0_10empty_typeEEEZNS1_10merge_implIS3_NS0_12zip_iteratorINS5_IJN6thrust23THRUST_200600_302600_NS6detail15normal_iteratorINSC_10device_ptrIKjEEEESI_EEEEESK_NSA_INS5_IJNSE_INSF_IjEEEESM_EEEEEPS7_SP_SP_NSC_11hip_rocprim7__merge17predicate_wrapperIjjNSC_4lessIjEEEEEE10hipError_tPvRmT0_T1_T2_T3_T4_T5_mmT6_P12ihipStream_tbEUlT_E_NS1_11comp_targetILNS1_3genE10ELNS1_11target_archE1201ELNS1_3gpuE5ELNS1_3repE0EEENS1_30default_config_static_selectorELNS0_4arch9wavefront6targetE0EEEvS10_.kd
    .uniform_work_group_size: 1
    .uses_dynamic_stack: false
    .vgpr_count:     0
    .vgpr_spill_count: 0
    .wavefront_size: 32
  - .args:
      - .offset:         0
        .size:           64
        .value_kind:     by_value
    .group_segment_fixed_size: 0
    .kernarg_segment_align: 8
    .kernarg_segment_size: 64
    .language:       OpenCL C
    .language_version:
      - 2
      - 0
    .max_flat_workgroup_size: 1024
    .name:           _ZN7rocprim17ROCPRIM_400000_NS6detail17trampoline_kernelINS0_14default_configENS1_21merge_config_selectorINS0_5tupleIJjjEEENS0_10empty_typeEEEZNS1_10merge_implIS3_NS0_12zip_iteratorINS5_IJN6thrust23THRUST_200600_302600_NS6detail15normal_iteratorINSC_10device_ptrIKjEEEESI_EEEEESK_NSA_INS5_IJNSE_INSF_IjEEEESM_EEEEEPS7_SP_SP_NSC_11hip_rocprim7__merge17predicate_wrapperIjjNSC_4lessIjEEEEEE10hipError_tPvRmT0_T1_T2_T3_T4_T5_mmT6_P12ihipStream_tbEUlT_E_NS1_11comp_targetILNS1_3genE10ELNS1_11target_archE1200ELNS1_3gpuE4ELNS1_3repE0EEENS1_30default_config_static_selectorELNS0_4arch9wavefront6targetE0EEEvS10_
    .private_segment_fixed_size: 0
    .sgpr_count:     0
    .sgpr_spill_count: 0
    .symbol:         _ZN7rocprim17ROCPRIM_400000_NS6detail17trampoline_kernelINS0_14default_configENS1_21merge_config_selectorINS0_5tupleIJjjEEENS0_10empty_typeEEEZNS1_10merge_implIS3_NS0_12zip_iteratorINS5_IJN6thrust23THRUST_200600_302600_NS6detail15normal_iteratorINSC_10device_ptrIKjEEEESI_EEEEESK_NSA_INS5_IJNSE_INSF_IjEEEESM_EEEEEPS7_SP_SP_NSC_11hip_rocprim7__merge17predicate_wrapperIjjNSC_4lessIjEEEEEE10hipError_tPvRmT0_T1_T2_T3_T4_T5_mmT6_P12ihipStream_tbEUlT_E_NS1_11comp_targetILNS1_3genE10ELNS1_11target_archE1200ELNS1_3gpuE4ELNS1_3repE0EEENS1_30default_config_static_selectorELNS0_4arch9wavefront6targetE0EEEvS10_.kd
    .uniform_work_group_size: 1
    .uses_dynamic_stack: false
    .vgpr_count:     0
    .vgpr_spill_count: 0
    .wavefront_size: 32
  - .args:
      - .offset:         0
        .size:           64
        .value_kind:     by_value
    .group_segment_fixed_size: 0
    .kernarg_segment_align: 8
    .kernarg_segment_size: 64
    .language:       OpenCL C
    .language_version:
      - 2
      - 0
    .max_flat_workgroup_size: 1024
    .name:           _ZN7rocprim17ROCPRIM_400000_NS6detail17trampoline_kernelINS0_14default_configENS1_21merge_config_selectorINS0_5tupleIJjjEEENS0_10empty_typeEEEZNS1_10merge_implIS3_NS0_12zip_iteratorINS5_IJN6thrust23THRUST_200600_302600_NS6detail15normal_iteratorINSC_10device_ptrIKjEEEESI_EEEEESK_NSA_INS5_IJNSE_INSF_IjEEEESM_EEEEEPS7_SP_SP_NSC_11hip_rocprim7__merge17predicate_wrapperIjjNSC_4lessIjEEEEEE10hipError_tPvRmT0_T1_T2_T3_T4_T5_mmT6_P12ihipStream_tbEUlT_E_NS1_11comp_targetILNS1_3genE9ELNS1_11target_archE1100ELNS1_3gpuE3ELNS1_3repE0EEENS1_30default_config_static_selectorELNS0_4arch9wavefront6targetE0EEEvS10_
    .private_segment_fixed_size: 0
    .sgpr_count:     0
    .sgpr_spill_count: 0
    .symbol:         _ZN7rocprim17ROCPRIM_400000_NS6detail17trampoline_kernelINS0_14default_configENS1_21merge_config_selectorINS0_5tupleIJjjEEENS0_10empty_typeEEEZNS1_10merge_implIS3_NS0_12zip_iteratorINS5_IJN6thrust23THRUST_200600_302600_NS6detail15normal_iteratorINSC_10device_ptrIKjEEEESI_EEEEESK_NSA_INS5_IJNSE_INSF_IjEEEESM_EEEEEPS7_SP_SP_NSC_11hip_rocprim7__merge17predicate_wrapperIjjNSC_4lessIjEEEEEE10hipError_tPvRmT0_T1_T2_T3_T4_T5_mmT6_P12ihipStream_tbEUlT_E_NS1_11comp_targetILNS1_3genE9ELNS1_11target_archE1100ELNS1_3gpuE3ELNS1_3repE0EEENS1_30default_config_static_selectorELNS0_4arch9wavefront6targetE0EEEvS10_.kd
    .uniform_work_group_size: 1
    .uses_dynamic_stack: false
    .vgpr_count:     0
    .vgpr_spill_count: 0
    .wavefront_size: 32
  - .args:
      - .offset:         0
        .size:           64
        .value_kind:     by_value
    .group_segment_fixed_size: 0
    .kernarg_segment_align: 8
    .kernarg_segment_size: 64
    .language:       OpenCL C
    .language_version:
      - 2
      - 0
    .max_flat_workgroup_size: 256
    .name:           _ZN7rocprim17ROCPRIM_400000_NS6detail17trampoline_kernelINS0_14default_configENS1_21merge_config_selectorINS0_5tupleIJjjEEENS0_10empty_typeEEEZNS1_10merge_implIS3_NS0_12zip_iteratorINS5_IJN6thrust23THRUST_200600_302600_NS6detail15normal_iteratorINSC_10device_ptrIKjEEEESI_EEEEESK_NSA_INS5_IJNSE_INSF_IjEEEESM_EEEEEPS7_SP_SP_NSC_11hip_rocprim7__merge17predicate_wrapperIjjNSC_4lessIjEEEEEE10hipError_tPvRmT0_T1_T2_T3_T4_T5_mmT6_P12ihipStream_tbEUlT_E_NS1_11comp_targetILNS1_3genE8ELNS1_11target_archE1030ELNS1_3gpuE2ELNS1_3repE0EEENS1_30default_config_static_selectorELNS0_4arch9wavefront6targetE0EEEvS10_
    .private_segment_fixed_size: 0
    .sgpr_count:     0
    .sgpr_spill_count: 0
    .symbol:         _ZN7rocprim17ROCPRIM_400000_NS6detail17trampoline_kernelINS0_14default_configENS1_21merge_config_selectorINS0_5tupleIJjjEEENS0_10empty_typeEEEZNS1_10merge_implIS3_NS0_12zip_iteratorINS5_IJN6thrust23THRUST_200600_302600_NS6detail15normal_iteratorINSC_10device_ptrIKjEEEESI_EEEEESK_NSA_INS5_IJNSE_INSF_IjEEEESM_EEEEEPS7_SP_SP_NSC_11hip_rocprim7__merge17predicate_wrapperIjjNSC_4lessIjEEEEEE10hipError_tPvRmT0_T1_T2_T3_T4_T5_mmT6_P12ihipStream_tbEUlT_E_NS1_11comp_targetILNS1_3genE8ELNS1_11target_archE1030ELNS1_3gpuE2ELNS1_3repE0EEENS1_30default_config_static_selectorELNS0_4arch9wavefront6targetE0EEEvS10_.kd
    .uniform_work_group_size: 1
    .uses_dynamic_stack: false
    .vgpr_count:     0
    .vgpr_spill_count: 0
    .wavefront_size: 32
  - .args:
      - .offset:         0
        .size:           112
        .value_kind:     by_value
    .group_segment_fixed_size: 14352
    .kernarg_segment_align: 8
    .kernarg_segment_size: 112
    .language:       OpenCL C
    .language_version:
      - 2
      - 0
    .max_flat_workgroup_size: 256
    .name:           _ZN7rocprim17ROCPRIM_400000_NS6detail17trampoline_kernelINS0_14default_configENS1_21merge_config_selectorINS0_5tupleIJjjEEENS0_10empty_typeEEEZNS1_10merge_implIS3_NS0_12zip_iteratorINS5_IJN6thrust23THRUST_200600_302600_NS6detail15normal_iteratorINSC_10device_ptrIKjEEEESI_EEEEESK_NSA_INS5_IJNSE_INSF_IjEEEESM_EEEEEPS7_SP_SP_NSC_11hip_rocprim7__merge17predicate_wrapperIjjNSC_4lessIjEEEEEE10hipError_tPvRmT0_T1_T2_T3_T4_T5_mmT6_P12ihipStream_tbEUlT_E0_NS1_11comp_targetILNS1_3genE0ELNS1_11target_archE4294967295ELNS1_3gpuE0ELNS1_3repE0EEENS1_30default_config_static_selectorELNS0_4arch9wavefront6targetE0EEEvS10_
    .private_segment_fixed_size: 0
    .sgpr_count:     28
    .sgpr_spill_count: 0
    .symbol:         _ZN7rocprim17ROCPRIM_400000_NS6detail17trampoline_kernelINS0_14default_configENS1_21merge_config_selectorINS0_5tupleIJjjEEENS0_10empty_typeEEEZNS1_10merge_implIS3_NS0_12zip_iteratorINS5_IJN6thrust23THRUST_200600_302600_NS6detail15normal_iteratorINSC_10device_ptrIKjEEEESI_EEEEESK_NSA_INS5_IJNSE_INSF_IjEEEESM_EEEEEPS7_SP_SP_NSC_11hip_rocprim7__merge17predicate_wrapperIjjNSC_4lessIjEEEEEE10hipError_tPvRmT0_T1_T2_T3_T4_T5_mmT6_P12ihipStream_tbEUlT_E0_NS1_11comp_targetILNS1_3genE0ELNS1_11target_archE4294967295ELNS1_3gpuE0ELNS1_3repE0EEENS1_30default_config_static_selectorELNS0_4arch9wavefront6targetE0EEEvS10_.kd
    .uniform_work_group_size: 1
    .uses_dynamic_stack: false
    .vgpr_count:     35
    .vgpr_spill_count: 0
    .wavefront_size: 32
  - .args:
      - .offset:         0
        .size:           112
        .value_kind:     by_value
    .group_segment_fixed_size: 0
    .kernarg_segment_align: 8
    .kernarg_segment_size: 112
    .language:       OpenCL C
    .language_version:
      - 2
      - 0
    .max_flat_workgroup_size: 256
    .name:           _ZN7rocprim17ROCPRIM_400000_NS6detail17trampoline_kernelINS0_14default_configENS1_21merge_config_selectorINS0_5tupleIJjjEEENS0_10empty_typeEEEZNS1_10merge_implIS3_NS0_12zip_iteratorINS5_IJN6thrust23THRUST_200600_302600_NS6detail15normal_iteratorINSC_10device_ptrIKjEEEESI_EEEEESK_NSA_INS5_IJNSE_INSF_IjEEEESM_EEEEEPS7_SP_SP_NSC_11hip_rocprim7__merge17predicate_wrapperIjjNSC_4lessIjEEEEEE10hipError_tPvRmT0_T1_T2_T3_T4_T5_mmT6_P12ihipStream_tbEUlT_E0_NS1_11comp_targetILNS1_3genE5ELNS1_11target_archE942ELNS1_3gpuE9ELNS1_3repE0EEENS1_30default_config_static_selectorELNS0_4arch9wavefront6targetE0EEEvS10_
    .private_segment_fixed_size: 0
    .sgpr_count:     0
    .sgpr_spill_count: 0
    .symbol:         _ZN7rocprim17ROCPRIM_400000_NS6detail17trampoline_kernelINS0_14default_configENS1_21merge_config_selectorINS0_5tupleIJjjEEENS0_10empty_typeEEEZNS1_10merge_implIS3_NS0_12zip_iteratorINS5_IJN6thrust23THRUST_200600_302600_NS6detail15normal_iteratorINSC_10device_ptrIKjEEEESI_EEEEESK_NSA_INS5_IJNSE_INSF_IjEEEESM_EEEEEPS7_SP_SP_NSC_11hip_rocprim7__merge17predicate_wrapperIjjNSC_4lessIjEEEEEE10hipError_tPvRmT0_T1_T2_T3_T4_T5_mmT6_P12ihipStream_tbEUlT_E0_NS1_11comp_targetILNS1_3genE5ELNS1_11target_archE942ELNS1_3gpuE9ELNS1_3repE0EEENS1_30default_config_static_selectorELNS0_4arch9wavefront6targetE0EEEvS10_.kd
    .uniform_work_group_size: 1
    .uses_dynamic_stack: false
    .vgpr_count:     0
    .vgpr_spill_count: 0
    .wavefront_size: 32
  - .args:
      - .offset:         0
        .size:           112
        .value_kind:     by_value
    .group_segment_fixed_size: 0
    .kernarg_segment_align: 8
    .kernarg_segment_size: 112
    .language:       OpenCL C
    .language_version:
      - 2
      - 0
    .max_flat_workgroup_size: 256
    .name:           _ZN7rocprim17ROCPRIM_400000_NS6detail17trampoline_kernelINS0_14default_configENS1_21merge_config_selectorINS0_5tupleIJjjEEENS0_10empty_typeEEEZNS1_10merge_implIS3_NS0_12zip_iteratorINS5_IJN6thrust23THRUST_200600_302600_NS6detail15normal_iteratorINSC_10device_ptrIKjEEEESI_EEEEESK_NSA_INS5_IJNSE_INSF_IjEEEESM_EEEEEPS7_SP_SP_NSC_11hip_rocprim7__merge17predicate_wrapperIjjNSC_4lessIjEEEEEE10hipError_tPvRmT0_T1_T2_T3_T4_T5_mmT6_P12ihipStream_tbEUlT_E0_NS1_11comp_targetILNS1_3genE4ELNS1_11target_archE910ELNS1_3gpuE8ELNS1_3repE0EEENS1_30default_config_static_selectorELNS0_4arch9wavefront6targetE0EEEvS10_
    .private_segment_fixed_size: 0
    .sgpr_count:     0
    .sgpr_spill_count: 0
    .symbol:         _ZN7rocprim17ROCPRIM_400000_NS6detail17trampoline_kernelINS0_14default_configENS1_21merge_config_selectorINS0_5tupleIJjjEEENS0_10empty_typeEEEZNS1_10merge_implIS3_NS0_12zip_iteratorINS5_IJN6thrust23THRUST_200600_302600_NS6detail15normal_iteratorINSC_10device_ptrIKjEEEESI_EEEEESK_NSA_INS5_IJNSE_INSF_IjEEEESM_EEEEEPS7_SP_SP_NSC_11hip_rocprim7__merge17predicate_wrapperIjjNSC_4lessIjEEEEEE10hipError_tPvRmT0_T1_T2_T3_T4_T5_mmT6_P12ihipStream_tbEUlT_E0_NS1_11comp_targetILNS1_3genE4ELNS1_11target_archE910ELNS1_3gpuE8ELNS1_3repE0EEENS1_30default_config_static_selectorELNS0_4arch9wavefront6targetE0EEEvS10_.kd
    .uniform_work_group_size: 1
    .uses_dynamic_stack: false
    .vgpr_count:     0
    .vgpr_spill_count: 0
    .wavefront_size: 32
  - .args:
      - .offset:         0
        .size:           112
        .value_kind:     by_value
    .group_segment_fixed_size: 0
    .kernarg_segment_align: 8
    .kernarg_segment_size: 112
    .language:       OpenCL C
    .language_version:
      - 2
      - 0
    .max_flat_workgroup_size: 256
    .name:           _ZN7rocprim17ROCPRIM_400000_NS6detail17trampoline_kernelINS0_14default_configENS1_21merge_config_selectorINS0_5tupleIJjjEEENS0_10empty_typeEEEZNS1_10merge_implIS3_NS0_12zip_iteratorINS5_IJN6thrust23THRUST_200600_302600_NS6detail15normal_iteratorINSC_10device_ptrIKjEEEESI_EEEEESK_NSA_INS5_IJNSE_INSF_IjEEEESM_EEEEEPS7_SP_SP_NSC_11hip_rocprim7__merge17predicate_wrapperIjjNSC_4lessIjEEEEEE10hipError_tPvRmT0_T1_T2_T3_T4_T5_mmT6_P12ihipStream_tbEUlT_E0_NS1_11comp_targetILNS1_3genE3ELNS1_11target_archE908ELNS1_3gpuE7ELNS1_3repE0EEENS1_30default_config_static_selectorELNS0_4arch9wavefront6targetE0EEEvS10_
    .private_segment_fixed_size: 0
    .sgpr_count:     0
    .sgpr_spill_count: 0
    .symbol:         _ZN7rocprim17ROCPRIM_400000_NS6detail17trampoline_kernelINS0_14default_configENS1_21merge_config_selectorINS0_5tupleIJjjEEENS0_10empty_typeEEEZNS1_10merge_implIS3_NS0_12zip_iteratorINS5_IJN6thrust23THRUST_200600_302600_NS6detail15normal_iteratorINSC_10device_ptrIKjEEEESI_EEEEESK_NSA_INS5_IJNSE_INSF_IjEEEESM_EEEEEPS7_SP_SP_NSC_11hip_rocprim7__merge17predicate_wrapperIjjNSC_4lessIjEEEEEE10hipError_tPvRmT0_T1_T2_T3_T4_T5_mmT6_P12ihipStream_tbEUlT_E0_NS1_11comp_targetILNS1_3genE3ELNS1_11target_archE908ELNS1_3gpuE7ELNS1_3repE0EEENS1_30default_config_static_selectorELNS0_4arch9wavefront6targetE0EEEvS10_.kd
    .uniform_work_group_size: 1
    .uses_dynamic_stack: false
    .vgpr_count:     0
    .vgpr_spill_count: 0
    .wavefront_size: 32
  - .args:
      - .offset:         0
        .size:           112
        .value_kind:     by_value
    .group_segment_fixed_size: 0
    .kernarg_segment_align: 8
    .kernarg_segment_size: 112
    .language:       OpenCL C
    .language_version:
      - 2
      - 0
    .max_flat_workgroup_size: 256
    .name:           _ZN7rocprim17ROCPRIM_400000_NS6detail17trampoline_kernelINS0_14default_configENS1_21merge_config_selectorINS0_5tupleIJjjEEENS0_10empty_typeEEEZNS1_10merge_implIS3_NS0_12zip_iteratorINS5_IJN6thrust23THRUST_200600_302600_NS6detail15normal_iteratorINSC_10device_ptrIKjEEEESI_EEEEESK_NSA_INS5_IJNSE_INSF_IjEEEESM_EEEEEPS7_SP_SP_NSC_11hip_rocprim7__merge17predicate_wrapperIjjNSC_4lessIjEEEEEE10hipError_tPvRmT0_T1_T2_T3_T4_T5_mmT6_P12ihipStream_tbEUlT_E0_NS1_11comp_targetILNS1_3genE2ELNS1_11target_archE906ELNS1_3gpuE6ELNS1_3repE0EEENS1_30default_config_static_selectorELNS0_4arch9wavefront6targetE0EEEvS10_
    .private_segment_fixed_size: 0
    .sgpr_count:     0
    .sgpr_spill_count: 0
    .symbol:         _ZN7rocprim17ROCPRIM_400000_NS6detail17trampoline_kernelINS0_14default_configENS1_21merge_config_selectorINS0_5tupleIJjjEEENS0_10empty_typeEEEZNS1_10merge_implIS3_NS0_12zip_iteratorINS5_IJN6thrust23THRUST_200600_302600_NS6detail15normal_iteratorINSC_10device_ptrIKjEEEESI_EEEEESK_NSA_INS5_IJNSE_INSF_IjEEEESM_EEEEEPS7_SP_SP_NSC_11hip_rocprim7__merge17predicate_wrapperIjjNSC_4lessIjEEEEEE10hipError_tPvRmT0_T1_T2_T3_T4_T5_mmT6_P12ihipStream_tbEUlT_E0_NS1_11comp_targetILNS1_3genE2ELNS1_11target_archE906ELNS1_3gpuE6ELNS1_3repE0EEENS1_30default_config_static_selectorELNS0_4arch9wavefront6targetE0EEEvS10_.kd
    .uniform_work_group_size: 1
    .uses_dynamic_stack: false
    .vgpr_count:     0
    .vgpr_spill_count: 0
    .wavefront_size: 32
  - .args:
      - .offset:         0
        .size:           112
        .value_kind:     by_value
    .group_segment_fixed_size: 0
    .kernarg_segment_align: 8
    .kernarg_segment_size: 112
    .language:       OpenCL C
    .language_version:
      - 2
      - 0
    .max_flat_workgroup_size: 512
    .name:           _ZN7rocprim17ROCPRIM_400000_NS6detail17trampoline_kernelINS0_14default_configENS1_21merge_config_selectorINS0_5tupleIJjjEEENS0_10empty_typeEEEZNS1_10merge_implIS3_NS0_12zip_iteratorINS5_IJN6thrust23THRUST_200600_302600_NS6detail15normal_iteratorINSC_10device_ptrIKjEEEESI_EEEEESK_NSA_INS5_IJNSE_INSF_IjEEEESM_EEEEEPS7_SP_SP_NSC_11hip_rocprim7__merge17predicate_wrapperIjjNSC_4lessIjEEEEEE10hipError_tPvRmT0_T1_T2_T3_T4_T5_mmT6_P12ihipStream_tbEUlT_E0_NS1_11comp_targetILNS1_3genE10ELNS1_11target_archE1201ELNS1_3gpuE5ELNS1_3repE0EEENS1_30default_config_static_selectorELNS0_4arch9wavefront6targetE0EEEvS10_
    .private_segment_fixed_size: 0
    .sgpr_count:     0
    .sgpr_spill_count: 0
    .symbol:         _ZN7rocprim17ROCPRIM_400000_NS6detail17trampoline_kernelINS0_14default_configENS1_21merge_config_selectorINS0_5tupleIJjjEEENS0_10empty_typeEEEZNS1_10merge_implIS3_NS0_12zip_iteratorINS5_IJN6thrust23THRUST_200600_302600_NS6detail15normal_iteratorINSC_10device_ptrIKjEEEESI_EEEEESK_NSA_INS5_IJNSE_INSF_IjEEEESM_EEEEEPS7_SP_SP_NSC_11hip_rocprim7__merge17predicate_wrapperIjjNSC_4lessIjEEEEEE10hipError_tPvRmT0_T1_T2_T3_T4_T5_mmT6_P12ihipStream_tbEUlT_E0_NS1_11comp_targetILNS1_3genE10ELNS1_11target_archE1201ELNS1_3gpuE5ELNS1_3repE0EEENS1_30default_config_static_selectorELNS0_4arch9wavefront6targetE0EEEvS10_.kd
    .uniform_work_group_size: 1
    .uses_dynamic_stack: false
    .vgpr_count:     0
    .vgpr_spill_count: 0
    .wavefront_size: 32
  - .args:
      - .offset:         0
        .size:           112
        .value_kind:     by_value
    .group_segment_fixed_size: 0
    .kernarg_segment_align: 8
    .kernarg_segment_size: 112
    .language:       OpenCL C
    .language_version:
      - 2
      - 0
    .max_flat_workgroup_size: 1024
    .name:           _ZN7rocprim17ROCPRIM_400000_NS6detail17trampoline_kernelINS0_14default_configENS1_21merge_config_selectorINS0_5tupleIJjjEEENS0_10empty_typeEEEZNS1_10merge_implIS3_NS0_12zip_iteratorINS5_IJN6thrust23THRUST_200600_302600_NS6detail15normal_iteratorINSC_10device_ptrIKjEEEESI_EEEEESK_NSA_INS5_IJNSE_INSF_IjEEEESM_EEEEEPS7_SP_SP_NSC_11hip_rocprim7__merge17predicate_wrapperIjjNSC_4lessIjEEEEEE10hipError_tPvRmT0_T1_T2_T3_T4_T5_mmT6_P12ihipStream_tbEUlT_E0_NS1_11comp_targetILNS1_3genE10ELNS1_11target_archE1200ELNS1_3gpuE4ELNS1_3repE0EEENS1_30default_config_static_selectorELNS0_4arch9wavefront6targetE0EEEvS10_
    .private_segment_fixed_size: 0
    .sgpr_count:     0
    .sgpr_spill_count: 0
    .symbol:         _ZN7rocprim17ROCPRIM_400000_NS6detail17trampoline_kernelINS0_14default_configENS1_21merge_config_selectorINS0_5tupleIJjjEEENS0_10empty_typeEEEZNS1_10merge_implIS3_NS0_12zip_iteratorINS5_IJN6thrust23THRUST_200600_302600_NS6detail15normal_iteratorINSC_10device_ptrIKjEEEESI_EEEEESK_NSA_INS5_IJNSE_INSF_IjEEEESM_EEEEEPS7_SP_SP_NSC_11hip_rocprim7__merge17predicate_wrapperIjjNSC_4lessIjEEEEEE10hipError_tPvRmT0_T1_T2_T3_T4_T5_mmT6_P12ihipStream_tbEUlT_E0_NS1_11comp_targetILNS1_3genE10ELNS1_11target_archE1200ELNS1_3gpuE4ELNS1_3repE0EEENS1_30default_config_static_selectorELNS0_4arch9wavefront6targetE0EEEvS10_.kd
    .uniform_work_group_size: 1
    .uses_dynamic_stack: false
    .vgpr_count:     0
    .vgpr_spill_count: 0
    .wavefront_size: 32
  - .args:
      - .offset:         0
        .size:           112
        .value_kind:     by_value
    .group_segment_fixed_size: 0
    .kernarg_segment_align: 8
    .kernarg_segment_size: 112
    .language:       OpenCL C
    .language_version:
      - 2
      - 0
    .max_flat_workgroup_size: 1024
    .name:           _ZN7rocprim17ROCPRIM_400000_NS6detail17trampoline_kernelINS0_14default_configENS1_21merge_config_selectorINS0_5tupleIJjjEEENS0_10empty_typeEEEZNS1_10merge_implIS3_NS0_12zip_iteratorINS5_IJN6thrust23THRUST_200600_302600_NS6detail15normal_iteratorINSC_10device_ptrIKjEEEESI_EEEEESK_NSA_INS5_IJNSE_INSF_IjEEEESM_EEEEEPS7_SP_SP_NSC_11hip_rocprim7__merge17predicate_wrapperIjjNSC_4lessIjEEEEEE10hipError_tPvRmT0_T1_T2_T3_T4_T5_mmT6_P12ihipStream_tbEUlT_E0_NS1_11comp_targetILNS1_3genE9ELNS1_11target_archE1100ELNS1_3gpuE3ELNS1_3repE0EEENS1_30default_config_static_selectorELNS0_4arch9wavefront6targetE0EEEvS10_
    .private_segment_fixed_size: 0
    .sgpr_count:     0
    .sgpr_spill_count: 0
    .symbol:         _ZN7rocprim17ROCPRIM_400000_NS6detail17trampoline_kernelINS0_14default_configENS1_21merge_config_selectorINS0_5tupleIJjjEEENS0_10empty_typeEEEZNS1_10merge_implIS3_NS0_12zip_iteratorINS5_IJN6thrust23THRUST_200600_302600_NS6detail15normal_iteratorINSC_10device_ptrIKjEEEESI_EEEEESK_NSA_INS5_IJNSE_INSF_IjEEEESM_EEEEEPS7_SP_SP_NSC_11hip_rocprim7__merge17predicate_wrapperIjjNSC_4lessIjEEEEEE10hipError_tPvRmT0_T1_T2_T3_T4_T5_mmT6_P12ihipStream_tbEUlT_E0_NS1_11comp_targetILNS1_3genE9ELNS1_11target_archE1100ELNS1_3gpuE3ELNS1_3repE0EEENS1_30default_config_static_selectorELNS0_4arch9wavefront6targetE0EEEvS10_.kd
    .uniform_work_group_size: 1
    .uses_dynamic_stack: false
    .vgpr_count:     0
    .vgpr_spill_count: 0
    .wavefront_size: 32
  - .args:
      - .offset:         0
        .size:           112
        .value_kind:     by_value
    .group_segment_fixed_size: 0
    .kernarg_segment_align: 8
    .kernarg_segment_size: 112
    .language:       OpenCL C
    .language_version:
      - 2
      - 0
    .max_flat_workgroup_size: 256
    .name:           _ZN7rocprim17ROCPRIM_400000_NS6detail17trampoline_kernelINS0_14default_configENS1_21merge_config_selectorINS0_5tupleIJjjEEENS0_10empty_typeEEEZNS1_10merge_implIS3_NS0_12zip_iteratorINS5_IJN6thrust23THRUST_200600_302600_NS6detail15normal_iteratorINSC_10device_ptrIKjEEEESI_EEEEESK_NSA_INS5_IJNSE_INSF_IjEEEESM_EEEEEPS7_SP_SP_NSC_11hip_rocprim7__merge17predicate_wrapperIjjNSC_4lessIjEEEEEE10hipError_tPvRmT0_T1_T2_T3_T4_T5_mmT6_P12ihipStream_tbEUlT_E0_NS1_11comp_targetILNS1_3genE8ELNS1_11target_archE1030ELNS1_3gpuE2ELNS1_3repE0EEENS1_30default_config_static_selectorELNS0_4arch9wavefront6targetE0EEEvS10_
    .private_segment_fixed_size: 0
    .sgpr_count:     0
    .sgpr_spill_count: 0
    .symbol:         _ZN7rocprim17ROCPRIM_400000_NS6detail17trampoline_kernelINS0_14default_configENS1_21merge_config_selectorINS0_5tupleIJjjEEENS0_10empty_typeEEEZNS1_10merge_implIS3_NS0_12zip_iteratorINS5_IJN6thrust23THRUST_200600_302600_NS6detail15normal_iteratorINSC_10device_ptrIKjEEEESI_EEEEESK_NSA_INS5_IJNSE_INSF_IjEEEESM_EEEEEPS7_SP_SP_NSC_11hip_rocprim7__merge17predicate_wrapperIjjNSC_4lessIjEEEEEE10hipError_tPvRmT0_T1_T2_T3_T4_T5_mmT6_P12ihipStream_tbEUlT_E0_NS1_11comp_targetILNS1_3genE8ELNS1_11target_archE1030ELNS1_3gpuE2ELNS1_3repE0EEENS1_30default_config_static_selectorELNS0_4arch9wavefront6targetE0EEEvS10_.kd
    .uniform_work_group_size: 1
    .uses_dynamic_stack: false
    .vgpr_count:     0
    .vgpr_spill_count: 0
    .wavefront_size: 32
  - .args:
      - .offset:         0
        .size:           104
        .value_kind:     by_value
    .group_segment_fixed_size: 128
    .kernarg_segment_align: 8
    .kernarg_segment_size: 104
    .language:       OpenCL C
    .language_version:
      - 2
      - 0
    .max_flat_workgroup_size: 128
    .name:           _ZN7rocprim17ROCPRIM_400000_NS6detail17trampoline_kernelINS0_14default_configENS1_22reduce_config_selectorIN6thrust23THRUST_200600_302600_NS5tupleIblNS6_9null_typeES8_S8_S8_S8_S8_S8_S8_EEEEZNS1_11reduce_implILb1ES3_NS6_12zip_iteratorINS7_INS6_11hip_rocprim26transform_input_iterator_tIbNSD_35transform_pair_of_input_iterators_tIbNS6_6detail15normal_iteratorINS6_10device_ptrIKjEEEESL_NS6_8equal_toIjEEEENSG_9not_fun_tINSD_8identityEEEEENSD_19counting_iterator_tIlEES8_S8_S8_S8_S8_S8_S8_S8_EEEEPS9_S9_NSD_9__find_if7functorIS9_EEEE10hipError_tPvRmT1_T2_T3_mT4_P12ihipStream_tbEUlT_E0_NS1_11comp_targetILNS1_3genE0ELNS1_11target_archE4294967295ELNS1_3gpuE0ELNS1_3repE0EEENS1_30default_config_static_selectorELNS0_4arch9wavefront6targetE0EEEvS14_
    .private_segment_fixed_size: 0
    .sgpr_count:     30
    .sgpr_spill_count: 0
    .symbol:         _ZN7rocprim17ROCPRIM_400000_NS6detail17trampoline_kernelINS0_14default_configENS1_22reduce_config_selectorIN6thrust23THRUST_200600_302600_NS5tupleIblNS6_9null_typeES8_S8_S8_S8_S8_S8_S8_EEEEZNS1_11reduce_implILb1ES3_NS6_12zip_iteratorINS7_INS6_11hip_rocprim26transform_input_iterator_tIbNSD_35transform_pair_of_input_iterators_tIbNS6_6detail15normal_iteratorINS6_10device_ptrIKjEEEESL_NS6_8equal_toIjEEEENSG_9not_fun_tINSD_8identityEEEEENSD_19counting_iterator_tIlEES8_S8_S8_S8_S8_S8_S8_S8_EEEEPS9_S9_NSD_9__find_if7functorIS9_EEEE10hipError_tPvRmT1_T2_T3_mT4_P12ihipStream_tbEUlT_E0_NS1_11comp_targetILNS1_3genE0ELNS1_11target_archE4294967295ELNS1_3gpuE0ELNS1_3repE0EEENS1_30default_config_static_selectorELNS0_4arch9wavefront6targetE0EEEvS14_.kd
    .uniform_work_group_size: 1
    .uses_dynamic_stack: false
    .vgpr_count:     14
    .vgpr_spill_count: 0
    .wavefront_size: 32
  - .args:
      - .offset:         0
        .size:           104
        .value_kind:     by_value
    .group_segment_fixed_size: 0
    .kernarg_segment_align: 8
    .kernarg_segment_size: 104
    .language:       OpenCL C
    .language_version:
      - 2
      - 0
    .max_flat_workgroup_size: 256
    .name:           _ZN7rocprim17ROCPRIM_400000_NS6detail17trampoline_kernelINS0_14default_configENS1_22reduce_config_selectorIN6thrust23THRUST_200600_302600_NS5tupleIblNS6_9null_typeES8_S8_S8_S8_S8_S8_S8_EEEEZNS1_11reduce_implILb1ES3_NS6_12zip_iteratorINS7_INS6_11hip_rocprim26transform_input_iterator_tIbNSD_35transform_pair_of_input_iterators_tIbNS6_6detail15normal_iteratorINS6_10device_ptrIKjEEEESL_NS6_8equal_toIjEEEENSG_9not_fun_tINSD_8identityEEEEENSD_19counting_iterator_tIlEES8_S8_S8_S8_S8_S8_S8_S8_EEEEPS9_S9_NSD_9__find_if7functorIS9_EEEE10hipError_tPvRmT1_T2_T3_mT4_P12ihipStream_tbEUlT_E0_NS1_11comp_targetILNS1_3genE5ELNS1_11target_archE942ELNS1_3gpuE9ELNS1_3repE0EEENS1_30default_config_static_selectorELNS0_4arch9wavefront6targetE0EEEvS14_
    .private_segment_fixed_size: 0
    .sgpr_count:     0
    .sgpr_spill_count: 0
    .symbol:         _ZN7rocprim17ROCPRIM_400000_NS6detail17trampoline_kernelINS0_14default_configENS1_22reduce_config_selectorIN6thrust23THRUST_200600_302600_NS5tupleIblNS6_9null_typeES8_S8_S8_S8_S8_S8_S8_EEEEZNS1_11reduce_implILb1ES3_NS6_12zip_iteratorINS7_INS6_11hip_rocprim26transform_input_iterator_tIbNSD_35transform_pair_of_input_iterators_tIbNS6_6detail15normal_iteratorINS6_10device_ptrIKjEEEESL_NS6_8equal_toIjEEEENSG_9not_fun_tINSD_8identityEEEEENSD_19counting_iterator_tIlEES8_S8_S8_S8_S8_S8_S8_S8_EEEEPS9_S9_NSD_9__find_if7functorIS9_EEEE10hipError_tPvRmT1_T2_T3_mT4_P12ihipStream_tbEUlT_E0_NS1_11comp_targetILNS1_3genE5ELNS1_11target_archE942ELNS1_3gpuE9ELNS1_3repE0EEENS1_30default_config_static_selectorELNS0_4arch9wavefront6targetE0EEEvS14_.kd
    .uniform_work_group_size: 1
    .uses_dynamic_stack: false
    .vgpr_count:     0
    .vgpr_spill_count: 0
    .wavefront_size: 32
  - .args:
      - .offset:         0
        .size:           104
        .value_kind:     by_value
    .group_segment_fixed_size: 0
    .kernarg_segment_align: 8
    .kernarg_segment_size: 104
    .language:       OpenCL C
    .language_version:
      - 2
      - 0
    .max_flat_workgroup_size: 256
    .name:           _ZN7rocprim17ROCPRIM_400000_NS6detail17trampoline_kernelINS0_14default_configENS1_22reduce_config_selectorIN6thrust23THRUST_200600_302600_NS5tupleIblNS6_9null_typeES8_S8_S8_S8_S8_S8_S8_EEEEZNS1_11reduce_implILb1ES3_NS6_12zip_iteratorINS7_INS6_11hip_rocprim26transform_input_iterator_tIbNSD_35transform_pair_of_input_iterators_tIbNS6_6detail15normal_iteratorINS6_10device_ptrIKjEEEESL_NS6_8equal_toIjEEEENSG_9not_fun_tINSD_8identityEEEEENSD_19counting_iterator_tIlEES8_S8_S8_S8_S8_S8_S8_S8_EEEEPS9_S9_NSD_9__find_if7functorIS9_EEEE10hipError_tPvRmT1_T2_T3_mT4_P12ihipStream_tbEUlT_E0_NS1_11comp_targetILNS1_3genE4ELNS1_11target_archE910ELNS1_3gpuE8ELNS1_3repE0EEENS1_30default_config_static_selectorELNS0_4arch9wavefront6targetE0EEEvS14_
    .private_segment_fixed_size: 0
    .sgpr_count:     0
    .sgpr_spill_count: 0
    .symbol:         _ZN7rocprim17ROCPRIM_400000_NS6detail17trampoline_kernelINS0_14default_configENS1_22reduce_config_selectorIN6thrust23THRUST_200600_302600_NS5tupleIblNS6_9null_typeES8_S8_S8_S8_S8_S8_S8_EEEEZNS1_11reduce_implILb1ES3_NS6_12zip_iteratorINS7_INS6_11hip_rocprim26transform_input_iterator_tIbNSD_35transform_pair_of_input_iterators_tIbNS6_6detail15normal_iteratorINS6_10device_ptrIKjEEEESL_NS6_8equal_toIjEEEENSG_9not_fun_tINSD_8identityEEEEENSD_19counting_iterator_tIlEES8_S8_S8_S8_S8_S8_S8_S8_EEEEPS9_S9_NSD_9__find_if7functorIS9_EEEE10hipError_tPvRmT1_T2_T3_mT4_P12ihipStream_tbEUlT_E0_NS1_11comp_targetILNS1_3genE4ELNS1_11target_archE910ELNS1_3gpuE8ELNS1_3repE0EEENS1_30default_config_static_selectorELNS0_4arch9wavefront6targetE0EEEvS14_.kd
    .uniform_work_group_size: 1
    .uses_dynamic_stack: false
    .vgpr_count:     0
    .vgpr_spill_count: 0
    .wavefront_size: 32
  - .args:
      - .offset:         0
        .size:           104
        .value_kind:     by_value
    .group_segment_fixed_size: 0
    .kernarg_segment_align: 8
    .kernarg_segment_size: 104
    .language:       OpenCL C
    .language_version:
      - 2
      - 0
    .max_flat_workgroup_size: 128
    .name:           _ZN7rocprim17ROCPRIM_400000_NS6detail17trampoline_kernelINS0_14default_configENS1_22reduce_config_selectorIN6thrust23THRUST_200600_302600_NS5tupleIblNS6_9null_typeES8_S8_S8_S8_S8_S8_S8_EEEEZNS1_11reduce_implILb1ES3_NS6_12zip_iteratorINS7_INS6_11hip_rocprim26transform_input_iterator_tIbNSD_35transform_pair_of_input_iterators_tIbNS6_6detail15normal_iteratorINS6_10device_ptrIKjEEEESL_NS6_8equal_toIjEEEENSG_9not_fun_tINSD_8identityEEEEENSD_19counting_iterator_tIlEES8_S8_S8_S8_S8_S8_S8_S8_EEEEPS9_S9_NSD_9__find_if7functorIS9_EEEE10hipError_tPvRmT1_T2_T3_mT4_P12ihipStream_tbEUlT_E0_NS1_11comp_targetILNS1_3genE3ELNS1_11target_archE908ELNS1_3gpuE7ELNS1_3repE0EEENS1_30default_config_static_selectorELNS0_4arch9wavefront6targetE0EEEvS14_
    .private_segment_fixed_size: 0
    .sgpr_count:     0
    .sgpr_spill_count: 0
    .symbol:         _ZN7rocprim17ROCPRIM_400000_NS6detail17trampoline_kernelINS0_14default_configENS1_22reduce_config_selectorIN6thrust23THRUST_200600_302600_NS5tupleIblNS6_9null_typeES8_S8_S8_S8_S8_S8_S8_EEEEZNS1_11reduce_implILb1ES3_NS6_12zip_iteratorINS7_INS6_11hip_rocprim26transform_input_iterator_tIbNSD_35transform_pair_of_input_iterators_tIbNS6_6detail15normal_iteratorINS6_10device_ptrIKjEEEESL_NS6_8equal_toIjEEEENSG_9not_fun_tINSD_8identityEEEEENSD_19counting_iterator_tIlEES8_S8_S8_S8_S8_S8_S8_S8_EEEEPS9_S9_NSD_9__find_if7functorIS9_EEEE10hipError_tPvRmT1_T2_T3_mT4_P12ihipStream_tbEUlT_E0_NS1_11comp_targetILNS1_3genE3ELNS1_11target_archE908ELNS1_3gpuE7ELNS1_3repE0EEENS1_30default_config_static_selectorELNS0_4arch9wavefront6targetE0EEEvS14_.kd
    .uniform_work_group_size: 1
    .uses_dynamic_stack: false
    .vgpr_count:     0
    .vgpr_spill_count: 0
    .wavefront_size: 32
  - .args:
      - .offset:         0
        .size:           104
        .value_kind:     by_value
    .group_segment_fixed_size: 0
    .kernarg_segment_align: 8
    .kernarg_segment_size: 104
    .language:       OpenCL C
    .language_version:
      - 2
      - 0
    .max_flat_workgroup_size: 128
    .name:           _ZN7rocprim17ROCPRIM_400000_NS6detail17trampoline_kernelINS0_14default_configENS1_22reduce_config_selectorIN6thrust23THRUST_200600_302600_NS5tupleIblNS6_9null_typeES8_S8_S8_S8_S8_S8_S8_EEEEZNS1_11reduce_implILb1ES3_NS6_12zip_iteratorINS7_INS6_11hip_rocprim26transform_input_iterator_tIbNSD_35transform_pair_of_input_iterators_tIbNS6_6detail15normal_iteratorINS6_10device_ptrIKjEEEESL_NS6_8equal_toIjEEEENSG_9not_fun_tINSD_8identityEEEEENSD_19counting_iterator_tIlEES8_S8_S8_S8_S8_S8_S8_S8_EEEEPS9_S9_NSD_9__find_if7functorIS9_EEEE10hipError_tPvRmT1_T2_T3_mT4_P12ihipStream_tbEUlT_E0_NS1_11comp_targetILNS1_3genE2ELNS1_11target_archE906ELNS1_3gpuE6ELNS1_3repE0EEENS1_30default_config_static_selectorELNS0_4arch9wavefront6targetE0EEEvS14_
    .private_segment_fixed_size: 0
    .sgpr_count:     0
    .sgpr_spill_count: 0
    .symbol:         _ZN7rocprim17ROCPRIM_400000_NS6detail17trampoline_kernelINS0_14default_configENS1_22reduce_config_selectorIN6thrust23THRUST_200600_302600_NS5tupleIblNS6_9null_typeES8_S8_S8_S8_S8_S8_S8_EEEEZNS1_11reduce_implILb1ES3_NS6_12zip_iteratorINS7_INS6_11hip_rocprim26transform_input_iterator_tIbNSD_35transform_pair_of_input_iterators_tIbNS6_6detail15normal_iteratorINS6_10device_ptrIKjEEEESL_NS6_8equal_toIjEEEENSG_9not_fun_tINSD_8identityEEEEENSD_19counting_iterator_tIlEES8_S8_S8_S8_S8_S8_S8_S8_EEEEPS9_S9_NSD_9__find_if7functorIS9_EEEE10hipError_tPvRmT1_T2_T3_mT4_P12ihipStream_tbEUlT_E0_NS1_11comp_targetILNS1_3genE2ELNS1_11target_archE906ELNS1_3gpuE6ELNS1_3repE0EEENS1_30default_config_static_selectorELNS0_4arch9wavefront6targetE0EEEvS14_.kd
    .uniform_work_group_size: 1
    .uses_dynamic_stack: false
    .vgpr_count:     0
    .vgpr_spill_count: 0
    .wavefront_size: 32
  - .args:
      - .offset:         0
        .size:           104
        .value_kind:     by_value
    .group_segment_fixed_size: 0
    .kernarg_segment_align: 8
    .kernarg_segment_size: 104
    .language:       OpenCL C
    .language_version:
      - 2
      - 0
    .max_flat_workgroup_size: 256
    .name:           _ZN7rocprim17ROCPRIM_400000_NS6detail17trampoline_kernelINS0_14default_configENS1_22reduce_config_selectorIN6thrust23THRUST_200600_302600_NS5tupleIblNS6_9null_typeES8_S8_S8_S8_S8_S8_S8_EEEEZNS1_11reduce_implILb1ES3_NS6_12zip_iteratorINS7_INS6_11hip_rocprim26transform_input_iterator_tIbNSD_35transform_pair_of_input_iterators_tIbNS6_6detail15normal_iteratorINS6_10device_ptrIKjEEEESL_NS6_8equal_toIjEEEENSG_9not_fun_tINSD_8identityEEEEENSD_19counting_iterator_tIlEES8_S8_S8_S8_S8_S8_S8_S8_EEEEPS9_S9_NSD_9__find_if7functorIS9_EEEE10hipError_tPvRmT1_T2_T3_mT4_P12ihipStream_tbEUlT_E0_NS1_11comp_targetILNS1_3genE10ELNS1_11target_archE1201ELNS1_3gpuE5ELNS1_3repE0EEENS1_30default_config_static_selectorELNS0_4arch9wavefront6targetE0EEEvS14_
    .private_segment_fixed_size: 0
    .sgpr_count:     0
    .sgpr_spill_count: 0
    .symbol:         _ZN7rocprim17ROCPRIM_400000_NS6detail17trampoline_kernelINS0_14default_configENS1_22reduce_config_selectorIN6thrust23THRUST_200600_302600_NS5tupleIblNS6_9null_typeES8_S8_S8_S8_S8_S8_S8_EEEEZNS1_11reduce_implILb1ES3_NS6_12zip_iteratorINS7_INS6_11hip_rocprim26transform_input_iterator_tIbNSD_35transform_pair_of_input_iterators_tIbNS6_6detail15normal_iteratorINS6_10device_ptrIKjEEEESL_NS6_8equal_toIjEEEENSG_9not_fun_tINSD_8identityEEEEENSD_19counting_iterator_tIlEES8_S8_S8_S8_S8_S8_S8_S8_EEEEPS9_S9_NSD_9__find_if7functorIS9_EEEE10hipError_tPvRmT1_T2_T3_mT4_P12ihipStream_tbEUlT_E0_NS1_11comp_targetILNS1_3genE10ELNS1_11target_archE1201ELNS1_3gpuE5ELNS1_3repE0EEENS1_30default_config_static_selectorELNS0_4arch9wavefront6targetE0EEEvS14_.kd
    .uniform_work_group_size: 1
    .uses_dynamic_stack: false
    .vgpr_count:     0
    .vgpr_spill_count: 0
    .wavefront_size: 32
  - .args:
      - .offset:         0
        .size:           104
        .value_kind:     by_value
    .group_segment_fixed_size: 0
    .kernarg_segment_align: 8
    .kernarg_segment_size: 104
    .language:       OpenCL C
    .language_version:
      - 2
      - 0
    .max_flat_workgroup_size: 256
    .name:           _ZN7rocprim17ROCPRIM_400000_NS6detail17trampoline_kernelINS0_14default_configENS1_22reduce_config_selectorIN6thrust23THRUST_200600_302600_NS5tupleIblNS6_9null_typeES8_S8_S8_S8_S8_S8_S8_EEEEZNS1_11reduce_implILb1ES3_NS6_12zip_iteratorINS7_INS6_11hip_rocprim26transform_input_iterator_tIbNSD_35transform_pair_of_input_iterators_tIbNS6_6detail15normal_iteratorINS6_10device_ptrIKjEEEESL_NS6_8equal_toIjEEEENSG_9not_fun_tINSD_8identityEEEEENSD_19counting_iterator_tIlEES8_S8_S8_S8_S8_S8_S8_S8_EEEEPS9_S9_NSD_9__find_if7functorIS9_EEEE10hipError_tPvRmT1_T2_T3_mT4_P12ihipStream_tbEUlT_E0_NS1_11comp_targetILNS1_3genE10ELNS1_11target_archE1200ELNS1_3gpuE4ELNS1_3repE0EEENS1_30default_config_static_selectorELNS0_4arch9wavefront6targetE0EEEvS14_
    .private_segment_fixed_size: 0
    .sgpr_count:     0
    .sgpr_spill_count: 0
    .symbol:         _ZN7rocprim17ROCPRIM_400000_NS6detail17trampoline_kernelINS0_14default_configENS1_22reduce_config_selectorIN6thrust23THRUST_200600_302600_NS5tupleIblNS6_9null_typeES8_S8_S8_S8_S8_S8_S8_EEEEZNS1_11reduce_implILb1ES3_NS6_12zip_iteratorINS7_INS6_11hip_rocprim26transform_input_iterator_tIbNSD_35transform_pair_of_input_iterators_tIbNS6_6detail15normal_iteratorINS6_10device_ptrIKjEEEESL_NS6_8equal_toIjEEEENSG_9not_fun_tINSD_8identityEEEEENSD_19counting_iterator_tIlEES8_S8_S8_S8_S8_S8_S8_S8_EEEEPS9_S9_NSD_9__find_if7functorIS9_EEEE10hipError_tPvRmT1_T2_T3_mT4_P12ihipStream_tbEUlT_E0_NS1_11comp_targetILNS1_3genE10ELNS1_11target_archE1200ELNS1_3gpuE4ELNS1_3repE0EEENS1_30default_config_static_selectorELNS0_4arch9wavefront6targetE0EEEvS14_.kd
    .uniform_work_group_size: 1
    .uses_dynamic_stack: false
    .vgpr_count:     0
    .vgpr_spill_count: 0
    .wavefront_size: 32
  - .args:
      - .offset:         0
        .size:           104
        .value_kind:     by_value
    .group_segment_fixed_size: 0
    .kernarg_segment_align: 8
    .kernarg_segment_size: 104
    .language:       OpenCL C
    .language_version:
      - 2
      - 0
    .max_flat_workgroup_size: 256
    .name:           _ZN7rocprim17ROCPRIM_400000_NS6detail17trampoline_kernelINS0_14default_configENS1_22reduce_config_selectorIN6thrust23THRUST_200600_302600_NS5tupleIblNS6_9null_typeES8_S8_S8_S8_S8_S8_S8_EEEEZNS1_11reduce_implILb1ES3_NS6_12zip_iteratorINS7_INS6_11hip_rocprim26transform_input_iterator_tIbNSD_35transform_pair_of_input_iterators_tIbNS6_6detail15normal_iteratorINS6_10device_ptrIKjEEEESL_NS6_8equal_toIjEEEENSG_9not_fun_tINSD_8identityEEEEENSD_19counting_iterator_tIlEES8_S8_S8_S8_S8_S8_S8_S8_EEEEPS9_S9_NSD_9__find_if7functorIS9_EEEE10hipError_tPvRmT1_T2_T3_mT4_P12ihipStream_tbEUlT_E0_NS1_11comp_targetILNS1_3genE9ELNS1_11target_archE1100ELNS1_3gpuE3ELNS1_3repE0EEENS1_30default_config_static_selectorELNS0_4arch9wavefront6targetE0EEEvS14_
    .private_segment_fixed_size: 0
    .sgpr_count:     0
    .sgpr_spill_count: 0
    .symbol:         _ZN7rocprim17ROCPRIM_400000_NS6detail17trampoline_kernelINS0_14default_configENS1_22reduce_config_selectorIN6thrust23THRUST_200600_302600_NS5tupleIblNS6_9null_typeES8_S8_S8_S8_S8_S8_S8_EEEEZNS1_11reduce_implILb1ES3_NS6_12zip_iteratorINS7_INS6_11hip_rocprim26transform_input_iterator_tIbNSD_35transform_pair_of_input_iterators_tIbNS6_6detail15normal_iteratorINS6_10device_ptrIKjEEEESL_NS6_8equal_toIjEEEENSG_9not_fun_tINSD_8identityEEEEENSD_19counting_iterator_tIlEES8_S8_S8_S8_S8_S8_S8_S8_EEEEPS9_S9_NSD_9__find_if7functorIS9_EEEE10hipError_tPvRmT1_T2_T3_mT4_P12ihipStream_tbEUlT_E0_NS1_11comp_targetILNS1_3genE9ELNS1_11target_archE1100ELNS1_3gpuE3ELNS1_3repE0EEENS1_30default_config_static_selectorELNS0_4arch9wavefront6targetE0EEEvS14_.kd
    .uniform_work_group_size: 1
    .uses_dynamic_stack: false
    .vgpr_count:     0
    .vgpr_spill_count: 0
    .wavefront_size: 32
  - .args:
      - .offset:         0
        .size:           104
        .value_kind:     by_value
    .group_segment_fixed_size: 0
    .kernarg_segment_align: 8
    .kernarg_segment_size: 104
    .language:       OpenCL C
    .language_version:
      - 2
      - 0
    .max_flat_workgroup_size: 256
    .name:           _ZN7rocprim17ROCPRIM_400000_NS6detail17trampoline_kernelINS0_14default_configENS1_22reduce_config_selectorIN6thrust23THRUST_200600_302600_NS5tupleIblNS6_9null_typeES8_S8_S8_S8_S8_S8_S8_EEEEZNS1_11reduce_implILb1ES3_NS6_12zip_iteratorINS7_INS6_11hip_rocprim26transform_input_iterator_tIbNSD_35transform_pair_of_input_iterators_tIbNS6_6detail15normal_iteratorINS6_10device_ptrIKjEEEESL_NS6_8equal_toIjEEEENSG_9not_fun_tINSD_8identityEEEEENSD_19counting_iterator_tIlEES8_S8_S8_S8_S8_S8_S8_S8_EEEEPS9_S9_NSD_9__find_if7functorIS9_EEEE10hipError_tPvRmT1_T2_T3_mT4_P12ihipStream_tbEUlT_E0_NS1_11comp_targetILNS1_3genE8ELNS1_11target_archE1030ELNS1_3gpuE2ELNS1_3repE0EEENS1_30default_config_static_selectorELNS0_4arch9wavefront6targetE0EEEvS14_
    .private_segment_fixed_size: 0
    .sgpr_count:     0
    .sgpr_spill_count: 0
    .symbol:         _ZN7rocprim17ROCPRIM_400000_NS6detail17trampoline_kernelINS0_14default_configENS1_22reduce_config_selectorIN6thrust23THRUST_200600_302600_NS5tupleIblNS6_9null_typeES8_S8_S8_S8_S8_S8_S8_EEEEZNS1_11reduce_implILb1ES3_NS6_12zip_iteratorINS7_INS6_11hip_rocprim26transform_input_iterator_tIbNSD_35transform_pair_of_input_iterators_tIbNS6_6detail15normal_iteratorINS6_10device_ptrIKjEEEESL_NS6_8equal_toIjEEEENSG_9not_fun_tINSD_8identityEEEEENSD_19counting_iterator_tIlEES8_S8_S8_S8_S8_S8_S8_S8_EEEEPS9_S9_NSD_9__find_if7functorIS9_EEEE10hipError_tPvRmT1_T2_T3_mT4_P12ihipStream_tbEUlT_E0_NS1_11comp_targetILNS1_3genE8ELNS1_11target_archE1030ELNS1_3gpuE2ELNS1_3repE0EEENS1_30default_config_static_selectorELNS0_4arch9wavefront6targetE0EEEvS14_.kd
    .uniform_work_group_size: 1
    .uses_dynamic_stack: false
    .vgpr_count:     0
    .vgpr_spill_count: 0
    .wavefront_size: 32
  - .args:
      - .offset:         0
        .size:           88
        .value_kind:     by_value
    .group_segment_fixed_size: 320
    .kernarg_segment_align: 8
    .kernarg_segment_size: 88
    .language:       OpenCL C
    .language_version:
      - 2
      - 0
    .max_flat_workgroup_size: 128
    .name:           _ZN7rocprim17ROCPRIM_400000_NS6detail17trampoline_kernelINS0_14default_configENS1_22reduce_config_selectorIN6thrust23THRUST_200600_302600_NS5tupleIblNS6_9null_typeES8_S8_S8_S8_S8_S8_S8_EEEEZNS1_11reduce_implILb1ES3_NS6_12zip_iteratorINS7_INS6_11hip_rocprim26transform_input_iterator_tIbNSD_35transform_pair_of_input_iterators_tIbNS6_6detail15normal_iteratorINS6_10device_ptrIKjEEEESL_NS6_8equal_toIjEEEENSG_9not_fun_tINSD_8identityEEEEENSD_19counting_iterator_tIlEES8_S8_S8_S8_S8_S8_S8_S8_EEEEPS9_S9_NSD_9__find_if7functorIS9_EEEE10hipError_tPvRmT1_T2_T3_mT4_P12ihipStream_tbEUlT_E1_NS1_11comp_targetILNS1_3genE0ELNS1_11target_archE4294967295ELNS1_3gpuE0ELNS1_3repE0EEENS1_30default_config_static_selectorELNS0_4arch9wavefront6targetE0EEEvS14_
    .private_segment_fixed_size: 0
    .sgpr_count:     30
    .sgpr_spill_count: 0
    .symbol:         _ZN7rocprim17ROCPRIM_400000_NS6detail17trampoline_kernelINS0_14default_configENS1_22reduce_config_selectorIN6thrust23THRUST_200600_302600_NS5tupleIblNS6_9null_typeES8_S8_S8_S8_S8_S8_S8_EEEEZNS1_11reduce_implILb1ES3_NS6_12zip_iteratorINS7_INS6_11hip_rocprim26transform_input_iterator_tIbNSD_35transform_pair_of_input_iterators_tIbNS6_6detail15normal_iteratorINS6_10device_ptrIKjEEEESL_NS6_8equal_toIjEEEENSG_9not_fun_tINSD_8identityEEEEENSD_19counting_iterator_tIlEES8_S8_S8_S8_S8_S8_S8_S8_EEEEPS9_S9_NSD_9__find_if7functorIS9_EEEE10hipError_tPvRmT1_T2_T3_mT4_P12ihipStream_tbEUlT_E1_NS1_11comp_targetILNS1_3genE0ELNS1_11target_archE4294967295ELNS1_3gpuE0ELNS1_3repE0EEENS1_30default_config_static_selectorELNS0_4arch9wavefront6targetE0EEEvS14_.kd
    .uniform_work_group_size: 1
    .uses_dynamic_stack: false
    .vgpr_count:     28
    .vgpr_spill_count: 0
    .wavefront_size: 32
  - .args:
      - .offset:         0
        .size:           88
        .value_kind:     by_value
    .group_segment_fixed_size: 0
    .kernarg_segment_align: 8
    .kernarg_segment_size: 88
    .language:       OpenCL C
    .language_version:
      - 2
      - 0
    .max_flat_workgroup_size: 256
    .name:           _ZN7rocprim17ROCPRIM_400000_NS6detail17trampoline_kernelINS0_14default_configENS1_22reduce_config_selectorIN6thrust23THRUST_200600_302600_NS5tupleIblNS6_9null_typeES8_S8_S8_S8_S8_S8_S8_EEEEZNS1_11reduce_implILb1ES3_NS6_12zip_iteratorINS7_INS6_11hip_rocprim26transform_input_iterator_tIbNSD_35transform_pair_of_input_iterators_tIbNS6_6detail15normal_iteratorINS6_10device_ptrIKjEEEESL_NS6_8equal_toIjEEEENSG_9not_fun_tINSD_8identityEEEEENSD_19counting_iterator_tIlEES8_S8_S8_S8_S8_S8_S8_S8_EEEEPS9_S9_NSD_9__find_if7functorIS9_EEEE10hipError_tPvRmT1_T2_T3_mT4_P12ihipStream_tbEUlT_E1_NS1_11comp_targetILNS1_3genE5ELNS1_11target_archE942ELNS1_3gpuE9ELNS1_3repE0EEENS1_30default_config_static_selectorELNS0_4arch9wavefront6targetE0EEEvS14_
    .private_segment_fixed_size: 0
    .sgpr_count:     0
    .sgpr_spill_count: 0
    .symbol:         _ZN7rocprim17ROCPRIM_400000_NS6detail17trampoline_kernelINS0_14default_configENS1_22reduce_config_selectorIN6thrust23THRUST_200600_302600_NS5tupleIblNS6_9null_typeES8_S8_S8_S8_S8_S8_S8_EEEEZNS1_11reduce_implILb1ES3_NS6_12zip_iteratorINS7_INS6_11hip_rocprim26transform_input_iterator_tIbNSD_35transform_pair_of_input_iterators_tIbNS6_6detail15normal_iteratorINS6_10device_ptrIKjEEEESL_NS6_8equal_toIjEEEENSG_9not_fun_tINSD_8identityEEEEENSD_19counting_iterator_tIlEES8_S8_S8_S8_S8_S8_S8_S8_EEEEPS9_S9_NSD_9__find_if7functorIS9_EEEE10hipError_tPvRmT1_T2_T3_mT4_P12ihipStream_tbEUlT_E1_NS1_11comp_targetILNS1_3genE5ELNS1_11target_archE942ELNS1_3gpuE9ELNS1_3repE0EEENS1_30default_config_static_selectorELNS0_4arch9wavefront6targetE0EEEvS14_.kd
    .uniform_work_group_size: 1
    .uses_dynamic_stack: false
    .vgpr_count:     0
    .vgpr_spill_count: 0
    .wavefront_size: 32
  - .args:
      - .offset:         0
        .size:           88
        .value_kind:     by_value
    .group_segment_fixed_size: 0
    .kernarg_segment_align: 8
    .kernarg_segment_size: 88
    .language:       OpenCL C
    .language_version:
      - 2
      - 0
    .max_flat_workgroup_size: 256
    .name:           _ZN7rocprim17ROCPRIM_400000_NS6detail17trampoline_kernelINS0_14default_configENS1_22reduce_config_selectorIN6thrust23THRUST_200600_302600_NS5tupleIblNS6_9null_typeES8_S8_S8_S8_S8_S8_S8_EEEEZNS1_11reduce_implILb1ES3_NS6_12zip_iteratorINS7_INS6_11hip_rocprim26transform_input_iterator_tIbNSD_35transform_pair_of_input_iterators_tIbNS6_6detail15normal_iteratorINS6_10device_ptrIKjEEEESL_NS6_8equal_toIjEEEENSG_9not_fun_tINSD_8identityEEEEENSD_19counting_iterator_tIlEES8_S8_S8_S8_S8_S8_S8_S8_EEEEPS9_S9_NSD_9__find_if7functorIS9_EEEE10hipError_tPvRmT1_T2_T3_mT4_P12ihipStream_tbEUlT_E1_NS1_11comp_targetILNS1_3genE4ELNS1_11target_archE910ELNS1_3gpuE8ELNS1_3repE0EEENS1_30default_config_static_selectorELNS0_4arch9wavefront6targetE0EEEvS14_
    .private_segment_fixed_size: 0
    .sgpr_count:     0
    .sgpr_spill_count: 0
    .symbol:         _ZN7rocprim17ROCPRIM_400000_NS6detail17trampoline_kernelINS0_14default_configENS1_22reduce_config_selectorIN6thrust23THRUST_200600_302600_NS5tupleIblNS6_9null_typeES8_S8_S8_S8_S8_S8_S8_EEEEZNS1_11reduce_implILb1ES3_NS6_12zip_iteratorINS7_INS6_11hip_rocprim26transform_input_iterator_tIbNSD_35transform_pair_of_input_iterators_tIbNS6_6detail15normal_iteratorINS6_10device_ptrIKjEEEESL_NS6_8equal_toIjEEEENSG_9not_fun_tINSD_8identityEEEEENSD_19counting_iterator_tIlEES8_S8_S8_S8_S8_S8_S8_S8_EEEEPS9_S9_NSD_9__find_if7functorIS9_EEEE10hipError_tPvRmT1_T2_T3_mT4_P12ihipStream_tbEUlT_E1_NS1_11comp_targetILNS1_3genE4ELNS1_11target_archE910ELNS1_3gpuE8ELNS1_3repE0EEENS1_30default_config_static_selectorELNS0_4arch9wavefront6targetE0EEEvS14_.kd
    .uniform_work_group_size: 1
    .uses_dynamic_stack: false
    .vgpr_count:     0
    .vgpr_spill_count: 0
    .wavefront_size: 32
  - .args:
      - .offset:         0
        .size:           88
        .value_kind:     by_value
    .group_segment_fixed_size: 0
    .kernarg_segment_align: 8
    .kernarg_segment_size: 88
    .language:       OpenCL C
    .language_version:
      - 2
      - 0
    .max_flat_workgroup_size: 128
    .name:           _ZN7rocprim17ROCPRIM_400000_NS6detail17trampoline_kernelINS0_14default_configENS1_22reduce_config_selectorIN6thrust23THRUST_200600_302600_NS5tupleIblNS6_9null_typeES8_S8_S8_S8_S8_S8_S8_EEEEZNS1_11reduce_implILb1ES3_NS6_12zip_iteratorINS7_INS6_11hip_rocprim26transform_input_iterator_tIbNSD_35transform_pair_of_input_iterators_tIbNS6_6detail15normal_iteratorINS6_10device_ptrIKjEEEESL_NS6_8equal_toIjEEEENSG_9not_fun_tINSD_8identityEEEEENSD_19counting_iterator_tIlEES8_S8_S8_S8_S8_S8_S8_S8_EEEEPS9_S9_NSD_9__find_if7functorIS9_EEEE10hipError_tPvRmT1_T2_T3_mT4_P12ihipStream_tbEUlT_E1_NS1_11comp_targetILNS1_3genE3ELNS1_11target_archE908ELNS1_3gpuE7ELNS1_3repE0EEENS1_30default_config_static_selectorELNS0_4arch9wavefront6targetE0EEEvS14_
    .private_segment_fixed_size: 0
    .sgpr_count:     0
    .sgpr_spill_count: 0
    .symbol:         _ZN7rocprim17ROCPRIM_400000_NS6detail17trampoline_kernelINS0_14default_configENS1_22reduce_config_selectorIN6thrust23THRUST_200600_302600_NS5tupleIblNS6_9null_typeES8_S8_S8_S8_S8_S8_S8_EEEEZNS1_11reduce_implILb1ES3_NS6_12zip_iteratorINS7_INS6_11hip_rocprim26transform_input_iterator_tIbNSD_35transform_pair_of_input_iterators_tIbNS6_6detail15normal_iteratorINS6_10device_ptrIKjEEEESL_NS6_8equal_toIjEEEENSG_9not_fun_tINSD_8identityEEEEENSD_19counting_iterator_tIlEES8_S8_S8_S8_S8_S8_S8_S8_EEEEPS9_S9_NSD_9__find_if7functorIS9_EEEE10hipError_tPvRmT1_T2_T3_mT4_P12ihipStream_tbEUlT_E1_NS1_11comp_targetILNS1_3genE3ELNS1_11target_archE908ELNS1_3gpuE7ELNS1_3repE0EEENS1_30default_config_static_selectorELNS0_4arch9wavefront6targetE0EEEvS14_.kd
    .uniform_work_group_size: 1
    .uses_dynamic_stack: false
    .vgpr_count:     0
    .vgpr_spill_count: 0
    .wavefront_size: 32
  - .args:
      - .offset:         0
        .size:           88
        .value_kind:     by_value
    .group_segment_fixed_size: 0
    .kernarg_segment_align: 8
    .kernarg_segment_size: 88
    .language:       OpenCL C
    .language_version:
      - 2
      - 0
    .max_flat_workgroup_size: 128
    .name:           _ZN7rocprim17ROCPRIM_400000_NS6detail17trampoline_kernelINS0_14default_configENS1_22reduce_config_selectorIN6thrust23THRUST_200600_302600_NS5tupleIblNS6_9null_typeES8_S8_S8_S8_S8_S8_S8_EEEEZNS1_11reduce_implILb1ES3_NS6_12zip_iteratorINS7_INS6_11hip_rocprim26transform_input_iterator_tIbNSD_35transform_pair_of_input_iterators_tIbNS6_6detail15normal_iteratorINS6_10device_ptrIKjEEEESL_NS6_8equal_toIjEEEENSG_9not_fun_tINSD_8identityEEEEENSD_19counting_iterator_tIlEES8_S8_S8_S8_S8_S8_S8_S8_EEEEPS9_S9_NSD_9__find_if7functorIS9_EEEE10hipError_tPvRmT1_T2_T3_mT4_P12ihipStream_tbEUlT_E1_NS1_11comp_targetILNS1_3genE2ELNS1_11target_archE906ELNS1_3gpuE6ELNS1_3repE0EEENS1_30default_config_static_selectorELNS0_4arch9wavefront6targetE0EEEvS14_
    .private_segment_fixed_size: 0
    .sgpr_count:     0
    .sgpr_spill_count: 0
    .symbol:         _ZN7rocprim17ROCPRIM_400000_NS6detail17trampoline_kernelINS0_14default_configENS1_22reduce_config_selectorIN6thrust23THRUST_200600_302600_NS5tupleIblNS6_9null_typeES8_S8_S8_S8_S8_S8_S8_EEEEZNS1_11reduce_implILb1ES3_NS6_12zip_iteratorINS7_INS6_11hip_rocprim26transform_input_iterator_tIbNSD_35transform_pair_of_input_iterators_tIbNS6_6detail15normal_iteratorINS6_10device_ptrIKjEEEESL_NS6_8equal_toIjEEEENSG_9not_fun_tINSD_8identityEEEEENSD_19counting_iterator_tIlEES8_S8_S8_S8_S8_S8_S8_S8_EEEEPS9_S9_NSD_9__find_if7functorIS9_EEEE10hipError_tPvRmT1_T2_T3_mT4_P12ihipStream_tbEUlT_E1_NS1_11comp_targetILNS1_3genE2ELNS1_11target_archE906ELNS1_3gpuE6ELNS1_3repE0EEENS1_30default_config_static_selectorELNS0_4arch9wavefront6targetE0EEEvS14_.kd
    .uniform_work_group_size: 1
    .uses_dynamic_stack: false
    .vgpr_count:     0
    .vgpr_spill_count: 0
    .wavefront_size: 32
  - .args:
      - .offset:         0
        .size:           88
        .value_kind:     by_value
    .group_segment_fixed_size: 0
    .kernarg_segment_align: 8
    .kernarg_segment_size: 88
    .language:       OpenCL C
    .language_version:
      - 2
      - 0
    .max_flat_workgroup_size: 256
    .name:           _ZN7rocprim17ROCPRIM_400000_NS6detail17trampoline_kernelINS0_14default_configENS1_22reduce_config_selectorIN6thrust23THRUST_200600_302600_NS5tupleIblNS6_9null_typeES8_S8_S8_S8_S8_S8_S8_EEEEZNS1_11reduce_implILb1ES3_NS6_12zip_iteratorINS7_INS6_11hip_rocprim26transform_input_iterator_tIbNSD_35transform_pair_of_input_iterators_tIbNS6_6detail15normal_iteratorINS6_10device_ptrIKjEEEESL_NS6_8equal_toIjEEEENSG_9not_fun_tINSD_8identityEEEEENSD_19counting_iterator_tIlEES8_S8_S8_S8_S8_S8_S8_S8_EEEEPS9_S9_NSD_9__find_if7functorIS9_EEEE10hipError_tPvRmT1_T2_T3_mT4_P12ihipStream_tbEUlT_E1_NS1_11comp_targetILNS1_3genE10ELNS1_11target_archE1201ELNS1_3gpuE5ELNS1_3repE0EEENS1_30default_config_static_selectorELNS0_4arch9wavefront6targetE0EEEvS14_
    .private_segment_fixed_size: 0
    .sgpr_count:     0
    .sgpr_spill_count: 0
    .symbol:         _ZN7rocprim17ROCPRIM_400000_NS6detail17trampoline_kernelINS0_14default_configENS1_22reduce_config_selectorIN6thrust23THRUST_200600_302600_NS5tupleIblNS6_9null_typeES8_S8_S8_S8_S8_S8_S8_EEEEZNS1_11reduce_implILb1ES3_NS6_12zip_iteratorINS7_INS6_11hip_rocprim26transform_input_iterator_tIbNSD_35transform_pair_of_input_iterators_tIbNS6_6detail15normal_iteratorINS6_10device_ptrIKjEEEESL_NS6_8equal_toIjEEEENSG_9not_fun_tINSD_8identityEEEEENSD_19counting_iterator_tIlEES8_S8_S8_S8_S8_S8_S8_S8_EEEEPS9_S9_NSD_9__find_if7functorIS9_EEEE10hipError_tPvRmT1_T2_T3_mT4_P12ihipStream_tbEUlT_E1_NS1_11comp_targetILNS1_3genE10ELNS1_11target_archE1201ELNS1_3gpuE5ELNS1_3repE0EEENS1_30default_config_static_selectorELNS0_4arch9wavefront6targetE0EEEvS14_.kd
    .uniform_work_group_size: 1
    .uses_dynamic_stack: false
    .vgpr_count:     0
    .vgpr_spill_count: 0
    .wavefront_size: 32
  - .args:
      - .offset:         0
        .size:           88
        .value_kind:     by_value
    .group_segment_fixed_size: 0
    .kernarg_segment_align: 8
    .kernarg_segment_size: 88
    .language:       OpenCL C
    .language_version:
      - 2
      - 0
    .max_flat_workgroup_size: 256
    .name:           _ZN7rocprim17ROCPRIM_400000_NS6detail17trampoline_kernelINS0_14default_configENS1_22reduce_config_selectorIN6thrust23THRUST_200600_302600_NS5tupleIblNS6_9null_typeES8_S8_S8_S8_S8_S8_S8_EEEEZNS1_11reduce_implILb1ES3_NS6_12zip_iteratorINS7_INS6_11hip_rocprim26transform_input_iterator_tIbNSD_35transform_pair_of_input_iterators_tIbNS6_6detail15normal_iteratorINS6_10device_ptrIKjEEEESL_NS6_8equal_toIjEEEENSG_9not_fun_tINSD_8identityEEEEENSD_19counting_iterator_tIlEES8_S8_S8_S8_S8_S8_S8_S8_EEEEPS9_S9_NSD_9__find_if7functorIS9_EEEE10hipError_tPvRmT1_T2_T3_mT4_P12ihipStream_tbEUlT_E1_NS1_11comp_targetILNS1_3genE10ELNS1_11target_archE1200ELNS1_3gpuE4ELNS1_3repE0EEENS1_30default_config_static_selectorELNS0_4arch9wavefront6targetE0EEEvS14_
    .private_segment_fixed_size: 0
    .sgpr_count:     0
    .sgpr_spill_count: 0
    .symbol:         _ZN7rocprim17ROCPRIM_400000_NS6detail17trampoline_kernelINS0_14default_configENS1_22reduce_config_selectorIN6thrust23THRUST_200600_302600_NS5tupleIblNS6_9null_typeES8_S8_S8_S8_S8_S8_S8_EEEEZNS1_11reduce_implILb1ES3_NS6_12zip_iteratorINS7_INS6_11hip_rocprim26transform_input_iterator_tIbNSD_35transform_pair_of_input_iterators_tIbNS6_6detail15normal_iteratorINS6_10device_ptrIKjEEEESL_NS6_8equal_toIjEEEENSG_9not_fun_tINSD_8identityEEEEENSD_19counting_iterator_tIlEES8_S8_S8_S8_S8_S8_S8_S8_EEEEPS9_S9_NSD_9__find_if7functorIS9_EEEE10hipError_tPvRmT1_T2_T3_mT4_P12ihipStream_tbEUlT_E1_NS1_11comp_targetILNS1_3genE10ELNS1_11target_archE1200ELNS1_3gpuE4ELNS1_3repE0EEENS1_30default_config_static_selectorELNS0_4arch9wavefront6targetE0EEEvS14_.kd
    .uniform_work_group_size: 1
    .uses_dynamic_stack: false
    .vgpr_count:     0
    .vgpr_spill_count: 0
    .wavefront_size: 32
  - .args:
      - .offset:         0
        .size:           88
        .value_kind:     by_value
    .group_segment_fixed_size: 0
    .kernarg_segment_align: 8
    .kernarg_segment_size: 88
    .language:       OpenCL C
    .language_version:
      - 2
      - 0
    .max_flat_workgroup_size: 256
    .name:           _ZN7rocprim17ROCPRIM_400000_NS6detail17trampoline_kernelINS0_14default_configENS1_22reduce_config_selectorIN6thrust23THRUST_200600_302600_NS5tupleIblNS6_9null_typeES8_S8_S8_S8_S8_S8_S8_EEEEZNS1_11reduce_implILb1ES3_NS6_12zip_iteratorINS7_INS6_11hip_rocprim26transform_input_iterator_tIbNSD_35transform_pair_of_input_iterators_tIbNS6_6detail15normal_iteratorINS6_10device_ptrIKjEEEESL_NS6_8equal_toIjEEEENSG_9not_fun_tINSD_8identityEEEEENSD_19counting_iterator_tIlEES8_S8_S8_S8_S8_S8_S8_S8_EEEEPS9_S9_NSD_9__find_if7functorIS9_EEEE10hipError_tPvRmT1_T2_T3_mT4_P12ihipStream_tbEUlT_E1_NS1_11comp_targetILNS1_3genE9ELNS1_11target_archE1100ELNS1_3gpuE3ELNS1_3repE0EEENS1_30default_config_static_selectorELNS0_4arch9wavefront6targetE0EEEvS14_
    .private_segment_fixed_size: 0
    .sgpr_count:     0
    .sgpr_spill_count: 0
    .symbol:         _ZN7rocprim17ROCPRIM_400000_NS6detail17trampoline_kernelINS0_14default_configENS1_22reduce_config_selectorIN6thrust23THRUST_200600_302600_NS5tupleIblNS6_9null_typeES8_S8_S8_S8_S8_S8_S8_EEEEZNS1_11reduce_implILb1ES3_NS6_12zip_iteratorINS7_INS6_11hip_rocprim26transform_input_iterator_tIbNSD_35transform_pair_of_input_iterators_tIbNS6_6detail15normal_iteratorINS6_10device_ptrIKjEEEESL_NS6_8equal_toIjEEEENSG_9not_fun_tINSD_8identityEEEEENSD_19counting_iterator_tIlEES8_S8_S8_S8_S8_S8_S8_S8_EEEEPS9_S9_NSD_9__find_if7functorIS9_EEEE10hipError_tPvRmT1_T2_T3_mT4_P12ihipStream_tbEUlT_E1_NS1_11comp_targetILNS1_3genE9ELNS1_11target_archE1100ELNS1_3gpuE3ELNS1_3repE0EEENS1_30default_config_static_selectorELNS0_4arch9wavefront6targetE0EEEvS14_.kd
    .uniform_work_group_size: 1
    .uses_dynamic_stack: false
    .vgpr_count:     0
    .vgpr_spill_count: 0
    .wavefront_size: 32
  - .args:
      - .offset:         0
        .size:           88
        .value_kind:     by_value
    .group_segment_fixed_size: 0
    .kernarg_segment_align: 8
    .kernarg_segment_size: 88
    .language:       OpenCL C
    .language_version:
      - 2
      - 0
    .max_flat_workgroup_size: 256
    .name:           _ZN7rocprim17ROCPRIM_400000_NS6detail17trampoline_kernelINS0_14default_configENS1_22reduce_config_selectorIN6thrust23THRUST_200600_302600_NS5tupleIblNS6_9null_typeES8_S8_S8_S8_S8_S8_S8_EEEEZNS1_11reduce_implILb1ES3_NS6_12zip_iteratorINS7_INS6_11hip_rocprim26transform_input_iterator_tIbNSD_35transform_pair_of_input_iterators_tIbNS6_6detail15normal_iteratorINS6_10device_ptrIKjEEEESL_NS6_8equal_toIjEEEENSG_9not_fun_tINSD_8identityEEEEENSD_19counting_iterator_tIlEES8_S8_S8_S8_S8_S8_S8_S8_EEEEPS9_S9_NSD_9__find_if7functorIS9_EEEE10hipError_tPvRmT1_T2_T3_mT4_P12ihipStream_tbEUlT_E1_NS1_11comp_targetILNS1_3genE8ELNS1_11target_archE1030ELNS1_3gpuE2ELNS1_3repE0EEENS1_30default_config_static_selectorELNS0_4arch9wavefront6targetE0EEEvS14_
    .private_segment_fixed_size: 0
    .sgpr_count:     0
    .sgpr_spill_count: 0
    .symbol:         _ZN7rocprim17ROCPRIM_400000_NS6detail17trampoline_kernelINS0_14default_configENS1_22reduce_config_selectorIN6thrust23THRUST_200600_302600_NS5tupleIblNS6_9null_typeES8_S8_S8_S8_S8_S8_S8_EEEEZNS1_11reduce_implILb1ES3_NS6_12zip_iteratorINS7_INS6_11hip_rocprim26transform_input_iterator_tIbNSD_35transform_pair_of_input_iterators_tIbNS6_6detail15normal_iteratorINS6_10device_ptrIKjEEEESL_NS6_8equal_toIjEEEENSG_9not_fun_tINSD_8identityEEEEENSD_19counting_iterator_tIlEES8_S8_S8_S8_S8_S8_S8_S8_EEEEPS9_S9_NSD_9__find_if7functorIS9_EEEE10hipError_tPvRmT1_T2_T3_mT4_P12ihipStream_tbEUlT_E1_NS1_11comp_targetILNS1_3genE8ELNS1_11target_archE1030ELNS1_3gpuE2ELNS1_3repE0EEENS1_30default_config_static_selectorELNS0_4arch9wavefront6targetE0EEEvS14_.kd
    .uniform_work_group_size: 1
    .uses_dynamic_stack: false
    .vgpr_count:     0
    .vgpr_spill_count: 0
    .wavefront_size: 32
  - .args:
      - .offset:         0
        .size:           16
        .value_kind:     by_value
      - .offset:         16
        .size:           8
        .value_kind:     by_value
      - .offset:         24
        .size:           8
        .value_kind:     by_value
    .group_segment_fixed_size: 0
    .kernarg_segment_align: 8
    .kernarg_segment_size: 32
    .language:       OpenCL C
    .language_version:
      - 2
      - 0
    .max_flat_workgroup_size: 256
    .name:           _ZN6thrust23THRUST_200600_302600_NS11hip_rocprim14__parallel_for6kernelILj256ENS1_20__uninitialized_fill7functorINS0_10device_ptrItEEtEEmLj1EEEvT0_T1_SA_
    .private_segment_fixed_size: 0
    .sgpr_count:     14
    .sgpr_spill_count: 0
    .symbol:         _ZN6thrust23THRUST_200600_302600_NS11hip_rocprim14__parallel_for6kernelILj256ENS1_20__uninitialized_fill7functorINS0_10device_ptrItEEtEEmLj1EEEvT0_T1_SA_.kd
    .uniform_work_group_size: 1
    .uses_dynamic_stack: false
    .vgpr_count:     2
    .vgpr_spill_count: 0
    .wavefront_size: 32
  - .args:
      - .offset:         0
        .size:           64
        .value_kind:     by_value
      - .offset:         64
        .size:           4
        .value_kind:     hidden_block_count_x
      - .offset:         68
        .size:           4
        .value_kind:     hidden_block_count_y
      - .offset:         72
        .size:           4
        .value_kind:     hidden_block_count_z
      - .offset:         76
        .size:           2
        .value_kind:     hidden_group_size_x
      - .offset:         78
        .size:           2
        .value_kind:     hidden_group_size_y
      - .offset:         80
        .size:           2
        .value_kind:     hidden_group_size_z
      - .offset:         82
        .size:           2
        .value_kind:     hidden_remainder_x
      - .offset:         84
        .size:           2
        .value_kind:     hidden_remainder_y
      - .offset:         86
        .size:           2
        .value_kind:     hidden_remainder_z
      - .offset:         104
        .size:           8
        .value_kind:     hidden_global_offset_x
      - .offset:         112
        .size:           8
        .value_kind:     hidden_global_offset_y
      - .offset:         120
        .size:           8
        .value_kind:     hidden_global_offset_z
      - .offset:         128
        .size:           2
        .value_kind:     hidden_grid_dims
    .group_segment_fixed_size: 0
    .kernarg_segment_align: 8
    .kernarg_segment_size: 320
    .language:       OpenCL C
    .language_version:
      - 2
      - 0
    .max_flat_workgroup_size: 256
    .name:           _ZN7rocprim17ROCPRIM_400000_NS6detail17trampoline_kernelINS0_14default_configENS1_21merge_config_selectorINS0_5tupleIJttEEENS0_10empty_typeEEEZNS1_10merge_implIS3_NS0_12zip_iteratorINS5_IJN6thrust23THRUST_200600_302600_NS6detail15normal_iteratorINSC_10device_ptrIKtEEEESI_EEEEESK_NSA_INS5_IJNSE_INSF_ItEEEESM_EEEEEPS7_SP_SP_NSC_11hip_rocprim7__merge17predicate_wrapperIttNSC_4lessItEEEEEE10hipError_tPvRmT0_T1_T2_T3_T4_T5_mmT6_P12ihipStream_tbEUlT_E_NS1_11comp_targetILNS1_3genE0ELNS1_11target_archE4294967295ELNS1_3gpuE0ELNS1_3repE0EEENS1_30default_config_static_selectorELNS0_4arch9wavefront6targetE0EEEvS10_
    .private_segment_fixed_size: 0
    .sgpr_count:     16
    .sgpr_spill_count: 0
    .symbol:         _ZN7rocprim17ROCPRIM_400000_NS6detail17trampoline_kernelINS0_14default_configENS1_21merge_config_selectorINS0_5tupleIJttEEENS0_10empty_typeEEEZNS1_10merge_implIS3_NS0_12zip_iteratorINS5_IJN6thrust23THRUST_200600_302600_NS6detail15normal_iteratorINSC_10device_ptrIKtEEEESI_EEEEESK_NSA_INS5_IJNSE_INSF_ItEEEESM_EEEEEPS7_SP_SP_NSC_11hip_rocprim7__merge17predicate_wrapperIttNSC_4lessItEEEEEE10hipError_tPvRmT0_T1_T2_T3_T4_T5_mmT6_P12ihipStream_tbEUlT_E_NS1_11comp_targetILNS1_3genE0ELNS1_11target_archE4294967295ELNS1_3gpuE0ELNS1_3repE0EEENS1_30default_config_static_selectorELNS0_4arch9wavefront6targetE0EEEvS10_.kd
    .uniform_work_group_size: 1
    .uses_dynamic_stack: false
    .vgpr_count:     15
    .vgpr_spill_count: 0
    .wavefront_size: 32
  - .args:
      - .offset:         0
        .size:           64
        .value_kind:     by_value
    .group_segment_fixed_size: 0
    .kernarg_segment_align: 8
    .kernarg_segment_size: 64
    .language:       OpenCL C
    .language_version:
      - 2
      - 0
    .max_flat_workgroup_size: 256
    .name:           _ZN7rocprim17ROCPRIM_400000_NS6detail17trampoline_kernelINS0_14default_configENS1_21merge_config_selectorINS0_5tupleIJttEEENS0_10empty_typeEEEZNS1_10merge_implIS3_NS0_12zip_iteratorINS5_IJN6thrust23THRUST_200600_302600_NS6detail15normal_iteratorINSC_10device_ptrIKtEEEESI_EEEEESK_NSA_INS5_IJNSE_INSF_ItEEEESM_EEEEEPS7_SP_SP_NSC_11hip_rocprim7__merge17predicate_wrapperIttNSC_4lessItEEEEEE10hipError_tPvRmT0_T1_T2_T3_T4_T5_mmT6_P12ihipStream_tbEUlT_E_NS1_11comp_targetILNS1_3genE5ELNS1_11target_archE942ELNS1_3gpuE9ELNS1_3repE0EEENS1_30default_config_static_selectorELNS0_4arch9wavefront6targetE0EEEvS10_
    .private_segment_fixed_size: 0
    .sgpr_count:     0
    .sgpr_spill_count: 0
    .symbol:         _ZN7rocprim17ROCPRIM_400000_NS6detail17trampoline_kernelINS0_14default_configENS1_21merge_config_selectorINS0_5tupleIJttEEENS0_10empty_typeEEEZNS1_10merge_implIS3_NS0_12zip_iteratorINS5_IJN6thrust23THRUST_200600_302600_NS6detail15normal_iteratorINSC_10device_ptrIKtEEEESI_EEEEESK_NSA_INS5_IJNSE_INSF_ItEEEESM_EEEEEPS7_SP_SP_NSC_11hip_rocprim7__merge17predicate_wrapperIttNSC_4lessItEEEEEE10hipError_tPvRmT0_T1_T2_T3_T4_T5_mmT6_P12ihipStream_tbEUlT_E_NS1_11comp_targetILNS1_3genE5ELNS1_11target_archE942ELNS1_3gpuE9ELNS1_3repE0EEENS1_30default_config_static_selectorELNS0_4arch9wavefront6targetE0EEEvS10_.kd
    .uniform_work_group_size: 1
    .uses_dynamic_stack: false
    .vgpr_count:     0
    .vgpr_spill_count: 0
    .wavefront_size: 32
  - .args:
      - .offset:         0
        .size:           64
        .value_kind:     by_value
    .group_segment_fixed_size: 0
    .kernarg_segment_align: 8
    .kernarg_segment_size: 64
    .language:       OpenCL C
    .language_version:
      - 2
      - 0
    .max_flat_workgroup_size: 256
    .name:           _ZN7rocprim17ROCPRIM_400000_NS6detail17trampoline_kernelINS0_14default_configENS1_21merge_config_selectorINS0_5tupleIJttEEENS0_10empty_typeEEEZNS1_10merge_implIS3_NS0_12zip_iteratorINS5_IJN6thrust23THRUST_200600_302600_NS6detail15normal_iteratorINSC_10device_ptrIKtEEEESI_EEEEESK_NSA_INS5_IJNSE_INSF_ItEEEESM_EEEEEPS7_SP_SP_NSC_11hip_rocprim7__merge17predicate_wrapperIttNSC_4lessItEEEEEE10hipError_tPvRmT0_T1_T2_T3_T4_T5_mmT6_P12ihipStream_tbEUlT_E_NS1_11comp_targetILNS1_3genE4ELNS1_11target_archE910ELNS1_3gpuE8ELNS1_3repE0EEENS1_30default_config_static_selectorELNS0_4arch9wavefront6targetE0EEEvS10_
    .private_segment_fixed_size: 0
    .sgpr_count:     0
    .sgpr_spill_count: 0
    .symbol:         _ZN7rocprim17ROCPRIM_400000_NS6detail17trampoline_kernelINS0_14default_configENS1_21merge_config_selectorINS0_5tupleIJttEEENS0_10empty_typeEEEZNS1_10merge_implIS3_NS0_12zip_iteratorINS5_IJN6thrust23THRUST_200600_302600_NS6detail15normal_iteratorINSC_10device_ptrIKtEEEESI_EEEEESK_NSA_INS5_IJNSE_INSF_ItEEEESM_EEEEEPS7_SP_SP_NSC_11hip_rocprim7__merge17predicate_wrapperIttNSC_4lessItEEEEEE10hipError_tPvRmT0_T1_T2_T3_T4_T5_mmT6_P12ihipStream_tbEUlT_E_NS1_11comp_targetILNS1_3genE4ELNS1_11target_archE910ELNS1_3gpuE8ELNS1_3repE0EEENS1_30default_config_static_selectorELNS0_4arch9wavefront6targetE0EEEvS10_.kd
    .uniform_work_group_size: 1
    .uses_dynamic_stack: false
    .vgpr_count:     0
    .vgpr_spill_count: 0
    .wavefront_size: 32
  - .args:
      - .offset:         0
        .size:           64
        .value_kind:     by_value
    .group_segment_fixed_size: 0
    .kernarg_segment_align: 8
    .kernarg_segment_size: 64
    .language:       OpenCL C
    .language_version:
      - 2
      - 0
    .max_flat_workgroup_size: 256
    .name:           _ZN7rocprim17ROCPRIM_400000_NS6detail17trampoline_kernelINS0_14default_configENS1_21merge_config_selectorINS0_5tupleIJttEEENS0_10empty_typeEEEZNS1_10merge_implIS3_NS0_12zip_iteratorINS5_IJN6thrust23THRUST_200600_302600_NS6detail15normal_iteratorINSC_10device_ptrIKtEEEESI_EEEEESK_NSA_INS5_IJNSE_INSF_ItEEEESM_EEEEEPS7_SP_SP_NSC_11hip_rocprim7__merge17predicate_wrapperIttNSC_4lessItEEEEEE10hipError_tPvRmT0_T1_T2_T3_T4_T5_mmT6_P12ihipStream_tbEUlT_E_NS1_11comp_targetILNS1_3genE3ELNS1_11target_archE908ELNS1_3gpuE7ELNS1_3repE0EEENS1_30default_config_static_selectorELNS0_4arch9wavefront6targetE0EEEvS10_
    .private_segment_fixed_size: 0
    .sgpr_count:     0
    .sgpr_spill_count: 0
    .symbol:         _ZN7rocprim17ROCPRIM_400000_NS6detail17trampoline_kernelINS0_14default_configENS1_21merge_config_selectorINS0_5tupleIJttEEENS0_10empty_typeEEEZNS1_10merge_implIS3_NS0_12zip_iteratorINS5_IJN6thrust23THRUST_200600_302600_NS6detail15normal_iteratorINSC_10device_ptrIKtEEEESI_EEEEESK_NSA_INS5_IJNSE_INSF_ItEEEESM_EEEEEPS7_SP_SP_NSC_11hip_rocprim7__merge17predicate_wrapperIttNSC_4lessItEEEEEE10hipError_tPvRmT0_T1_T2_T3_T4_T5_mmT6_P12ihipStream_tbEUlT_E_NS1_11comp_targetILNS1_3genE3ELNS1_11target_archE908ELNS1_3gpuE7ELNS1_3repE0EEENS1_30default_config_static_selectorELNS0_4arch9wavefront6targetE0EEEvS10_.kd
    .uniform_work_group_size: 1
    .uses_dynamic_stack: false
    .vgpr_count:     0
    .vgpr_spill_count: 0
    .wavefront_size: 32
  - .args:
      - .offset:         0
        .size:           64
        .value_kind:     by_value
    .group_segment_fixed_size: 0
    .kernarg_segment_align: 8
    .kernarg_segment_size: 64
    .language:       OpenCL C
    .language_version:
      - 2
      - 0
    .max_flat_workgroup_size: 256
    .name:           _ZN7rocprim17ROCPRIM_400000_NS6detail17trampoline_kernelINS0_14default_configENS1_21merge_config_selectorINS0_5tupleIJttEEENS0_10empty_typeEEEZNS1_10merge_implIS3_NS0_12zip_iteratorINS5_IJN6thrust23THRUST_200600_302600_NS6detail15normal_iteratorINSC_10device_ptrIKtEEEESI_EEEEESK_NSA_INS5_IJNSE_INSF_ItEEEESM_EEEEEPS7_SP_SP_NSC_11hip_rocprim7__merge17predicate_wrapperIttNSC_4lessItEEEEEE10hipError_tPvRmT0_T1_T2_T3_T4_T5_mmT6_P12ihipStream_tbEUlT_E_NS1_11comp_targetILNS1_3genE2ELNS1_11target_archE906ELNS1_3gpuE6ELNS1_3repE0EEENS1_30default_config_static_selectorELNS0_4arch9wavefront6targetE0EEEvS10_
    .private_segment_fixed_size: 0
    .sgpr_count:     0
    .sgpr_spill_count: 0
    .symbol:         _ZN7rocprim17ROCPRIM_400000_NS6detail17trampoline_kernelINS0_14default_configENS1_21merge_config_selectorINS0_5tupleIJttEEENS0_10empty_typeEEEZNS1_10merge_implIS3_NS0_12zip_iteratorINS5_IJN6thrust23THRUST_200600_302600_NS6detail15normal_iteratorINSC_10device_ptrIKtEEEESI_EEEEESK_NSA_INS5_IJNSE_INSF_ItEEEESM_EEEEEPS7_SP_SP_NSC_11hip_rocprim7__merge17predicate_wrapperIttNSC_4lessItEEEEEE10hipError_tPvRmT0_T1_T2_T3_T4_T5_mmT6_P12ihipStream_tbEUlT_E_NS1_11comp_targetILNS1_3genE2ELNS1_11target_archE906ELNS1_3gpuE6ELNS1_3repE0EEENS1_30default_config_static_selectorELNS0_4arch9wavefront6targetE0EEEvS10_.kd
    .uniform_work_group_size: 1
    .uses_dynamic_stack: false
    .vgpr_count:     0
    .vgpr_spill_count: 0
    .wavefront_size: 32
  - .args:
      - .offset:         0
        .size:           64
        .value_kind:     by_value
    .group_segment_fixed_size: 0
    .kernarg_segment_align: 8
    .kernarg_segment_size: 64
    .language:       OpenCL C
    .language_version:
      - 2
      - 0
    .max_flat_workgroup_size: 1024
    .name:           _ZN7rocprim17ROCPRIM_400000_NS6detail17trampoline_kernelINS0_14default_configENS1_21merge_config_selectorINS0_5tupleIJttEEENS0_10empty_typeEEEZNS1_10merge_implIS3_NS0_12zip_iteratorINS5_IJN6thrust23THRUST_200600_302600_NS6detail15normal_iteratorINSC_10device_ptrIKtEEEESI_EEEEESK_NSA_INS5_IJNSE_INSF_ItEEEESM_EEEEEPS7_SP_SP_NSC_11hip_rocprim7__merge17predicate_wrapperIttNSC_4lessItEEEEEE10hipError_tPvRmT0_T1_T2_T3_T4_T5_mmT6_P12ihipStream_tbEUlT_E_NS1_11comp_targetILNS1_3genE10ELNS1_11target_archE1201ELNS1_3gpuE5ELNS1_3repE0EEENS1_30default_config_static_selectorELNS0_4arch9wavefront6targetE0EEEvS10_
    .private_segment_fixed_size: 0
    .sgpr_count:     0
    .sgpr_spill_count: 0
    .symbol:         _ZN7rocprim17ROCPRIM_400000_NS6detail17trampoline_kernelINS0_14default_configENS1_21merge_config_selectorINS0_5tupleIJttEEENS0_10empty_typeEEEZNS1_10merge_implIS3_NS0_12zip_iteratorINS5_IJN6thrust23THRUST_200600_302600_NS6detail15normal_iteratorINSC_10device_ptrIKtEEEESI_EEEEESK_NSA_INS5_IJNSE_INSF_ItEEEESM_EEEEEPS7_SP_SP_NSC_11hip_rocprim7__merge17predicate_wrapperIttNSC_4lessItEEEEEE10hipError_tPvRmT0_T1_T2_T3_T4_T5_mmT6_P12ihipStream_tbEUlT_E_NS1_11comp_targetILNS1_3genE10ELNS1_11target_archE1201ELNS1_3gpuE5ELNS1_3repE0EEENS1_30default_config_static_selectorELNS0_4arch9wavefront6targetE0EEEvS10_.kd
    .uniform_work_group_size: 1
    .uses_dynamic_stack: false
    .vgpr_count:     0
    .vgpr_spill_count: 0
    .wavefront_size: 32
  - .args:
      - .offset:         0
        .size:           64
        .value_kind:     by_value
    .group_segment_fixed_size: 0
    .kernarg_segment_align: 8
    .kernarg_segment_size: 64
    .language:       OpenCL C
    .language_version:
      - 2
      - 0
    .max_flat_workgroup_size: 1024
    .name:           _ZN7rocprim17ROCPRIM_400000_NS6detail17trampoline_kernelINS0_14default_configENS1_21merge_config_selectorINS0_5tupleIJttEEENS0_10empty_typeEEEZNS1_10merge_implIS3_NS0_12zip_iteratorINS5_IJN6thrust23THRUST_200600_302600_NS6detail15normal_iteratorINSC_10device_ptrIKtEEEESI_EEEEESK_NSA_INS5_IJNSE_INSF_ItEEEESM_EEEEEPS7_SP_SP_NSC_11hip_rocprim7__merge17predicate_wrapperIttNSC_4lessItEEEEEE10hipError_tPvRmT0_T1_T2_T3_T4_T5_mmT6_P12ihipStream_tbEUlT_E_NS1_11comp_targetILNS1_3genE10ELNS1_11target_archE1200ELNS1_3gpuE4ELNS1_3repE0EEENS1_30default_config_static_selectorELNS0_4arch9wavefront6targetE0EEEvS10_
    .private_segment_fixed_size: 0
    .sgpr_count:     0
    .sgpr_spill_count: 0
    .symbol:         _ZN7rocprim17ROCPRIM_400000_NS6detail17trampoline_kernelINS0_14default_configENS1_21merge_config_selectorINS0_5tupleIJttEEENS0_10empty_typeEEEZNS1_10merge_implIS3_NS0_12zip_iteratorINS5_IJN6thrust23THRUST_200600_302600_NS6detail15normal_iteratorINSC_10device_ptrIKtEEEESI_EEEEESK_NSA_INS5_IJNSE_INSF_ItEEEESM_EEEEEPS7_SP_SP_NSC_11hip_rocprim7__merge17predicate_wrapperIttNSC_4lessItEEEEEE10hipError_tPvRmT0_T1_T2_T3_T4_T5_mmT6_P12ihipStream_tbEUlT_E_NS1_11comp_targetILNS1_3genE10ELNS1_11target_archE1200ELNS1_3gpuE4ELNS1_3repE0EEENS1_30default_config_static_selectorELNS0_4arch9wavefront6targetE0EEEvS10_.kd
    .uniform_work_group_size: 1
    .uses_dynamic_stack: false
    .vgpr_count:     0
    .vgpr_spill_count: 0
    .wavefront_size: 32
  - .args:
      - .offset:         0
        .size:           64
        .value_kind:     by_value
    .group_segment_fixed_size: 0
    .kernarg_segment_align: 8
    .kernarg_segment_size: 64
    .language:       OpenCL C
    .language_version:
      - 2
      - 0
    .max_flat_workgroup_size: 1024
    .name:           _ZN7rocprim17ROCPRIM_400000_NS6detail17trampoline_kernelINS0_14default_configENS1_21merge_config_selectorINS0_5tupleIJttEEENS0_10empty_typeEEEZNS1_10merge_implIS3_NS0_12zip_iteratorINS5_IJN6thrust23THRUST_200600_302600_NS6detail15normal_iteratorINSC_10device_ptrIKtEEEESI_EEEEESK_NSA_INS5_IJNSE_INSF_ItEEEESM_EEEEEPS7_SP_SP_NSC_11hip_rocprim7__merge17predicate_wrapperIttNSC_4lessItEEEEEE10hipError_tPvRmT0_T1_T2_T3_T4_T5_mmT6_P12ihipStream_tbEUlT_E_NS1_11comp_targetILNS1_3genE9ELNS1_11target_archE1100ELNS1_3gpuE3ELNS1_3repE0EEENS1_30default_config_static_selectorELNS0_4arch9wavefront6targetE0EEEvS10_
    .private_segment_fixed_size: 0
    .sgpr_count:     0
    .sgpr_spill_count: 0
    .symbol:         _ZN7rocprim17ROCPRIM_400000_NS6detail17trampoline_kernelINS0_14default_configENS1_21merge_config_selectorINS0_5tupleIJttEEENS0_10empty_typeEEEZNS1_10merge_implIS3_NS0_12zip_iteratorINS5_IJN6thrust23THRUST_200600_302600_NS6detail15normal_iteratorINSC_10device_ptrIKtEEEESI_EEEEESK_NSA_INS5_IJNSE_INSF_ItEEEESM_EEEEEPS7_SP_SP_NSC_11hip_rocprim7__merge17predicate_wrapperIttNSC_4lessItEEEEEE10hipError_tPvRmT0_T1_T2_T3_T4_T5_mmT6_P12ihipStream_tbEUlT_E_NS1_11comp_targetILNS1_3genE9ELNS1_11target_archE1100ELNS1_3gpuE3ELNS1_3repE0EEENS1_30default_config_static_selectorELNS0_4arch9wavefront6targetE0EEEvS10_.kd
    .uniform_work_group_size: 1
    .uses_dynamic_stack: false
    .vgpr_count:     0
    .vgpr_spill_count: 0
    .wavefront_size: 32
  - .args:
      - .offset:         0
        .size:           64
        .value_kind:     by_value
    .group_segment_fixed_size: 0
    .kernarg_segment_align: 8
    .kernarg_segment_size: 64
    .language:       OpenCL C
    .language_version:
      - 2
      - 0
    .max_flat_workgroup_size: 1024
    .name:           _ZN7rocprim17ROCPRIM_400000_NS6detail17trampoline_kernelINS0_14default_configENS1_21merge_config_selectorINS0_5tupleIJttEEENS0_10empty_typeEEEZNS1_10merge_implIS3_NS0_12zip_iteratorINS5_IJN6thrust23THRUST_200600_302600_NS6detail15normal_iteratorINSC_10device_ptrIKtEEEESI_EEEEESK_NSA_INS5_IJNSE_INSF_ItEEEESM_EEEEEPS7_SP_SP_NSC_11hip_rocprim7__merge17predicate_wrapperIttNSC_4lessItEEEEEE10hipError_tPvRmT0_T1_T2_T3_T4_T5_mmT6_P12ihipStream_tbEUlT_E_NS1_11comp_targetILNS1_3genE8ELNS1_11target_archE1030ELNS1_3gpuE2ELNS1_3repE0EEENS1_30default_config_static_selectorELNS0_4arch9wavefront6targetE0EEEvS10_
    .private_segment_fixed_size: 0
    .sgpr_count:     0
    .sgpr_spill_count: 0
    .symbol:         _ZN7rocprim17ROCPRIM_400000_NS6detail17trampoline_kernelINS0_14default_configENS1_21merge_config_selectorINS0_5tupleIJttEEENS0_10empty_typeEEEZNS1_10merge_implIS3_NS0_12zip_iteratorINS5_IJN6thrust23THRUST_200600_302600_NS6detail15normal_iteratorINSC_10device_ptrIKtEEEESI_EEEEESK_NSA_INS5_IJNSE_INSF_ItEEEESM_EEEEEPS7_SP_SP_NSC_11hip_rocprim7__merge17predicate_wrapperIttNSC_4lessItEEEEEE10hipError_tPvRmT0_T1_T2_T3_T4_T5_mmT6_P12ihipStream_tbEUlT_E_NS1_11comp_targetILNS1_3genE8ELNS1_11target_archE1030ELNS1_3gpuE2ELNS1_3repE0EEENS1_30default_config_static_selectorELNS0_4arch9wavefront6targetE0EEEvS10_.kd
    .uniform_work_group_size: 1
    .uses_dynamic_stack: false
    .vgpr_count:     0
    .vgpr_spill_count: 0
    .wavefront_size: 32
  - .args:
      - .offset:         0
        .size:           112
        .value_kind:     by_value
    .group_segment_fixed_size: 10256
    .kernarg_segment_align: 8
    .kernarg_segment_size: 112
    .language:       OpenCL C
    .language_version:
      - 2
      - 0
    .max_flat_workgroup_size: 256
    .name:           _ZN7rocprim17ROCPRIM_400000_NS6detail17trampoline_kernelINS0_14default_configENS1_21merge_config_selectorINS0_5tupleIJttEEENS0_10empty_typeEEEZNS1_10merge_implIS3_NS0_12zip_iteratorINS5_IJN6thrust23THRUST_200600_302600_NS6detail15normal_iteratorINSC_10device_ptrIKtEEEESI_EEEEESK_NSA_INS5_IJNSE_INSF_ItEEEESM_EEEEEPS7_SP_SP_NSC_11hip_rocprim7__merge17predicate_wrapperIttNSC_4lessItEEEEEE10hipError_tPvRmT0_T1_T2_T3_T4_T5_mmT6_P12ihipStream_tbEUlT_E0_NS1_11comp_targetILNS1_3genE0ELNS1_11target_archE4294967295ELNS1_3gpuE0ELNS1_3repE0EEENS1_30default_config_static_selectorELNS0_4arch9wavefront6targetE0EEEvS10_
    .private_segment_fixed_size: 0
    .sgpr_count:     28
    .sgpr_spill_count: 0
    .symbol:         _ZN7rocprim17ROCPRIM_400000_NS6detail17trampoline_kernelINS0_14default_configENS1_21merge_config_selectorINS0_5tupleIJttEEENS0_10empty_typeEEEZNS1_10merge_implIS3_NS0_12zip_iteratorINS5_IJN6thrust23THRUST_200600_302600_NS6detail15normal_iteratorINSC_10device_ptrIKtEEEESI_EEEEESK_NSA_INS5_IJNSE_INSF_ItEEEESM_EEEEEPS7_SP_SP_NSC_11hip_rocprim7__merge17predicate_wrapperIttNSC_4lessItEEEEEE10hipError_tPvRmT0_T1_T2_T3_T4_T5_mmT6_P12ihipStream_tbEUlT_E0_NS1_11comp_targetILNS1_3genE0ELNS1_11target_archE4294967295ELNS1_3gpuE0ELNS1_3repE0EEENS1_30default_config_static_selectorELNS0_4arch9wavefront6targetE0EEEvS10_.kd
    .uniform_work_group_size: 1
    .uses_dynamic_stack: false
    .vgpr_count:     43
    .vgpr_spill_count: 0
    .wavefront_size: 32
  - .args:
      - .offset:         0
        .size:           112
        .value_kind:     by_value
    .group_segment_fixed_size: 0
    .kernarg_segment_align: 8
    .kernarg_segment_size: 112
    .language:       OpenCL C
    .language_version:
      - 2
      - 0
    .max_flat_workgroup_size: 256
    .name:           _ZN7rocprim17ROCPRIM_400000_NS6detail17trampoline_kernelINS0_14default_configENS1_21merge_config_selectorINS0_5tupleIJttEEENS0_10empty_typeEEEZNS1_10merge_implIS3_NS0_12zip_iteratorINS5_IJN6thrust23THRUST_200600_302600_NS6detail15normal_iteratorINSC_10device_ptrIKtEEEESI_EEEEESK_NSA_INS5_IJNSE_INSF_ItEEEESM_EEEEEPS7_SP_SP_NSC_11hip_rocprim7__merge17predicate_wrapperIttNSC_4lessItEEEEEE10hipError_tPvRmT0_T1_T2_T3_T4_T5_mmT6_P12ihipStream_tbEUlT_E0_NS1_11comp_targetILNS1_3genE5ELNS1_11target_archE942ELNS1_3gpuE9ELNS1_3repE0EEENS1_30default_config_static_selectorELNS0_4arch9wavefront6targetE0EEEvS10_
    .private_segment_fixed_size: 0
    .sgpr_count:     0
    .sgpr_spill_count: 0
    .symbol:         _ZN7rocprim17ROCPRIM_400000_NS6detail17trampoline_kernelINS0_14default_configENS1_21merge_config_selectorINS0_5tupleIJttEEENS0_10empty_typeEEEZNS1_10merge_implIS3_NS0_12zip_iteratorINS5_IJN6thrust23THRUST_200600_302600_NS6detail15normal_iteratorINSC_10device_ptrIKtEEEESI_EEEEESK_NSA_INS5_IJNSE_INSF_ItEEEESM_EEEEEPS7_SP_SP_NSC_11hip_rocprim7__merge17predicate_wrapperIttNSC_4lessItEEEEEE10hipError_tPvRmT0_T1_T2_T3_T4_T5_mmT6_P12ihipStream_tbEUlT_E0_NS1_11comp_targetILNS1_3genE5ELNS1_11target_archE942ELNS1_3gpuE9ELNS1_3repE0EEENS1_30default_config_static_selectorELNS0_4arch9wavefront6targetE0EEEvS10_.kd
    .uniform_work_group_size: 1
    .uses_dynamic_stack: false
    .vgpr_count:     0
    .vgpr_spill_count: 0
    .wavefront_size: 32
  - .args:
      - .offset:         0
        .size:           112
        .value_kind:     by_value
    .group_segment_fixed_size: 0
    .kernarg_segment_align: 8
    .kernarg_segment_size: 112
    .language:       OpenCL C
    .language_version:
      - 2
      - 0
    .max_flat_workgroup_size: 256
    .name:           _ZN7rocprim17ROCPRIM_400000_NS6detail17trampoline_kernelINS0_14default_configENS1_21merge_config_selectorINS0_5tupleIJttEEENS0_10empty_typeEEEZNS1_10merge_implIS3_NS0_12zip_iteratorINS5_IJN6thrust23THRUST_200600_302600_NS6detail15normal_iteratorINSC_10device_ptrIKtEEEESI_EEEEESK_NSA_INS5_IJNSE_INSF_ItEEEESM_EEEEEPS7_SP_SP_NSC_11hip_rocprim7__merge17predicate_wrapperIttNSC_4lessItEEEEEE10hipError_tPvRmT0_T1_T2_T3_T4_T5_mmT6_P12ihipStream_tbEUlT_E0_NS1_11comp_targetILNS1_3genE4ELNS1_11target_archE910ELNS1_3gpuE8ELNS1_3repE0EEENS1_30default_config_static_selectorELNS0_4arch9wavefront6targetE0EEEvS10_
    .private_segment_fixed_size: 0
    .sgpr_count:     0
    .sgpr_spill_count: 0
    .symbol:         _ZN7rocprim17ROCPRIM_400000_NS6detail17trampoline_kernelINS0_14default_configENS1_21merge_config_selectorINS0_5tupleIJttEEENS0_10empty_typeEEEZNS1_10merge_implIS3_NS0_12zip_iteratorINS5_IJN6thrust23THRUST_200600_302600_NS6detail15normal_iteratorINSC_10device_ptrIKtEEEESI_EEEEESK_NSA_INS5_IJNSE_INSF_ItEEEESM_EEEEEPS7_SP_SP_NSC_11hip_rocprim7__merge17predicate_wrapperIttNSC_4lessItEEEEEE10hipError_tPvRmT0_T1_T2_T3_T4_T5_mmT6_P12ihipStream_tbEUlT_E0_NS1_11comp_targetILNS1_3genE4ELNS1_11target_archE910ELNS1_3gpuE8ELNS1_3repE0EEENS1_30default_config_static_selectorELNS0_4arch9wavefront6targetE0EEEvS10_.kd
    .uniform_work_group_size: 1
    .uses_dynamic_stack: false
    .vgpr_count:     0
    .vgpr_spill_count: 0
    .wavefront_size: 32
  - .args:
      - .offset:         0
        .size:           112
        .value_kind:     by_value
    .group_segment_fixed_size: 0
    .kernarg_segment_align: 8
    .kernarg_segment_size: 112
    .language:       OpenCL C
    .language_version:
      - 2
      - 0
    .max_flat_workgroup_size: 256
    .name:           _ZN7rocprim17ROCPRIM_400000_NS6detail17trampoline_kernelINS0_14default_configENS1_21merge_config_selectorINS0_5tupleIJttEEENS0_10empty_typeEEEZNS1_10merge_implIS3_NS0_12zip_iteratorINS5_IJN6thrust23THRUST_200600_302600_NS6detail15normal_iteratorINSC_10device_ptrIKtEEEESI_EEEEESK_NSA_INS5_IJNSE_INSF_ItEEEESM_EEEEEPS7_SP_SP_NSC_11hip_rocprim7__merge17predicate_wrapperIttNSC_4lessItEEEEEE10hipError_tPvRmT0_T1_T2_T3_T4_T5_mmT6_P12ihipStream_tbEUlT_E0_NS1_11comp_targetILNS1_3genE3ELNS1_11target_archE908ELNS1_3gpuE7ELNS1_3repE0EEENS1_30default_config_static_selectorELNS0_4arch9wavefront6targetE0EEEvS10_
    .private_segment_fixed_size: 0
    .sgpr_count:     0
    .sgpr_spill_count: 0
    .symbol:         _ZN7rocprim17ROCPRIM_400000_NS6detail17trampoline_kernelINS0_14default_configENS1_21merge_config_selectorINS0_5tupleIJttEEENS0_10empty_typeEEEZNS1_10merge_implIS3_NS0_12zip_iteratorINS5_IJN6thrust23THRUST_200600_302600_NS6detail15normal_iteratorINSC_10device_ptrIKtEEEESI_EEEEESK_NSA_INS5_IJNSE_INSF_ItEEEESM_EEEEEPS7_SP_SP_NSC_11hip_rocprim7__merge17predicate_wrapperIttNSC_4lessItEEEEEE10hipError_tPvRmT0_T1_T2_T3_T4_T5_mmT6_P12ihipStream_tbEUlT_E0_NS1_11comp_targetILNS1_3genE3ELNS1_11target_archE908ELNS1_3gpuE7ELNS1_3repE0EEENS1_30default_config_static_selectorELNS0_4arch9wavefront6targetE0EEEvS10_.kd
    .uniform_work_group_size: 1
    .uses_dynamic_stack: false
    .vgpr_count:     0
    .vgpr_spill_count: 0
    .wavefront_size: 32
  - .args:
      - .offset:         0
        .size:           112
        .value_kind:     by_value
    .group_segment_fixed_size: 0
    .kernarg_segment_align: 8
    .kernarg_segment_size: 112
    .language:       OpenCL C
    .language_version:
      - 2
      - 0
    .max_flat_workgroup_size: 256
    .name:           _ZN7rocprim17ROCPRIM_400000_NS6detail17trampoline_kernelINS0_14default_configENS1_21merge_config_selectorINS0_5tupleIJttEEENS0_10empty_typeEEEZNS1_10merge_implIS3_NS0_12zip_iteratorINS5_IJN6thrust23THRUST_200600_302600_NS6detail15normal_iteratorINSC_10device_ptrIKtEEEESI_EEEEESK_NSA_INS5_IJNSE_INSF_ItEEEESM_EEEEEPS7_SP_SP_NSC_11hip_rocprim7__merge17predicate_wrapperIttNSC_4lessItEEEEEE10hipError_tPvRmT0_T1_T2_T3_T4_T5_mmT6_P12ihipStream_tbEUlT_E0_NS1_11comp_targetILNS1_3genE2ELNS1_11target_archE906ELNS1_3gpuE6ELNS1_3repE0EEENS1_30default_config_static_selectorELNS0_4arch9wavefront6targetE0EEEvS10_
    .private_segment_fixed_size: 0
    .sgpr_count:     0
    .sgpr_spill_count: 0
    .symbol:         _ZN7rocprim17ROCPRIM_400000_NS6detail17trampoline_kernelINS0_14default_configENS1_21merge_config_selectorINS0_5tupleIJttEEENS0_10empty_typeEEEZNS1_10merge_implIS3_NS0_12zip_iteratorINS5_IJN6thrust23THRUST_200600_302600_NS6detail15normal_iteratorINSC_10device_ptrIKtEEEESI_EEEEESK_NSA_INS5_IJNSE_INSF_ItEEEESM_EEEEEPS7_SP_SP_NSC_11hip_rocprim7__merge17predicate_wrapperIttNSC_4lessItEEEEEE10hipError_tPvRmT0_T1_T2_T3_T4_T5_mmT6_P12ihipStream_tbEUlT_E0_NS1_11comp_targetILNS1_3genE2ELNS1_11target_archE906ELNS1_3gpuE6ELNS1_3repE0EEENS1_30default_config_static_selectorELNS0_4arch9wavefront6targetE0EEEvS10_.kd
    .uniform_work_group_size: 1
    .uses_dynamic_stack: false
    .vgpr_count:     0
    .vgpr_spill_count: 0
    .wavefront_size: 32
  - .args:
      - .offset:         0
        .size:           112
        .value_kind:     by_value
    .group_segment_fixed_size: 0
    .kernarg_segment_align: 8
    .kernarg_segment_size: 112
    .language:       OpenCL C
    .language_version:
      - 2
      - 0
    .max_flat_workgroup_size: 1024
    .name:           _ZN7rocprim17ROCPRIM_400000_NS6detail17trampoline_kernelINS0_14default_configENS1_21merge_config_selectorINS0_5tupleIJttEEENS0_10empty_typeEEEZNS1_10merge_implIS3_NS0_12zip_iteratorINS5_IJN6thrust23THRUST_200600_302600_NS6detail15normal_iteratorINSC_10device_ptrIKtEEEESI_EEEEESK_NSA_INS5_IJNSE_INSF_ItEEEESM_EEEEEPS7_SP_SP_NSC_11hip_rocprim7__merge17predicate_wrapperIttNSC_4lessItEEEEEE10hipError_tPvRmT0_T1_T2_T3_T4_T5_mmT6_P12ihipStream_tbEUlT_E0_NS1_11comp_targetILNS1_3genE10ELNS1_11target_archE1201ELNS1_3gpuE5ELNS1_3repE0EEENS1_30default_config_static_selectorELNS0_4arch9wavefront6targetE0EEEvS10_
    .private_segment_fixed_size: 0
    .sgpr_count:     0
    .sgpr_spill_count: 0
    .symbol:         _ZN7rocprim17ROCPRIM_400000_NS6detail17trampoline_kernelINS0_14default_configENS1_21merge_config_selectorINS0_5tupleIJttEEENS0_10empty_typeEEEZNS1_10merge_implIS3_NS0_12zip_iteratorINS5_IJN6thrust23THRUST_200600_302600_NS6detail15normal_iteratorINSC_10device_ptrIKtEEEESI_EEEEESK_NSA_INS5_IJNSE_INSF_ItEEEESM_EEEEEPS7_SP_SP_NSC_11hip_rocprim7__merge17predicate_wrapperIttNSC_4lessItEEEEEE10hipError_tPvRmT0_T1_T2_T3_T4_T5_mmT6_P12ihipStream_tbEUlT_E0_NS1_11comp_targetILNS1_3genE10ELNS1_11target_archE1201ELNS1_3gpuE5ELNS1_3repE0EEENS1_30default_config_static_selectorELNS0_4arch9wavefront6targetE0EEEvS10_.kd
    .uniform_work_group_size: 1
    .uses_dynamic_stack: false
    .vgpr_count:     0
    .vgpr_spill_count: 0
    .wavefront_size: 32
  - .args:
      - .offset:         0
        .size:           112
        .value_kind:     by_value
    .group_segment_fixed_size: 0
    .kernarg_segment_align: 8
    .kernarg_segment_size: 112
    .language:       OpenCL C
    .language_version:
      - 2
      - 0
    .max_flat_workgroup_size: 1024
    .name:           _ZN7rocprim17ROCPRIM_400000_NS6detail17trampoline_kernelINS0_14default_configENS1_21merge_config_selectorINS0_5tupleIJttEEENS0_10empty_typeEEEZNS1_10merge_implIS3_NS0_12zip_iteratorINS5_IJN6thrust23THRUST_200600_302600_NS6detail15normal_iteratorINSC_10device_ptrIKtEEEESI_EEEEESK_NSA_INS5_IJNSE_INSF_ItEEEESM_EEEEEPS7_SP_SP_NSC_11hip_rocprim7__merge17predicate_wrapperIttNSC_4lessItEEEEEE10hipError_tPvRmT0_T1_T2_T3_T4_T5_mmT6_P12ihipStream_tbEUlT_E0_NS1_11comp_targetILNS1_3genE10ELNS1_11target_archE1200ELNS1_3gpuE4ELNS1_3repE0EEENS1_30default_config_static_selectorELNS0_4arch9wavefront6targetE0EEEvS10_
    .private_segment_fixed_size: 0
    .sgpr_count:     0
    .sgpr_spill_count: 0
    .symbol:         _ZN7rocprim17ROCPRIM_400000_NS6detail17trampoline_kernelINS0_14default_configENS1_21merge_config_selectorINS0_5tupleIJttEEENS0_10empty_typeEEEZNS1_10merge_implIS3_NS0_12zip_iteratorINS5_IJN6thrust23THRUST_200600_302600_NS6detail15normal_iteratorINSC_10device_ptrIKtEEEESI_EEEEESK_NSA_INS5_IJNSE_INSF_ItEEEESM_EEEEEPS7_SP_SP_NSC_11hip_rocprim7__merge17predicate_wrapperIttNSC_4lessItEEEEEE10hipError_tPvRmT0_T1_T2_T3_T4_T5_mmT6_P12ihipStream_tbEUlT_E0_NS1_11comp_targetILNS1_3genE10ELNS1_11target_archE1200ELNS1_3gpuE4ELNS1_3repE0EEENS1_30default_config_static_selectorELNS0_4arch9wavefront6targetE0EEEvS10_.kd
    .uniform_work_group_size: 1
    .uses_dynamic_stack: false
    .vgpr_count:     0
    .vgpr_spill_count: 0
    .wavefront_size: 32
  - .args:
      - .offset:         0
        .size:           112
        .value_kind:     by_value
    .group_segment_fixed_size: 0
    .kernarg_segment_align: 8
    .kernarg_segment_size: 112
    .language:       OpenCL C
    .language_version:
      - 2
      - 0
    .max_flat_workgroup_size: 1024
    .name:           _ZN7rocprim17ROCPRIM_400000_NS6detail17trampoline_kernelINS0_14default_configENS1_21merge_config_selectorINS0_5tupleIJttEEENS0_10empty_typeEEEZNS1_10merge_implIS3_NS0_12zip_iteratorINS5_IJN6thrust23THRUST_200600_302600_NS6detail15normal_iteratorINSC_10device_ptrIKtEEEESI_EEEEESK_NSA_INS5_IJNSE_INSF_ItEEEESM_EEEEEPS7_SP_SP_NSC_11hip_rocprim7__merge17predicate_wrapperIttNSC_4lessItEEEEEE10hipError_tPvRmT0_T1_T2_T3_T4_T5_mmT6_P12ihipStream_tbEUlT_E0_NS1_11comp_targetILNS1_3genE9ELNS1_11target_archE1100ELNS1_3gpuE3ELNS1_3repE0EEENS1_30default_config_static_selectorELNS0_4arch9wavefront6targetE0EEEvS10_
    .private_segment_fixed_size: 0
    .sgpr_count:     0
    .sgpr_spill_count: 0
    .symbol:         _ZN7rocprim17ROCPRIM_400000_NS6detail17trampoline_kernelINS0_14default_configENS1_21merge_config_selectorINS0_5tupleIJttEEENS0_10empty_typeEEEZNS1_10merge_implIS3_NS0_12zip_iteratorINS5_IJN6thrust23THRUST_200600_302600_NS6detail15normal_iteratorINSC_10device_ptrIKtEEEESI_EEEEESK_NSA_INS5_IJNSE_INSF_ItEEEESM_EEEEEPS7_SP_SP_NSC_11hip_rocprim7__merge17predicate_wrapperIttNSC_4lessItEEEEEE10hipError_tPvRmT0_T1_T2_T3_T4_T5_mmT6_P12ihipStream_tbEUlT_E0_NS1_11comp_targetILNS1_3genE9ELNS1_11target_archE1100ELNS1_3gpuE3ELNS1_3repE0EEENS1_30default_config_static_selectorELNS0_4arch9wavefront6targetE0EEEvS10_.kd
    .uniform_work_group_size: 1
    .uses_dynamic_stack: false
    .vgpr_count:     0
    .vgpr_spill_count: 0
    .wavefront_size: 32
  - .args:
      - .offset:         0
        .size:           112
        .value_kind:     by_value
    .group_segment_fixed_size: 0
    .kernarg_segment_align: 8
    .kernarg_segment_size: 112
    .language:       OpenCL C
    .language_version:
      - 2
      - 0
    .max_flat_workgroup_size: 1024
    .name:           _ZN7rocprim17ROCPRIM_400000_NS6detail17trampoline_kernelINS0_14default_configENS1_21merge_config_selectorINS0_5tupleIJttEEENS0_10empty_typeEEEZNS1_10merge_implIS3_NS0_12zip_iteratorINS5_IJN6thrust23THRUST_200600_302600_NS6detail15normal_iteratorINSC_10device_ptrIKtEEEESI_EEEEESK_NSA_INS5_IJNSE_INSF_ItEEEESM_EEEEEPS7_SP_SP_NSC_11hip_rocprim7__merge17predicate_wrapperIttNSC_4lessItEEEEEE10hipError_tPvRmT0_T1_T2_T3_T4_T5_mmT6_P12ihipStream_tbEUlT_E0_NS1_11comp_targetILNS1_3genE8ELNS1_11target_archE1030ELNS1_3gpuE2ELNS1_3repE0EEENS1_30default_config_static_selectorELNS0_4arch9wavefront6targetE0EEEvS10_
    .private_segment_fixed_size: 0
    .sgpr_count:     0
    .sgpr_spill_count: 0
    .symbol:         _ZN7rocprim17ROCPRIM_400000_NS6detail17trampoline_kernelINS0_14default_configENS1_21merge_config_selectorINS0_5tupleIJttEEENS0_10empty_typeEEEZNS1_10merge_implIS3_NS0_12zip_iteratorINS5_IJN6thrust23THRUST_200600_302600_NS6detail15normal_iteratorINSC_10device_ptrIKtEEEESI_EEEEESK_NSA_INS5_IJNSE_INSF_ItEEEESM_EEEEEPS7_SP_SP_NSC_11hip_rocprim7__merge17predicate_wrapperIttNSC_4lessItEEEEEE10hipError_tPvRmT0_T1_T2_T3_T4_T5_mmT6_P12ihipStream_tbEUlT_E0_NS1_11comp_targetILNS1_3genE8ELNS1_11target_archE1030ELNS1_3gpuE2ELNS1_3repE0EEENS1_30default_config_static_selectorELNS0_4arch9wavefront6targetE0EEEvS10_.kd
    .uniform_work_group_size: 1
    .uses_dynamic_stack: false
    .vgpr_count:     0
    .vgpr_spill_count: 0
    .wavefront_size: 32
  - .args:
      - .offset:         0
        .size:           104
        .value_kind:     by_value
    .group_segment_fixed_size: 128
    .kernarg_segment_align: 8
    .kernarg_segment_size: 104
    .language:       OpenCL C
    .language_version:
      - 2
      - 0
    .max_flat_workgroup_size: 128
    .name:           _ZN7rocprim17ROCPRIM_400000_NS6detail17trampoline_kernelINS0_14default_configENS1_22reduce_config_selectorIN6thrust23THRUST_200600_302600_NS5tupleIblNS6_9null_typeES8_S8_S8_S8_S8_S8_S8_EEEEZNS1_11reduce_implILb1ES3_NS6_12zip_iteratorINS7_INS6_11hip_rocprim26transform_input_iterator_tIbNSD_35transform_pair_of_input_iterators_tIbNS6_6detail15normal_iteratorINS6_10device_ptrIKtEEEESL_NS6_8equal_toItEEEENSG_9not_fun_tINSD_8identityEEEEENSD_19counting_iterator_tIlEES8_S8_S8_S8_S8_S8_S8_S8_EEEEPS9_S9_NSD_9__find_if7functorIS9_EEEE10hipError_tPvRmT1_T2_T3_mT4_P12ihipStream_tbEUlT_E0_NS1_11comp_targetILNS1_3genE0ELNS1_11target_archE4294967295ELNS1_3gpuE0ELNS1_3repE0EEENS1_30default_config_static_selectorELNS0_4arch9wavefront6targetE0EEEvS14_
    .private_segment_fixed_size: 0
    .sgpr_count:     30
    .sgpr_spill_count: 0
    .symbol:         _ZN7rocprim17ROCPRIM_400000_NS6detail17trampoline_kernelINS0_14default_configENS1_22reduce_config_selectorIN6thrust23THRUST_200600_302600_NS5tupleIblNS6_9null_typeES8_S8_S8_S8_S8_S8_S8_EEEEZNS1_11reduce_implILb1ES3_NS6_12zip_iteratorINS7_INS6_11hip_rocprim26transform_input_iterator_tIbNSD_35transform_pair_of_input_iterators_tIbNS6_6detail15normal_iteratorINS6_10device_ptrIKtEEEESL_NS6_8equal_toItEEEENSG_9not_fun_tINSD_8identityEEEEENSD_19counting_iterator_tIlEES8_S8_S8_S8_S8_S8_S8_S8_EEEEPS9_S9_NSD_9__find_if7functorIS9_EEEE10hipError_tPvRmT1_T2_T3_mT4_P12ihipStream_tbEUlT_E0_NS1_11comp_targetILNS1_3genE0ELNS1_11target_archE4294967295ELNS1_3gpuE0ELNS1_3repE0EEENS1_30default_config_static_selectorELNS0_4arch9wavefront6targetE0EEEvS14_.kd
    .uniform_work_group_size: 1
    .uses_dynamic_stack: false
    .vgpr_count:     14
    .vgpr_spill_count: 0
    .wavefront_size: 32
  - .args:
      - .offset:         0
        .size:           104
        .value_kind:     by_value
    .group_segment_fixed_size: 0
    .kernarg_segment_align: 8
    .kernarg_segment_size: 104
    .language:       OpenCL C
    .language_version:
      - 2
      - 0
    .max_flat_workgroup_size: 256
    .name:           _ZN7rocprim17ROCPRIM_400000_NS6detail17trampoline_kernelINS0_14default_configENS1_22reduce_config_selectorIN6thrust23THRUST_200600_302600_NS5tupleIblNS6_9null_typeES8_S8_S8_S8_S8_S8_S8_EEEEZNS1_11reduce_implILb1ES3_NS6_12zip_iteratorINS7_INS6_11hip_rocprim26transform_input_iterator_tIbNSD_35transform_pair_of_input_iterators_tIbNS6_6detail15normal_iteratorINS6_10device_ptrIKtEEEESL_NS6_8equal_toItEEEENSG_9not_fun_tINSD_8identityEEEEENSD_19counting_iterator_tIlEES8_S8_S8_S8_S8_S8_S8_S8_EEEEPS9_S9_NSD_9__find_if7functorIS9_EEEE10hipError_tPvRmT1_T2_T3_mT4_P12ihipStream_tbEUlT_E0_NS1_11comp_targetILNS1_3genE5ELNS1_11target_archE942ELNS1_3gpuE9ELNS1_3repE0EEENS1_30default_config_static_selectorELNS0_4arch9wavefront6targetE0EEEvS14_
    .private_segment_fixed_size: 0
    .sgpr_count:     0
    .sgpr_spill_count: 0
    .symbol:         _ZN7rocprim17ROCPRIM_400000_NS6detail17trampoline_kernelINS0_14default_configENS1_22reduce_config_selectorIN6thrust23THRUST_200600_302600_NS5tupleIblNS6_9null_typeES8_S8_S8_S8_S8_S8_S8_EEEEZNS1_11reduce_implILb1ES3_NS6_12zip_iteratorINS7_INS6_11hip_rocprim26transform_input_iterator_tIbNSD_35transform_pair_of_input_iterators_tIbNS6_6detail15normal_iteratorINS6_10device_ptrIKtEEEESL_NS6_8equal_toItEEEENSG_9not_fun_tINSD_8identityEEEEENSD_19counting_iterator_tIlEES8_S8_S8_S8_S8_S8_S8_S8_EEEEPS9_S9_NSD_9__find_if7functorIS9_EEEE10hipError_tPvRmT1_T2_T3_mT4_P12ihipStream_tbEUlT_E0_NS1_11comp_targetILNS1_3genE5ELNS1_11target_archE942ELNS1_3gpuE9ELNS1_3repE0EEENS1_30default_config_static_selectorELNS0_4arch9wavefront6targetE0EEEvS14_.kd
    .uniform_work_group_size: 1
    .uses_dynamic_stack: false
    .vgpr_count:     0
    .vgpr_spill_count: 0
    .wavefront_size: 32
  - .args:
      - .offset:         0
        .size:           104
        .value_kind:     by_value
    .group_segment_fixed_size: 0
    .kernarg_segment_align: 8
    .kernarg_segment_size: 104
    .language:       OpenCL C
    .language_version:
      - 2
      - 0
    .max_flat_workgroup_size: 256
    .name:           _ZN7rocprim17ROCPRIM_400000_NS6detail17trampoline_kernelINS0_14default_configENS1_22reduce_config_selectorIN6thrust23THRUST_200600_302600_NS5tupleIblNS6_9null_typeES8_S8_S8_S8_S8_S8_S8_EEEEZNS1_11reduce_implILb1ES3_NS6_12zip_iteratorINS7_INS6_11hip_rocprim26transform_input_iterator_tIbNSD_35transform_pair_of_input_iterators_tIbNS6_6detail15normal_iteratorINS6_10device_ptrIKtEEEESL_NS6_8equal_toItEEEENSG_9not_fun_tINSD_8identityEEEEENSD_19counting_iterator_tIlEES8_S8_S8_S8_S8_S8_S8_S8_EEEEPS9_S9_NSD_9__find_if7functorIS9_EEEE10hipError_tPvRmT1_T2_T3_mT4_P12ihipStream_tbEUlT_E0_NS1_11comp_targetILNS1_3genE4ELNS1_11target_archE910ELNS1_3gpuE8ELNS1_3repE0EEENS1_30default_config_static_selectorELNS0_4arch9wavefront6targetE0EEEvS14_
    .private_segment_fixed_size: 0
    .sgpr_count:     0
    .sgpr_spill_count: 0
    .symbol:         _ZN7rocprim17ROCPRIM_400000_NS6detail17trampoline_kernelINS0_14default_configENS1_22reduce_config_selectorIN6thrust23THRUST_200600_302600_NS5tupleIblNS6_9null_typeES8_S8_S8_S8_S8_S8_S8_EEEEZNS1_11reduce_implILb1ES3_NS6_12zip_iteratorINS7_INS6_11hip_rocprim26transform_input_iterator_tIbNSD_35transform_pair_of_input_iterators_tIbNS6_6detail15normal_iteratorINS6_10device_ptrIKtEEEESL_NS6_8equal_toItEEEENSG_9not_fun_tINSD_8identityEEEEENSD_19counting_iterator_tIlEES8_S8_S8_S8_S8_S8_S8_S8_EEEEPS9_S9_NSD_9__find_if7functorIS9_EEEE10hipError_tPvRmT1_T2_T3_mT4_P12ihipStream_tbEUlT_E0_NS1_11comp_targetILNS1_3genE4ELNS1_11target_archE910ELNS1_3gpuE8ELNS1_3repE0EEENS1_30default_config_static_selectorELNS0_4arch9wavefront6targetE0EEEvS14_.kd
    .uniform_work_group_size: 1
    .uses_dynamic_stack: false
    .vgpr_count:     0
    .vgpr_spill_count: 0
    .wavefront_size: 32
  - .args:
      - .offset:         0
        .size:           104
        .value_kind:     by_value
    .group_segment_fixed_size: 0
    .kernarg_segment_align: 8
    .kernarg_segment_size: 104
    .language:       OpenCL C
    .language_version:
      - 2
      - 0
    .max_flat_workgroup_size: 128
    .name:           _ZN7rocprim17ROCPRIM_400000_NS6detail17trampoline_kernelINS0_14default_configENS1_22reduce_config_selectorIN6thrust23THRUST_200600_302600_NS5tupleIblNS6_9null_typeES8_S8_S8_S8_S8_S8_S8_EEEEZNS1_11reduce_implILb1ES3_NS6_12zip_iteratorINS7_INS6_11hip_rocprim26transform_input_iterator_tIbNSD_35transform_pair_of_input_iterators_tIbNS6_6detail15normal_iteratorINS6_10device_ptrIKtEEEESL_NS6_8equal_toItEEEENSG_9not_fun_tINSD_8identityEEEEENSD_19counting_iterator_tIlEES8_S8_S8_S8_S8_S8_S8_S8_EEEEPS9_S9_NSD_9__find_if7functorIS9_EEEE10hipError_tPvRmT1_T2_T3_mT4_P12ihipStream_tbEUlT_E0_NS1_11comp_targetILNS1_3genE3ELNS1_11target_archE908ELNS1_3gpuE7ELNS1_3repE0EEENS1_30default_config_static_selectorELNS0_4arch9wavefront6targetE0EEEvS14_
    .private_segment_fixed_size: 0
    .sgpr_count:     0
    .sgpr_spill_count: 0
    .symbol:         _ZN7rocprim17ROCPRIM_400000_NS6detail17trampoline_kernelINS0_14default_configENS1_22reduce_config_selectorIN6thrust23THRUST_200600_302600_NS5tupleIblNS6_9null_typeES8_S8_S8_S8_S8_S8_S8_EEEEZNS1_11reduce_implILb1ES3_NS6_12zip_iteratorINS7_INS6_11hip_rocprim26transform_input_iterator_tIbNSD_35transform_pair_of_input_iterators_tIbNS6_6detail15normal_iteratorINS6_10device_ptrIKtEEEESL_NS6_8equal_toItEEEENSG_9not_fun_tINSD_8identityEEEEENSD_19counting_iterator_tIlEES8_S8_S8_S8_S8_S8_S8_S8_EEEEPS9_S9_NSD_9__find_if7functorIS9_EEEE10hipError_tPvRmT1_T2_T3_mT4_P12ihipStream_tbEUlT_E0_NS1_11comp_targetILNS1_3genE3ELNS1_11target_archE908ELNS1_3gpuE7ELNS1_3repE0EEENS1_30default_config_static_selectorELNS0_4arch9wavefront6targetE0EEEvS14_.kd
    .uniform_work_group_size: 1
    .uses_dynamic_stack: false
    .vgpr_count:     0
    .vgpr_spill_count: 0
    .wavefront_size: 32
  - .args:
      - .offset:         0
        .size:           104
        .value_kind:     by_value
    .group_segment_fixed_size: 0
    .kernarg_segment_align: 8
    .kernarg_segment_size: 104
    .language:       OpenCL C
    .language_version:
      - 2
      - 0
    .max_flat_workgroup_size: 128
    .name:           _ZN7rocprim17ROCPRIM_400000_NS6detail17trampoline_kernelINS0_14default_configENS1_22reduce_config_selectorIN6thrust23THRUST_200600_302600_NS5tupleIblNS6_9null_typeES8_S8_S8_S8_S8_S8_S8_EEEEZNS1_11reduce_implILb1ES3_NS6_12zip_iteratorINS7_INS6_11hip_rocprim26transform_input_iterator_tIbNSD_35transform_pair_of_input_iterators_tIbNS6_6detail15normal_iteratorINS6_10device_ptrIKtEEEESL_NS6_8equal_toItEEEENSG_9not_fun_tINSD_8identityEEEEENSD_19counting_iterator_tIlEES8_S8_S8_S8_S8_S8_S8_S8_EEEEPS9_S9_NSD_9__find_if7functorIS9_EEEE10hipError_tPvRmT1_T2_T3_mT4_P12ihipStream_tbEUlT_E0_NS1_11comp_targetILNS1_3genE2ELNS1_11target_archE906ELNS1_3gpuE6ELNS1_3repE0EEENS1_30default_config_static_selectorELNS0_4arch9wavefront6targetE0EEEvS14_
    .private_segment_fixed_size: 0
    .sgpr_count:     0
    .sgpr_spill_count: 0
    .symbol:         _ZN7rocprim17ROCPRIM_400000_NS6detail17trampoline_kernelINS0_14default_configENS1_22reduce_config_selectorIN6thrust23THRUST_200600_302600_NS5tupleIblNS6_9null_typeES8_S8_S8_S8_S8_S8_S8_EEEEZNS1_11reduce_implILb1ES3_NS6_12zip_iteratorINS7_INS6_11hip_rocprim26transform_input_iterator_tIbNSD_35transform_pair_of_input_iterators_tIbNS6_6detail15normal_iteratorINS6_10device_ptrIKtEEEESL_NS6_8equal_toItEEEENSG_9not_fun_tINSD_8identityEEEEENSD_19counting_iterator_tIlEES8_S8_S8_S8_S8_S8_S8_S8_EEEEPS9_S9_NSD_9__find_if7functorIS9_EEEE10hipError_tPvRmT1_T2_T3_mT4_P12ihipStream_tbEUlT_E0_NS1_11comp_targetILNS1_3genE2ELNS1_11target_archE906ELNS1_3gpuE6ELNS1_3repE0EEENS1_30default_config_static_selectorELNS0_4arch9wavefront6targetE0EEEvS14_.kd
    .uniform_work_group_size: 1
    .uses_dynamic_stack: false
    .vgpr_count:     0
    .vgpr_spill_count: 0
    .wavefront_size: 32
  - .args:
      - .offset:         0
        .size:           104
        .value_kind:     by_value
    .group_segment_fixed_size: 0
    .kernarg_segment_align: 8
    .kernarg_segment_size: 104
    .language:       OpenCL C
    .language_version:
      - 2
      - 0
    .max_flat_workgroup_size: 256
    .name:           _ZN7rocprim17ROCPRIM_400000_NS6detail17trampoline_kernelINS0_14default_configENS1_22reduce_config_selectorIN6thrust23THRUST_200600_302600_NS5tupleIblNS6_9null_typeES8_S8_S8_S8_S8_S8_S8_EEEEZNS1_11reduce_implILb1ES3_NS6_12zip_iteratorINS7_INS6_11hip_rocprim26transform_input_iterator_tIbNSD_35transform_pair_of_input_iterators_tIbNS6_6detail15normal_iteratorINS6_10device_ptrIKtEEEESL_NS6_8equal_toItEEEENSG_9not_fun_tINSD_8identityEEEEENSD_19counting_iterator_tIlEES8_S8_S8_S8_S8_S8_S8_S8_EEEEPS9_S9_NSD_9__find_if7functorIS9_EEEE10hipError_tPvRmT1_T2_T3_mT4_P12ihipStream_tbEUlT_E0_NS1_11comp_targetILNS1_3genE10ELNS1_11target_archE1201ELNS1_3gpuE5ELNS1_3repE0EEENS1_30default_config_static_selectorELNS0_4arch9wavefront6targetE0EEEvS14_
    .private_segment_fixed_size: 0
    .sgpr_count:     0
    .sgpr_spill_count: 0
    .symbol:         _ZN7rocprim17ROCPRIM_400000_NS6detail17trampoline_kernelINS0_14default_configENS1_22reduce_config_selectorIN6thrust23THRUST_200600_302600_NS5tupleIblNS6_9null_typeES8_S8_S8_S8_S8_S8_S8_EEEEZNS1_11reduce_implILb1ES3_NS6_12zip_iteratorINS7_INS6_11hip_rocprim26transform_input_iterator_tIbNSD_35transform_pair_of_input_iterators_tIbNS6_6detail15normal_iteratorINS6_10device_ptrIKtEEEESL_NS6_8equal_toItEEEENSG_9not_fun_tINSD_8identityEEEEENSD_19counting_iterator_tIlEES8_S8_S8_S8_S8_S8_S8_S8_EEEEPS9_S9_NSD_9__find_if7functorIS9_EEEE10hipError_tPvRmT1_T2_T3_mT4_P12ihipStream_tbEUlT_E0_NS1_11comp_targetILNS1_3genE10ELNS1_11target_archE1201ELNS1_3gpuE5ELNS1_3repE0EEENS1_30default_config_static_selectorELNS0_4arch9wavefront6targetE0EEEvS14_.kd
    .uniform_work_group_size: 1
    .uses_dynamic_stack: false
    .vgpr_count:     0
    .vgpr_spill_count: 0
    .wavefront_size: 32
  - .args:
      - .offset:         0
        .size:           104
        .value_kind:     by_value
    .group_segment_fixed_size: 0
    .kernarg_segment_align: 8
    .kernarg_segment_size: 104
    .language:       OpenCL C
    .language_version:
      - 2
      - 0
    .max_flat_workgroup_size: 256
    .name:           _ZN7rocprim17ROCPRIM_400000_NS6detail17trampoline_kernelINS0_14default_configENS1_22reduce_config_selectorIN6thrust23THRUST_200600_302600_NS5tupleIblNS6_9null_typeES8_S8_S8_S8_S8_S8_S8_EEEEZNS1_11reduce_implILb1ES3_NS6_12zip_iteratorINS7_INS6_11hip_rocprim26transform_input_iterator_tIbNSD_35transform_pair_of_input_iterators_tIbNS6_6detail15normal_iteratorINS6_10device_ptrIKtEEEESL_NS6_8equal_toItEEEENSG_9not_fun_tINSD_8identityEEEEENSD_19counting_iterator_tIlEES8_S8_S8_S8_S8_S8_S8_S8_EEEEPS9_S9_NSD_9__find_if7functorIS9_EEEE10hipError_tPvRmT1_T2_T3_mT4_P12ihipStream_tbEUlT_E0_NS1_11comp_targetILNS1_3genE10ELNS1_11target_archE1200ELNS1_3gpuE4ELNS1_3repE0EEENS1_30default_config_static_selectorELNS0_4arch9wavefront6targetE0EEEvS14_
    .private_segment_fixed_size: 0
    .sgpr_count:     0
    .sgpr_spill_count: 0
    .symbol:         _ZN7rocprim17ROCPRIM_400000_NS6detail17trampoline_kernelINS0_14default_configENS1_22reduce_config_selectorIN6thrust23THRUST_200600_302600_NS5tupleIblNS6_9null_typeES8_S8_S8_S8_S8_S8_S8_EEEEZNS1_11reduce_implILb1ES3_NS6_12zip_iteratorINS7_INS6_11hip_rocprim26transform_input_iterator_tIbNSD_35transform_pair_of_input_iterators_tIbNS6_6detail15normal_iteratorINS6_10device_ptrIKtEEEESL_NS6_8equal_toItEEEENSG_9not_fun_tINSD_8identityEEEEENSD_19counting_iterator_tIlEES8_S8_S8_S8_S8_S8_S8_S8_EEEEPS9_S9_NSD_9__find_if7functorIS9_EEEE10hipError_tPvRmT1_T2_T3_mT4_P12ihipStream_tbEUlT_E0_NS1_11comp_targetILNS1_3genE10ELNS1_11target_archE1200ELNS1_3gpuE4ELNS1_3repE0EEENS1_30default_config_static_selectorELNS0_4arch9wavefront6targetE0EEEvS14_.kd
    .uniform_work_group_size: 1
    .uses_dynamic_stack: false
    .vgpr_count:     0
    .vgpr_spill_count: 0
    .wavefront_size: 32
  - .args:
      - .offset:         0
        .size:           104
        .value_kind:     by_value
    .group_segment_fixed_size: 0
    .kernarg_segment_align: 8
    .kernarg_segment_size: 104
    .language:       OpenCL C
    .language_version:
      - 2
      - 0
    .max_flat_workgroup_size: 256
    .name:           _ZN7rocprim17ROCPRIM_400000_NS6detail17trampoline_kernelINS0_14default_configENS1_22reduce_config_selectorIN6thrust23THRUST_200600_302600_NS5tupleIblNS6_9null_typeES8_S8_S8_S8_S8_S8_S8_EEEEZNS1_11reduce_implILb1ES3_NS6_12zip_iteratorINS7_INS6_11hip_rocprim26transform_input_iterator_tIbNSD_35transform_pair_of_input_iterators_tIbNS6_6detail15normal_iteratorINS6_10device_ptrIKtEEEESL_NS6_8equal_toItEEEENSG_9not_fun_tINSD_8identityEEEEENSD_19counting_iterator_tIlEES8_S8_S8_S8_S8_S8_S8_S8_EEEEPS9_S9_NSD_9__find_if7functorIS9_EEEE10hipError_tPvRmT1_T2_T3_mT4_P12ihipStream_tbEUlT_E0_NS1_11comp_targetILNS1_3genE9ELNS1_11target_archE1100ELNS1_3gpuE3ELNS1_3repE0EEENS1_30default_config_static_selectorELNS0_4arch9wavefront6targetE0EEEvS14_
    .private_segment_fixed_size: 0
    .sgpr_count:     0
    .sgpr_spill_count: 0
    .symbol:         _ZN7rocprim17ROCPRIM_400000_NS6detail17trampoline_kernelINS0_14default_configENS1_22reduce_config_selectorIN6thrust23THRUST_200600_302600_NS5tupleIblNS6_9null_typeES8_S8_S8_S8_S8_S8_S8_EEEEZNS1_11reduce_implILb1ES3_NS6_12zip_iteratorINS7_INS6_11hip_rocprim26transform_input_iterator_tIbNSD_35transform_pair_of_input_iterators_tIbNS6_6detail15normal_iteratorINS6_10device_ptrIKtEEEESL_NS6_8equal_toItEEEENSG_9not_fun_tINSD_8identityEEEEENSD_19counting_iterator_tIlEES8_S8_S8_S8_S8_S8_S8_S8_EEEEPS9_S9_NSD_9__find_if7functorIS9_EEEE10hipError_tPvRmT1_T2_T3_mT4_P12ihipStream_tbEUlT_E0_NS1_11comp_targetILNS1_3genE9ELNS1_11target_archE1100ELNS1_3gpuE3ELNS1_3repE0EEENS1_30default_config_static_selectorELNS0_4arch9wavefront6targetE0EEEvS14_.kd
    .uniform_work_group_size: 1
    .uses_dynamic_stack: false
    .vgpr_count:     0
    .vgpr_spill_count: 0
    .wavefront_size: 32
  - .args:
      - .offset:         0
        .size:           104
        .value_kind:     by_value
    .group_segment_fixed_size: 0
    .kernarg_segment_align: 8
    .kernarg_segment_size: 104
    .language:       OpenCL C
    .language_version:
      - 2
      - 0
    .max_flat_workgroup_size: 256
    .name:           _ZN7rocprim17ROCPRIM_400000_NS6detail17trampoline_kernelINS0_14default_configENS1_22reduce_config_selectorIN6thrust23THRUST_200600_302600_NS5tupleIblNS6_9null_typeES8_S8_S8_S8_S8_S8_S8_EEEEZNS1_11reduce_implILb1ES3_NS6_12zip_iteratorINS7_INS6_11hip_rocprim26transform_input_iterator_tIbNSD_35transform_pair_of_input_iterators_tIbNS6_6detail15normal_iteratorINS6_10device_ptrIKtEEEESL_NS6_8equal_toItEEEENSG_9not_fun_tINSD_8identityEEEEENSD_19counting_iterator_tIlEES8_S8_S8_S8_S8_S8_S8_S8_EEEEPS9_S9_NSD_9__find_if7functorIS9_EEEE10hipError_tPvRmT1_T2_T3_mT4_P12ihipStream_tbEUlT_E0_NS1_11comp_targetILNS1_3genE8ELNS1_11target_archE1030ELNS1_3gpuE2ELNS1_3repE0EEENS1_30default_config_static_selectorELNS0_4arch9wavefront6targetE0EEEvS14_
    .private_segment_fixed_size: 0
    .sgpr_count:     0
    .sgpr_spill_count: 0
    .symbol:         _ZN7rocprim17ROCPRIM_400000_NS6detail17trampoline_kernelINS0_14default_configENS1_22reduce_config_selectorIN6thrust23THRUST_200600_302600_NS5tupleIblNS6_9null_typeES8_S8_S8_S8_S8_S8_S8_EEEEZNS1_11reduce_implILb1ES3_NS6_12zip_iteratorINS7_INS6_11hip_rocprim26transform_input_iterator_tIbNSD_35transform_pair_of_input_iterators_tIbNS6_6detail15normal_iteratorINS6_10device_ptrIKtEEEESL_NS6_8equal_toItEEEENSG_9not_fun_tINSD_8identityEEEEENSD_19counting_iterator_tIlEES8_S8_S8_S8_S8_S8_S8_S8_EEEEPS9_S9_NSD_9__find_if7functorIS9_EEEE10hipError_tPvRmT1_T2_T3_mT4_P12ihipStream_tbEUlT_E0_NS1_11comp_targetILNS1_3genE8ELNS1_11target_archE1030ELNS1_3gpuE2ELNS1_3repE0EEENS1_30default_config_static_selectorELNS0_4arch9wavefront6targetE0EEEvS14_.kd
    .uniform_work_group_size: 1
    .uses_dynamic_stack: false
    .vgpr_count:     0
    .vgpr_spill_count: 0
    .wavefront_size: 32
  - .args:
      - .offset:         0
        .size:           88
        .value_kind:     by_value
    .group_segment_fixed_size: 320
    .kernarg_segment_align: 8
    .kernarg_segment_size: 88
    .language:       OpenCL C
    .language_version:
      - 2
      - 0
    .max_flat_workgroup_size: 128
    .name:           _ZN7rocprim17ROCPRIM_400000_NS6detail17trampoline_kernelINS0_14default_configENS1_22reduce_config_selectorIN6thrust23THRUST_200600_302600_NS5tupleIblNS6_9null_typeES8_S8_S8_S8_S8_S8_S8_EEEEZNS1_11reduce_implILb1ES3_NS6_12zip_iteratorINS7_INS6_11hip_rocprim26transform_input_iterator_tIbNSD_35transform_pair_of_input_iterators_tIbNS6_6detail15normal_iteratorINS6_10device_ptrIKtEEEESL_NS6_8equal_toItEEEENSG_9not_fun_tINSD_8identityEEEEENSD_19counting_iterator_tIlEES8_S8_S8_S8_S8_S8_S8_S8_EEEEPS9_S9_NSD_9__find_if7functorIS9_EEEE10hipError_tPvRmT1_T2_T3_mT4_P12ihipStream_tbEUlT_E1_NS1_11comp_targetILNS1_3genE0ELNS1_11target_archE4294967295ELNS1_3gpuE0ELNS1_3repE0EEENS1_30default_config_static_selectorELNS0_4arch9wavefront6targetE0EEEvS14_
    .private_segment_fixed_size: 0
    .sgpr_count:     30
    .sgpr_spill_count: 0
    .symbol:         _ZN7rocprim17ROCPRIM_400000_NS6detail17trampoline_kernelINS0_14default_configENS1_22reduce_config_selectorIN6thrust23THRUST_200600_302600_NS5tupleIblNS6_9null_typeES8_S8_S8_S8_S8_S8_S8_EEEEZNS1_11reduce_implILb1ES3_NS6_12zip_iteratorINS7_INS6_11hip_rocprim26transform_input_iterator_tIbNSD_35transform_pair_of_input_iterators_tIbNS6_6detail15normal_iteratorINS6_10device_ptrIKtEEEESL_NS6_8equal_toItEEEENSG_9not_fun_tINSD_8identityEEEEENSD_19counting_iterator_tIlEES8_S8_S8_S8_S8_S8_S8_S8_EEEEPS9_S9_NSD_9__find_if7functorIS9_EEEE10hipError_tPvRmT1_T2_T3_mT4_P12ihipStream_tbEUlT_E1_NS1_11comp_targetILNS1_3genE0ELNS1_11target_archE4294967295ELNS1_3gpuE0ELNS1_3repE0EEENS1_30default_config_static_selectorELNS0_4arch9wavefront6targetE0EEEvS14_.kd
    .uniform_work_group_size: 1
    .uses_dynamic_stack: false
    .vgpr_count:     28
    .vgpr_spill_count: 0
    .wavefront_size: 32
  - .args:
      - .offset:         0
        .size:           88
        .value_kind:     by_value
    .group_segment_fixed_size: 0
    .kernarg_segment_align: 8
    .kernarg_segment_size: 88
    .language:       OpenCL C
    .language_version:
      - 2
      - 0
    .max_flat_workgroup_size: 256
    .name:           _ZN7rocprim17ROCPRIM_400000_NS6detail17trampoline_kernelINS0_14default_configENS1_22reduce_config_selectorIN6thrust23THRUST_200600_302600_NS5tupleIblNS6_9null_typeES8_S8_S8_S8_S8_S8_S8_EEEEZNS1_11reduce_implILb1ES3_NS6_12zip_iteratorINS7_INS6_11hip_rocprim26transform_input_iterator_tIbNSD_35transform_pair_of_input_iterators_tIbNS6_6detail15normal_iteratorINS6_10device_ptrIKtEEEESL_NS6_8equal_toItEEEENSG_9not_fun_tINSD_8identityEEEEENSD_19counting_iterator_tIlEES8_S8_S8_S8_S8_S8_S8_S8_EEEEPS9_S9_NSD_9__find_if7functorIS9_EEEE10hipError_tPvRmT1_T2_T3_mT4_P12ihipStream_tbEUlT_E1_NS1_11comp_targetILNS1_3genE5ELNS1_11target_archE942ELNS1_3gpuE9ELNS1_3repE0EEENS1_30default_config_static_selectorELNS0_4arch9wavefront6targetE0EEEvS14_
    .private_segment_fixed_size: 0
    .sgpr_count:     0
    .sgpr_spill_count: 0
    .symbol:         _ZN7rocprim17ROCPRIM_400000_NS6detail17trampoline_kernelINS0_14default_configENS1_22reduce_config_selectorIN6thrust23THRUST_200600_302600_NS5tupleIblNS6_9null_typeES8_S8_S8_S8_S8_S8_S8_EEEEZNS1_11reduce_implILb1ES3_NS6_12zip_iteratorINS7_INS6_11hip_rocprim26transform_input_iterator_tIbNSD_35transform_pair_of_input_iterators_tIbNS6_6detail15normal_iteratorINS6_10device_ptrIKtEEEESL_NS6_8equal_toItEEEENSG_9not_fun_tINSD_8identityEEEEENSD_19counting_iterator_tIlEES8_S8_S8_S8_S8_S8_S8_S8_EEEEPS9_S9_NSD_9__find_if7functorIS9_EEEE10hipError_tPvRmT1_T2_T3_mT4_P12ihipStream_tbEUlT_E1_NS1_11comp_targetILNS1_3genE5ELNS1_11target_archE942ELNS1_3gpuE9ELNS1_3repE0EEENS1_30default_config_static_selectorELNS0_4arch9wavefront6targetE0EEEvS14_.kd
    .uniform_work_group_size: 1
    .uses_dynamic_stack: false
    .vgpr_count:     0
    .vgpr_spill_count: 0
    .wavefront_size: 32
  - .args:
      - .offset:         0
        .size:           88
        .value_kind:     by_value
    .group_segment_fixed_size: 0
    .kernarg_segment_align: 8
    .kernarg_segment_size: 88
    .language:       OpenCL C
    .language_version:
      - 2
      - 0
    .max_flat_workgroup_size: 256
    .name:           _ZN7rocprim17ROCPRIM_400000_NS6detail17trampoline_kernelINS0_14default_configENS1_22reduce_config_selectorIN6thrust23THRUST_200600_302600_NS5tupleIblNS6_9null_typeES8_S8_S8_S8_S8_S8_S8_EEEEZNS1_11reduce_implILb1ES3_NS6_12zip_iteratorINS7_INS6_11hip_rocprim26transform_input_iterator_tIbNSD_35transform_pair_of_input_iterators_tIbNS6_6detail15normal_iteratorINS6_10device_ptrIKtEEEESL_NS6_8equal_toItEEEENSG_9not_fun_tINSD_8identityEEEEENSD_19counting_iterator_tIlEES8_S8_S8_S8_S8_S8_S8_S8_EEEEPS9_S9_NSD_9__find_if7functorIS9_EEEE10hipError_tPvRmT1_T2_T3_mT4_P12ihipStream_tbEUlT_E1_NS1_11comp_targetILNS1_3genE4ELNS1_11target_archE910ELNS1_3gpuE8ELNS1_3repE0EEENS1_30default_config_static_selectorELNS0_4arch9wavefront6targetE0EEEvS14_
    .private_segment_fixed_size: 0
    .sgpr_count:     0
    .sgpr_spill_count: 0
    .symbol:         _ZN7rocprim17ROCPRIM_400000_NS6detail17trampoline_kernelINS0_14default_configENS1_22reduce_config_selectorIN6thrust23THRUST_200600_302600_NS5tupleIblNS6_9null_typeES8_S8_S8_S8_S8_S8_S8_EEEEZNS1_11reduce_implILb1ES3_NS6_12zip_iteratorINS7_INS6_11hip_rocprim26transform_input_iterator_tIbNSD_35transform_pair_of_input_iterators_tIbNS6_6detail15normal_iteratorINS6_10device_ptrIKtEEEESL_NS6_8equal_toItEEEENSG_9not_fun_tINSD_8identityEEEEENSD_19counting_iterator_tIlEES8_S8_S8_S8_S8_S8_S8_S8_EEEEPS9_S9_NSD_9__find_if7functorIS9_EEEE10hipError_tPvRmT1_T2_T3_mT4_P12ihipStream_tbEUlT_E1_NS1_11comp_targetILNS1_3genE4ELNS1_11target_archE910ELNS1_3gpuE8ELNS1_3repE0EEENS1_30default_config_static_selectorELNS0_4arch9wavefront6targetE0EEEvS14_.kd
    .uniform_work_group_size: 1
    .uses_dynamic_stack: false
    .vgpr_count:     0
    .vgpr_spill_count: 0
    .wavefront_size: 32
  - .args:
      - .offset:         0
        .size:           88
        .value_kind:     by_value
    .group_segment_fixed_size: 0
    .kernarg_segment_align: 8
    .kernarg_segment_size: 88
    .language:       OpenCL C
    .language_version:
      - 2
      - 0
    .max_flat_workgroup_size: 128
    .name:           _ZN7rocprim17ROCPRIM_400000_NS6detail17trampoline_kernelINS0_14default_configENS1_22reduce_config_selectorIN6thrust23THRUST_200600_302600_NS5tupleIblNS6_9null_typeES8_S8_S8_S8_S8_S8_S8_EEEEZNS1_11reduce_implILb1ES3_NS6_12zip_iteratorINS7_INS6_11hip_rocprim26transform_input_iterator_tIbNSD_35transform_pair_of_input_iterators_tIbNS6_6detail15normal_iteratorINS6_10device_ptrIKtEEEESL_NS6_8equal_toItEEEENSG_9not_fun_tINSD_8identityEEEEENSD_19counting_iterator_tIlEES8_S8_S8_S8_S8_S8_S8_S8_EEEEPS9_S9_NSD_9__find_if7functorIS9_EEEE10hipError_tPvRmT1_T2_T3_mT4_P12ihipStream_tbEUlT_E1_NS1_11comp_targetILNS1_3genE3ELNS1_11target_archE908ELNS1_3gpuE7ELNS1_3repE0EEENS1_30default_config_static_selectorELNS0_4arch9wavefront6targetE0EEEvS14_
    .private_segment_fixed_size: 0
    .sgpr_count:     0
    .sgpr_spill_count: 0
    .symbol:         _ZN7rocprim17ROCPRIM_400000_NS6detail17trampoline_kernelINS0_14default_configENS1_22reduce_config_selectorIN6thrust23THRUST_200600_302600_NS5tupleIblNS6_9null_typeES8_S8_S8_S8_S8_S8_S8_EEEEZNS1_11reduce_implILb1ES3_NS6_12zip_iteratorINS7_INS6_11hip_rocprim26transform_input_iterator_tIbNSD_35transform_pair_of_input_iterators_tIbNS6_6detail15normal_iteratorINS6_10device_ptrIKtEEEESL_NS6_8equal_toItEEEENSG_9not_fun_tINSD_8identityEEEEENSD_19counting_iterator_tIlEES8_S8_S8_S8_S8_S8_S8_S8_EEEEPS9_S9_NSD_9__find_if7functorIS9_EEEE10hipError_tPvRmT1_T2_T3_mT4_P12ihipStream_tbEUlT_E1_NS1_11comp_targetILNS1_3genE3ELNS1_11target_archE908ELNS1_3gpuE7ELNS1_3repE0EEENS1_30default_config_static_selectorELNS0_4arch9wavefront6targetE0EEEvS14_.kd
    .uniform_work_group_size: 1
    .uses_dynamic_stack: false
    .vgpr_count:     0
    .vgpr_spill_count: 0
    .wavefront_size: 32
  - .args:
      - .offset:         0
        .size:           88
        .value_kind:     by_value
    .group_segment_fixed_size: 0
    .kernarg_segment_align: 8
    .kernarg_segment_size: 88
    .language:       OpenCL C
    .language_version:
      - 2
      - 0
    .max_flat_workgroup_size: 128
    .name:           _ZN7rocprim17ROCPRIM_400000_NS6detail17trampoline_kernelINS0_14default_configENS1_22reduce_config_selectorIN6thrust23THRUST_200600_302600_NS5tupleIblNS6_9null_typeES8_S8_S8_S8_S8_S8_S8_EEEEZNS1_11reduce_implILb1ES3_NS6_12zip_iteratorINS7_INS6_11hip_rocprim26transform_input_iterator_tIbNSD_35transform_pair_of_input_iterators_tIbNS6_6detail15normal_iteratorINS6_10device_ptrIKtEEEESL_NS6_8equal_toItEEEENSG_9not_fun_tINSD_8identityEEEEENSD_19counting_iterator_tIlEES8_S8_S8_S8_S8_S8_S8_S8_EEEEPS9_S9_NSD_9__find_if7functorIS9_EEEE10hipError_tPvRmT1_T2_T3_mT4_P12ihipStream_tbEUlT_E1_NS1_11comp_targetILNS1_3genE2ELNS1_11target_archE906ELNS1_3gpuE6ELNS1_3repE0EEENS1_30default_config_static_selectorELNS0_4arch9wavefront6targetE0EEEvS14_
    .private_segment_fixed_size: 0
    .sgpr_count:     0
    .sgpr_spill_count: 0
    .symbol:         _ZN7rocprim17ROCPRIM_400000_NS6detail17trampoline_kernelINS0_14default_configENS1_22reduce_config_selectorIN6thrust23THRUST_200600_302600_NS5tupleIblNS6_9null_typeES8_S8_S8_S8_S8_S8_S8_EEEEZNS1_11reduce_implILb1ES3_NS6_12zip_iteratorINS7_INS6_11hip_rocprim26transform_input_iterator_tIbNSD_35transform_pair_of_input_iterators_tIbNS6_6detail15normal_iteratorINS6_10device_ptrIKtEEEESL_NS6_8equal_toItEEEENSG_9not_fun_tINSD_8identityEEEEENSD_19counting_iterator_tIlEES8_S8_S8_S8_S8_S8_S8_S8_EEEEPS9_S9_NSD_9__find_if7functorIS9_EEEE10hipError_tPvRmT1_T2_T3_mT4_P12ihipStream_tbEUlT_E1_NS1_11comp_targetILNS1_3genE2ELNS1_11target_archE906ELNS1_3gpuE6ELNS1_3repE0EEENS1_30default_config_static_selectorELNS0_4arch9wavefront6targetE0EEEvS14_.kd
    .uniform_work_group_size: 1
    .uses_dynamic_stack: false
    .vgpr_count:     0
    .vgpr_spill_count: 0
    .wavefront_size: 32
  - .args:
      - .offset:         0
        .size:           88
        .value_kind:     by_value
    .group_segment_fixed_size: 0
    .kernarg_segment_align: 8
    .kernarg_segment_size: 88
    .language:       OpenCL C
    .language_version:
      - 2
      - 0
    .max_flat_workgroup_size: 256
    .name:           _ZN7rocprim17ROCPRIM_400000_NS6detail17trampoline_kernelINS0_14default_configENS1_22reduce_config_selectorIN6thrust23THRUST_200600_302600_NS5tupleIblNS6_9null_typeES8_S8_S8_S8_S8_S8_S8_EEEEZNS1_11reduce_implILb1ES3_NS6_12zip_iteratorINS7_INS6_11hip_rocprim26transform_input_iterator_tIbNSD_35transform_pair_of_input_iterators_tIbNS6_6detail15normal_iteratorINS6_10device_ptrIKtEEEESL_NS6_8equal_toItEEEENSG_9not_fun_tINSD_8identityEEEEENSD_19counting_iterator_tIlEES8_S8_S8_S8_S8_S8_S8_S8_EEEEPS9_S9_NSD_9__find_if7functorIS9_EEEE10hipError_tPvRmT1_T2_T3_mT4_P12ihipStream_tbEUlT_E1_NS1_11comp_targetILNS1_3genE10ELNS1_11target_archE1201ELNS1_3gpuE5ELNS1_3repE0EEENS1_30default_config_static_selectorELNS0_4arch9wavefront6targetE0EEEvS14_
    .private_segment_fixed_size: 0
    .sgpr_count:     0
    .sgpr_spill_count: 0
    .symbol:         _ZN7rocprim17ROCPRIM_400000_NS6detail17trampoline_kernelINS0_14default_configENS1_22reduce_config_selectorIN6thrust23THRUST_200600_302600_NS5tupleIblNS6_9null_typeES8_S8_S8_S8_S8_S8_S8_EEEEZNS1_11reduce_implILb1ES3_NS6_12zip_iteratorINS7_INS6_11hip_rocprim26transform_input_iterator_tIbNSD_35transform_pair_of_input_iterators_tIbNS6_6detail15normal_iteratorINS6_10device_ptrIKtEEEESL_NS6_8equal_toItEEEENSG_9not_fun_tINSD_8identityEEEEENSD_19counting_iterator_tIlEES8_S8_S8_S8_S8_S8_S8_S8_EEEEPS9_S9_NSD_9__find_if7functorIS9_EEEE10hipError_tPvRmT1_T2_T3_mT4_P12ihipStream_tbEUlT_E1_NS1_11comp_targetILNS1_3genE10ELNS1_11target_archE1201ELNS1_3gpuE5ELNS1_3repE0EEENS1_30default_config_static_selectorELNS0_4arch9wavefront6targetE0EEEvS14_.kd
    .uniform_work_group_size: 1
    .uses_dynamic_stack: false
    .vgpr_count:     0
    .vgpr_spill_count: 0
    .wavefront_size: 32
  - .args:
      - .offset:         0
        .size:           88
        .value_kind:     by_value
    .group_segment_fixed_size: 0
    .kernarg_segment_align: 8
    .kernarg_segment_size: 88
    .language:       OpenCL C
    .language_version:
      - 2
      - 0
    .max_flat_workgroup_size: 256
    .name:           _ZN7rocprim17ROCPRIM_400000_NS6detail17trampoline_kernelINS0_14default_configENS1_22reduce_config_selectorIN6thrust23THRUST_200600_302600_NS5tupleIblNS6_9null_typeES8_S8_S8_S8_S8_S8_S8_EEEEZNS1_11reduce_implILb1ES3_NS6_12zip_iteratorINS7_INS6_11hip_rocprim26transform_input_iterator_tIbNSD_35transform_pair_of_input_iterators_tIbNS6_6detail15normal_iteratorINS6_10device_ptrIKtEEEESL_NS6_8equal_toItEEEENSG_9not_fun_tINSD_8identityEEEEENSD_19counting_iterator_tIlEES8_S8_S8_S8_S8_S8_S8_S8_EEEEPS9_S9_NSD_9__find_if7functorIS9_EEEE10hipError_tPvRmT1_T2_T3_mT4_P12ihipStream_tbEUlT_E1_NS1_11comp_targetILNS1_3genE10ELNS1_11target_archE1200ELNS1_3gpuE4ELNS1_3repE0EEENS1_30default_config_static_selectorELNS0_4arch9wavefront6targetE0EEEvS14_
    .private_segment_fixed_size: 0
    .sgpr_count:     0
    .sgpr_spill_count: 0
    .symbol:         _ZN7rocprim17ROCPRIM_400000_NS6detail17trampoline_kernelINS0_14default_configENS1_22reduce_config_selectorIN6thrust23THRUST_200600_302600_NS5tupleIblNS6_9null_typeES8_S8_S8_S8_S8_S8_S8_EEEEZNS1_11reduce_implILb1ES3_NS6_12zip_iteratorINS7_INS6_11hip_rocprim26transform_input_iterator_tIbNSD_35transform_pair_of_input_iterators_tIbNS6_6detail15normal_iteratorINS6_10device_ptrIKtEEEESL_NS6_8equal_toItEEEENSG_9not_fun_tINSD_8identityEEEEENSD_19counting_iterator_tIlEES8_S8_S8_S8_S8_S8_S8_S8_EEEEPS9_S9_NSD_9__find_if7functorIS9_EEEE10hipError_tPvRmT1_T2_T3_mT4_P12ihipStream_tbEUlT_E1_NS1_11comp_targetILNS1_3genE10ELNS1_11target_archE1200ELNS1_3gpuE4ELNS1_3repE0EEENS1_30default_config_static_selectorELNS0_4arch9wavefront6targetE0EEEvS14_.kd
    .uniform_work_group_size: 1
    .uses_dynamic_stack: false
    .vgpr_count:     0
    .vgpr_spill_count: 0
    .wavefront_size: 32
  - .args:
      - .offset:         0
        .size:           88
        .value_kind:     by_value
    .group_segment_fixed_size: 0
    .kernarg_segment_align: 8
    .kernarg_segment_size: 88
    .language:       OpenCL C
    .language_version:
      - 2
      - 0
    .max_flat_workgroup_size: 256
    .name:           _ZN7rocprim17ROCPRIM_400000_NS6detail17trampoline_kernelINS0_14default_configENS1_22reduce_config_selectorIN6thrust23THRUST_200600_302600_NS5tupleIblNS6_9null_typeES8_S8_S8_S8_S8_S8_S8_EEEEZNS1_11reduce_implILb1ES3_NS6_12zip_iteratorINS7_INS6_11hip_rocprim26transform_input_iterator_tIbNSD_35transform_pair_of_input_iterators_tIbNS6_6detail15normal_iteratorINS6_10device_ptrIKtEEEESL_NS6_8equal_toItEEEENSG_9not_fun_tINSD_8identityEEEEENSD_19counting_iterator_tIlEES8_S8_S8_S8_S8_S8_S8_S8_EEEEPS9_S9_NSD_9__find_if7functorIS9_EEEE10hipError_tPvRmT1_T2_T3_mT4_P12ihipStream_tbEUlT_E1_NS1_11comp_targetILNS1_3genE9ELNS1_11target_archE1100ELNS1_3gpuE3ELNS1_3repE0EEENS1_30default_config_static_selectorELNS0_4arch9wavefront6targetE0EEEvS14_
    .private_segment_fixed_size: 0
    .sgpr_count:     0
    .sgpr_spill_count: 0
    .symbol:         _ZN7rocprim17ROCPRIM_400000_NS6detail17trampoline_kernelINS0_14default_configENS1_22reduce_config_selectorIN6thrust23THRUST_200600_302600_NS5tupleIblNS6_9null_typeES8_S8_S8_S8_S8_S8_S8_EEEEZNS1_11reduce_implILb1ES3_NS6_12zip_iteratorINS7_INS6_11hip_rocprim26transform_input_iterator_tIbNSD_35transform_pair_of_input_iterators_tIbNS6_6detail15normal_iteratorINS6_10device_ptrIKtEEEESL_NS6_8equal_toItEEEENSG_9not_fun_tINSD_8identityEEEEENSD_19counting_iterator_tIlEES8_S8_S8_S8_S8_S8_S8_S8_EEEEPS9_S9_NSD_9__find_if7functorIS9_EEEE10hipError_tPvRmT1_T2_T3_mT4_P12ihipStream_tbEUlT_E1_NS1_11comp_targetILNS1_3genE9ELNS1_11target_archE1100ELNS1_3gpuE3ELNS1_3repE0EEENS1_30default_config_static_selectorELNS0_4arch9wavefront6targetE0EEEvS14_.kd
    .uniform_work_group_size: 1
    .uses_dynamic_stack: false
    .vgpr_count:     0
    .vgpr_spill_count: 0
    .wavefront_size: 32
  - .args:
      - .offset:         0
        .size:           88
        .value_kind:     by_value
    .group_segment_fixed_size: 0
    .kernarg_segment_align: 8
    .kernarg_segment_size: 88
    .language:       OpenCL C
    .language_version:
      - 2
      - 0
    .max_flat_workgroup_size: 256
    .name:           _ZN7rocprim17ROCPRIM_400000_NS6detail17trampoline_kernelINS0_14default_configENS1_22reduce_config_selectorIN6thrust23THRUST_200600_302600_NS5tupleIblNS6_9null_typeES8_S8_S8_S8_S8_S8_S8_EEEEZNS1_11reduce_implILb1ES3_NS6_12zip_iteratorINS7_INS6_11hip_rocprim26transform_input_iterator_tIbNSD_35transform_pair_of_input_iterators_tIbNS6_6detail15normal_iteratorINS6_10device_ptrIKtEEEESL_NS6_8equal_toItEEEENSG_9not_fun_tINSD_8identityEEEEENSD_19counting_iterator_tIlEES8_S8_S8_S8_S8_S8_S8_S8_EEEEPS9_S9_NSD_9__find_if7functorIS9_EEEE10hipError_tPvRmT1_T2_T3_mT4_P12ihipStream_tbEUlT_E1_NS1_11comp_targetILNS1_3genE8ELNS1_11target_archE1030ELNS1_3gpuE2ELNS1_3repE0EEENS1_30default_config_static_selectorELNS0_4arch9wavefront6targetE0EEEvS14_
    .private_segment_fixed_size: 0
    .sgpr_count:     0
    .sgpr_spill_count: 0
    .symbol:         _ZN7rocprim17ROCPRIM_400000_NS6detail17trampoline_kernelINS0_14default_configENS1_22reduce_config_selectorIN6thrust23THRUST_200600_302600_NS5tupleIblNS6_9null_typeES8_S8_S8_S8_S8_S8_S8_EEEEZNS1_11reduce_implILb1ES3_NS6_12zip_iteratorINS7_INS6_11hip_rocprim26transform_input_iterator_tIbNSD_35transform_pair_of_input_iterators_tIbNS6_6detail15normal_iteratorINS6_10device_ptrIKtEEEESL_NS6_8equal_toItEEEENSG_9not_fun_tINSD_8identityEEEEENSD_19counting_iterator_tIlEES8_S8_S8_S8_S8_S8_S8_S8_EEEEPS9_S9_NSD_9__find_if7functorIS9_EEEE10hipError_tPvRmT1_T2_T3_mT4_P12ihipStream_tbEUlT_E1_NS1_11comp_targetILNS1_3genE8ELNS1_11target_archE1030ELNS1_3gpuE2ELNS1_3repE0EEENS1_30default_config_static_selectorELNS0_4arch9wavefront6targetE0EEEvS14_.kd
    .uniform_work_group_size: 1
    .uses_dynamic_stack: false
    .vgpr_count:     0
    .vgpr_spill_count: 0
    .wavefront_size: 32
  - .args:
      - .offset:         0
        .size:           16
        .value_kind:     by_value
      - .offset:         16
        .size:           8
        .value_kind:     by_value
      - .offset:         24
        .size:           8
        .value_kind:     by_value
    .group_segment_fixed_size: 0
    .kernarg_segment_align: 8
    .kernarg_segment_size: 32
    .language:       OpenCL C
    .language_version:
      - 2
      - 0
    .max_flat_workgroup_size: 256
    .name:           _ZN6thrust23THRUST_200600_302600_NS11hip_rocprim14__parallel_for6kernelILj256ENS1_20__uninitialized_fill7functorINS0_10device_ptrIxEExEEmLj1EEEvT0_T1_SA_
    .private_segment_fixed_size: 0
    .sgpr_count:     14
    .sgpr_spill_count: 0
    .symbol:         _ZN6thrust23THRUST_200600_302600_NS11hip_rocprim14__parallel_for6kernelILj256ENS1_20__uninitialized_fill7functorINS0_10device_ptrIxEExEEmLj1EEEvT0_T1_SA_.kd
    .uniform_work_group_size: 1
    .uses_dynamic_stack: false
    .vgpr_count:     4
    .vgpr_spill_count: 0
    .wavefront_size: 32
  - .args:
      - .offset:         0
        .size:           64
        .value_kind:     by_value
      - .offset:         64
        .size:           4
        .value_kind:     hidden_block_count_x
      - .offset:         68
        .size:           4
        .value_kind:     hidden_block_count_y
      - .offset:         72
        .size:           4
        .value_kind:     hidden_block_count_z
      - .offset:         76
        .size:           2
        .value_kind:     hidden_group_size_x
      - .offset:         78
        .size:           2
        .value_kind:     hidden_group_size_y
      - .offset:         80
        .size:           2
        .value_kind:     hidden_group_size_z
      - .offset:         82
        .size:           2
        .value_kind:     hidden_remainder_x
      - .offset:         84
        .size:           2
        .value_kind:     hidden_remainder_y
      - .offset:         86
        .size:           2
        .value_kind:     hidden_remainder_z
      - .offset:         104
        .size:           8
        .value_kind:     hidden_global_offset_x
      - .offset:         112
        .size:           8
        .value_kind:     hidden_global_offset_y
      - .offset:         120
        .size:           8
        .value_kind:     hidden_global_offset_z
      - .offset:         128
        .size:           2
        .value_kind:     hidden_grid_dims
    .group_segment_fixed_size: 0
    .kernarg_segment_align: 8
    .kernarg_segment_size: 320
    .language:       OpenCL C
    .language_version:
      - 2
      - 0
    .max_flat_workgroup_size: 512
    .name:           _ZN7rocprim17ROCPRIM_400000_NS6detail17trampoline_kernelINS0_14default_configENS1_21merge_config_selectorINS0_5tupleIJxxEEENS0_10empty_typeEEEZNS1_10merge_implIS3_NS0_12zip_iteratorINS5_IJN6thrust23THRUST_200600_302600_NS6detail15normal_iteratorINSC_10device_ptrIKxEEEESI_EEEEESK_NSA_INS5_IJNSE_INSF_IxEEEESM_EEEEEPS7_SP_SP_NSC_11hip_rocprim7__merge17predicate_wrapperIxxNSC_4lessIxEEEEEE10hipError_tPvRmT0_T1_T2_T3_T4_T5_mmT6_P12ihipStream_tbEUlT_E_NS1_11comp_targetILNS1_3genE0ELNS1_11target_archE4294967295ELNS1_3gpuE0ELNS1_3repE0EEENS1_30default_config_static_selectorELNS0_4arch9wavefront6targetE0EEEvS10_
    .private_segment_fixed_size: 0
    .sgpr_count:     16
    .sgpr_spill_count: 0
    .symbol:         _ZN7rocprim17ROCPRIM_400000_NS6detail17trampoline_kernelINS0_14default_configENS1_21merge_config_selectorINS0_5tupleIJxxEEENS0_10empty_typeEEEZNS1_10merge_implIS3_NS0_12zip_iteratorINS5_IJN6thrust23THRUST_200600_302600_NS6detail15normal_iteratorINSC_10device_ptrIKxEEEESI_EEEEESK_NSA_INS5_IJNSE_INSF_IxEEEESM_EEEEEPS7_SP_SP_NSC_11hip_rocprim7__merge17predicate_wrapperIxxNSC_4lessIxEEEEEE10hipError_tPvRmT0_T1_T2_T3_T4_T5_mmT6_P12ihipStream_tbEUlT_E_NS1_11comp_targetILNS1_3genE0ELNS1_11target_archE4294967295ELNS1_3gpuE0ELNS1_3repE0EEENS1_30default_config_static_selectorELNS0_4arch9wavefront6targetE0EEEvS10_.kd
    .uniform_work_group_size: 1
    .uses_dynamic_stack: false
    .vgpr_count:     18
    .vgpr_spill_count: 0
    .wavefront_size: 32
  - .args:
      - .offset:         0
        .size:           64
        .value_kind:     by_value
    .group_segment_fixed_size: 0
    .kernarg_segment_align: 8
    .kernarg_segment_size: 64
    .language:       OpenCL C
    .language_version:
      - 2
      - 0
    .max_flat_workgroup_size: 256
    .name:           _ZN7rocprim17ROCPRIM_400000_NS6detail17trampoline_kernelINS0_14default_configENS1_21merge_config_selectorINS0_5tupleIJxxEEENS0_10empty_typeEEEZNS1_10merge_implIS3_NS0_12zip_iteratorINS5_IJN6thrust23THRUST_200600_302600_NS6detail15normal_iteratorINSC_10device_ptrIKxEEEESI_EEEEESK_NSA_INS5_IJNSE_INSF_IxEEEESM_EEEEEPS7_SP_SP_NSC_11hip_rocprim7__merge17predicate_wrapperIxxNSC_4lessIxEEEEEE10hipError_tPvRmT0_T1_T2_T3_T4_T5_mmT6_P12ihipStream_tbEUlT_E_NS1_11comp_targetILNS1_3genE5ELNS1_11target_archE942ELNS1_3gpuE9ELNS1_3repE0EEENS1_30default_config_static_selectorELNS0_4arch9wavefront6targetE0EEEvS10_
    .private_segment_fixed_size: 0
    .sgpr_count:     0
    .sgpr_spill_count: 0
    .symbol:         _ZN7rocprim17ROCPRIM_400000_NS6detail17trampoline_kernelINS0_14default_configENS1_21merge_config_selectorINS0_5tupleIJxxEEENS0_10empty_typeEEEZNS1_10merge_implIS3_NS0_12zip_iteratorINS5_IJN6thrust23THRUST_200600_302600_NS6detail15normal_iteratorINSC_10device_ptrIKxEEEESI_EEEEESK_NSA_INS5_IJNSE_INSF_IxEEEESM_EEEEEPS7_SP_SP_NSC_11hip_rocprim7__merge17predicate_wrapperIxxNSC_4lessIxEEEEEE10hipError_tPvRmT0_T1_T2_T3_T4_T5_mmT6_P12ihipStream_tbEUlT_E_NS1_11comp_targetILNS1_3genE5ELNS1_11target_archE942ELNS1_3gpuE9ELNS1_3repE0EEENS1_30default_config_static_selectorELNS0_4arch9wavefront6targetE0EEEvS10_.kd
    .uniform_work_group_size: 1
    .uses_dynamic_stack: false
    .vgpr_count:     0
    .vgpr_spill_count: 0
    .wavefront_size: 32
  - .args:
      - .offset:         0
        .size:           64
        .value_kind:     by_value
    .group_segment_fixed_size: 0
    .kernarg_segment_align: 8
    .kernarg_segment_size: 64
    .language:       OpenCL C
    .language_version:
      - 2
      - 0
    .max_flat_workgroup_size: 512
    .name:           _ZN7rocprim17ROCPRIM_400000_NS6detail17trampoline_kernelINS0_14default_configENS1_21merge_config_selectorINS0_5tupleIJxxEEENS0_10empty_typeEEEZNS1_10merge_implIS3_NS0_12zip_iteratorINS5_IJN6thrust23THRUST_200600_302600_NS6detail15normal_iteratorINSC_10device_ptrIKxEEEESI_EEEEESK_NSA_INS5_IJNSE_INSF_IxEEEESM_EEEEEPS7_SP_SP_NSC_11hip_rocprim7__merge17predicate_wrapperIxxNSC_4lessIxEEEEEE10hipError_tPvRmT0_T1_T2_T3_T4_T5_mmT6_P12ihipStream_tbEUlT_E_NS1_11comp_targetILNS1_3genE4ELNS1_11target_archE910ELNS1_3gpuE8ELNS1_3repE0EEENS1_30default_config_static_selectorELNS0_4arch9wavefront6targetE0EEEvS10_
    .private_segment_fixed_size: 0
    .sgpr_count:     0
    .sgpr_spill_count: 0
    .symbol:         _ZN7rocprim17ROCPRIM_400000_NS6detail17trampoline_kernelINS0_14default_configENS1_21merge_config_selectorINS0_5tupleIJxxEEENS0_10empty_typeEEEZNS1_10merge_implIS3_NS0_12zip_iteratorINS5_IJN6thrust23THRUST_200600_302600_NS6detail15normal_iteratorINSC_10device_ptrIKxEEEESI_EEEEESK_NSA_INS5_IJNSE_INSF_IxEEEESM_EEEEEPS7_SP_SP_NSC_11hip_rocprim7__merge17predicate_wrapperIxxNSC_4lessIxEEEEEE10hipError_tPvRmT0_T1_T2_T3_T4_T5_mmT6_P12ihipStream_tbEUlT_E_NS1_11comp_targetILNS1_3genE4ELNS1_11target_archE910ELNS1_3gpuE8ELNS1_3repE0EEENS1_30default_config_static_selectorELNS0_4arch9wavefront6targetE0EEEvS10_.kd
    .uniform_work_group_size: 1
    .uses_dynamic_stack: false
    .vgpr_count:     0
    .vgpr_spill_count: 0
    .wavefront_size: 32
  - .args:
      - .offset:         0
        .size:           64
        .value_kind:     by_value
    .group_segment_fixed_size: 0
    .kernarg_segment_align: 8
    .kernarg_segment_size: 64
    .language:       OpenCL C
    .language_version:
      - 2
      - 0
    .max_flat_workgroup_size: 512
    .name:           _ZN7rocprim17ROCPRIM_400000_NS6detail17trampoline_kernelINS0_14default_configENS1_21merge_config_selectorINS0_5tupleIJxxEEENS0_10empty_typeEEEZNS1_10merge_implIS3_NS0_12zip_iteratorINS5_IJN6thrust23THRUST_200600_302600_NS6detail15normal_iteratorINSC_10device_ptrIKxEEEESI_EEEEESK_NSA_INS5_IJNSE_INSF_IxEEEESM_EEEEEPS7_SP_SP_NSC_11hip_rocprim7__merge17predicate_wrapperIxxNSC_4lessIxEEEEEE10hipError_tPvRmT0_T1_T2_T3_T4_T5_mmT6_P12ihipStream_tbEUlT_E_NS1_11comp_targetILNS1_3genE3ELNS1_11target_archE908ELNS1_3gpuE7ELNS1_3repE0EEENS1_30default_config_static_selectorELNS0_4arch9wavefront6targetE0EEEvS10_
    .private_segment_fixed_size: 0
    .sgpr_count:     0
    .sgpr_spill_count: 0
    .symbol:         _ZN7rocprim17ROCPRIM_400000_NS6detail17trampoline_kernelINS0_14default_configENS1_21merge_config_selectorINS0_5tupleIJxxEEENS0_10empty_typeEEEZNS1_10merge_implIS3_NS0_12zip_iteratorINS5_IJN6thrust23THRUST_200600_302600_NS6detail15normal_iteratorINSC_10device_ptrIKxEEEESI_EEEEESK_NSA_INS5_IJNSE_INSF_IxEEEESM_EEEEEPS7_SP_SP_NSC_11hip_rocprim7__merge17predicate_wrapperIxxNSC_4lessIxEEEEEE10hipError_tPvRmT0_T1_T2_T3_T4_T5_mmT6_P12ihipStream_tbEUlT_E_NS1_11comp_targetILNS1_3genE3ELNS1_11target_archE908ELNS1_3gpuE7ELNS1_3repE0EEENS1_30default_config_static_selectorELNS0_4arch9wavefront6targetE0EEEvS10_.kd
    .uniform_work_group_size: 1
    .uses_dynamic_stack: false
    .vgpr_count:     0
    .vgpr_spill_count: 0
    .wavefront_size: 32
  - .args:
      - .offset:         0
        .size:           64
        .value_kind:     by_value
    .group_segment_fixed_size: 0
    .kernarg_segment_align: 8
    .kernarg_segment_size: 64
    .language:       OpenCL C
    .language_version:
      - 2
      - 0
    .max_flat_workgroup_size: 512
    .name:           _ZN7rocprim17ROCPRIM_400000_NS6detail17trampoline_kernelINS0_14default_configENS1_21merge_config_selectorINS0_5tupleIJxxEEENS0_10empty_typeEEEZNS1_10merge_implIS3_NS0_12zip_iteratorINS5_IJN6thrust23THRUST_200600_302600_NS6detail15normal_iteratorINSC_10device_ptrIKxEEEESI_EEEEESK_NSA_INS5_IJNSE_INSF_IxEEEESM_EEEEEPS7_SP_SP_NSC_11hip_rocprim7__merge17predicate_wrapperIxxNSC_4lessIxEEEEEE10hipError_tPvRmT0_T1_T2_T3_T4_T5_mmT6_P12ihipStream_tbEUlT_E_NS1_11comp_targetILNS1_3genE2ELNS1_11target_archE906ELNS1_3gpuE6ELNS1_3repE0EEENS1_30default_config_static_selectorELNS0_4arch9wavefront6targetE0EEEvS10_
    .private_segment_fixed_size: 0
    .sgpr_count:     0
    .sgpr_spill_count: 0
    .symbol:         _ZN7rocprim17ROCPRIM_400000_NS6detail17trampoline_kernelINS0_14default_configENS1_21merge_config_selectorINS0_5tupleIJxxEEENS0_10empty_typeEEEZNS1_10merge_implIS3_NS0_12zip_iteratorINS5_IJN6thrust23THRUST_200600_302600_NS6detail15normal_iteratorINSC_10device_ptrIKxEEEESI_EEEEESK_NSA_INS5_IJNSE_INSF_IxEEEESM_EEEEEPS7_SP_SP_NSC_11hip_rocprim7__merge17predicate_wrapperIxxNSC_4lessIxEEEEEE10hipError_tPvRmT0_T1_T2_T3_T4_T5_mmT6_P12ihipStream_tbEUlT_E_NS1_11comp_targetILNS1_3genE2ELNS1_11target_archE906ELNS1_3gpuE6ELNS1_3repE0EEENS1_30default_config_static_selectorELNS0_4arch9wavefront6targetE0EEEvS10_.kd
    .uniform_work_group_size: 1
    .uses_dynamic_stack: false
    .vgpr_count:     0
    .vgpr_spill_count: 0
    .wavefront_size: 32
  - .args:
      - .offset:         0
        .size:           64
        .value_kind:     by_value
    .group_segment_fixed_size: 0
    .kernarg_segment_align: 8
    .kernarg_segment_size: 64
    .language:       OpenCL C
    .language_version:
      - 2
      - 0
    .max_flat_workgroup_size: 512
    .name:           _ZN7rocprim17ROCPRIM_400000_NS6detail17trampoline_kernelINS0_14default_configENS1_21merge_config_selectorINS0_5tupleIJxxEEENS0_10empty_typeEEEZNS1_10merge_implIS3_NS0_12zip_iteratorINS5_IJN6thrust23THRUST_200600_302600_NS6detail15normal_iteratorINSC_10device_ptrIKxEEEESI_EEEEESK_NSA_INS5_IJNSE_INSF_IxEEEESM_EEEEEPS7_SP_SP_NSC_11hip_rocprim7__merge17predicate_wrapperIxxNSC_4lessIxEEEEEE10hipError_tPvRmT0_T1_T2_T3_T4_T5_mmT6_P12ihipStream_tbEUlT_E_NS1_11comp_targetILNS1_3genE10ELNS1_11target_archE1201ELNS1_3gpuE5ELNS1_3repE0EEENS1_30default_config_static_selectorELNS0_4arch9wavefront6targetE0EEEvS10_
    .private_segment_fixed_size: 0
    .sgpr_count:     0
    .sgpr_spill_count: 0
    .symbol:         _ZN7rocprim17ROCPRIM_400000_NS6detail17trampoline_kernelINS0_14default_configENS1_21merge_config_selectorINS0_5tupleIJxxEEENS0_10empty_typeEEEZNS1_10merge_implIS3_NS0_12zip_iteratorINS5_IJN6thrust23THRUST_200600_302600_NS6detail15normal_iteratorINSC_10device_ptrIKxEEEESI_EEEEESK_NSA_INS5_IJNSE_INSF_IxEEEESM_EEEEEPS7_SP_SP_NSC_11hip_rocprim7__merge17predicate_wrapperIxxNSC_4lessIxEEEEEE10hipError_tPvRmT0_T1_T2_T3_T4_T5_mmT6_P12ihipStream_tbEUlT_E_NS1_11comp_targetILNS1_3genE10ELNS1_11target_archE1201ELNS1_3gpuE5ELNS1_3repE0EEENS1_30default_config_static_selectorELNS0_4arch9wavefront6targetE0EEEvS10_.kd
    .uniform_work_group_size: 1
    .uses_dynamic_stack: false
    .vgpr_count:     0
    .vgpr_spill_count: 0
    .wavefront_size: 32
  - .args:
      - .offset:         0
        .size:           64
        .value_kind:     by_value
    .group_segment_fixed_size: 0
    .kernarg_segment_align: 8
    .kernarg_segment_size: 64
    .language:       OpenCL C
    .language_version:
      - 2
      - 0
    .max_flat_workgroup_size: 256
    .name:           _ZN7rocprim17ROCPRIM_400000_NS6detail17trampoline_kernelINS0_14default_configENS1_21merge_config_selectorINS0_5tupleIJxxEEENS0_10empty_typeEEEZNS1_10merge_implIS3_NS0_12zip_iteratorINS5_IJN6thrust23THRUST_200600_302600_NS6detail15normal_iteratorINSC_10device_ptrIKxEEEESI_EEEEESK_NSA_INS5_IJNSE_INSF_IxEEEESM_EEEEEPS7_SP_SP_NSC_11hip_rocprim7__merge17predicate_wrapperIxxNSC_4lessIxEEEEEE10hipError_tPvRmT0_T1_T2_T3_T4_T5_mmT6_P12ihipStream_tbEUlT_E_NS1_11comp_targetILNS1_3genE10ELNS1_11target_archE1200ELNS1_3gpuE4ELNS1_3repE0EEENS1_30default_config_static_selectorELNS0_4arch9wavefront6targetE0EEEvS10_
    .private_segment_fixed_size: 0
    .sgpr_count:     0
    .sgpr_spill_count: 0
    .symbol:         _ZN7rocprim17ROCPRIM_400000_NS6detail17trampoline_kernelINS0_14default_configENS1_21merge_config_selectorINS0_5tupleIJxxEEENS0_10empty_typeEEEZNS1_10merge_implIS3_NS0_12zip_iteratorINS5_IJN6thrust23THRUST_200600_302600_NS6detail15normal_iteratorINSC_10device_ptrIKxEEEESI_EEEEESK_NSA_INS5_IJNSE_INSF_IxEEEESM_EEEEEPS7_SP_SP_NSC_11hip_rocprim7__merge17predicate_wrapperIxxNSC_4lessIxEEEEEE10hipError_tPvRmT0_T1_T2_T3_T4_T5_mmT6_P12ihipStream_tbEUlT_E_NS1_11comp_targetILNS1_3genE10ELNS1_11target_archE1200ELNS1_3gpuE4ELNS1_3repE0EEENS1_30default_config_static_selectorELNS0_4arch9wavefront6targetE0EEEvS10_.kd
    .uniform_work_group_size: 1
    .uses_dynamic_stack: false
    .vgpr_count:     0
    .vgpr_spill_count: 0
    .wavefront_size: 32
  - .args:
      - .offset:         0
        .size:           64
        .value_kind:     by_value
    .group_segment_fixed_size: 0
    .kernarg_segment_align: 8
    .kernarg_segment_size: 64
    .language:       OpenCL C
    .language_version:
      - 2
      - 0
    .max_flat_workgroup_size: 1024
    .name:           _ZN7rocprim17ROCPRIM_400000_NS6detail17trampoline_kernelINS0_14default_configENS1_21merge_config_selectorINS0_5tupleIJxxEEENS0_10empty_typeEEEZNS1_10merge_implIS3_NS0_12zip_iteratorINS5_IJN6thrust23THRUST_200600_302600_NS6detail15normal_iteratorINSC_10device_ptrIKxEEEESI_EEEEESK_NSA_INS5_IJNSE_INSF_IxEEEESM_EEEEEPS7_SP_SP_NSC_11hip_rocprim7__merge17predicate_wrapperIxxNSC_4lessIxEEEEEE10hipError_tPvRmT0_T1_T2_T3_T4_T5_mmT6_P12ihipStream_tbEUlT_E_NS1_11comp_targetILNS1_3genE9ELNS1_11target_archE1100ELNS1_3gpuE3ELNS1_3repE0EEENS1_30default_config_static_selectorELNS0_4arch9wavefront6targetE0EEEvS10_
    .private_segment_fixed_size: 0
    .sgpr_count:     0
    .sgpr_spill_count: 0
    .symbol:         _ZN7rocprim17ROCPRIM_400000_NS6detail17trampoline_kernelINS0_14default_configENS1_21merge_config_selectorINS0_5tupleIJxxEEENS0_10empty_typeEEEZNS1_10merge_implIS3_NS0_12zip_iteratorINS5_IJN6thrust23THRUST_200600_302600_NS6detail15normal_iteratorINSC_10device_ptrIKxEEEESI_EEEEESK_NSA_INS5_IJNSE_INSF_IxEEEESM_EEEEEPS7_SP_SP_NSC_11hip_rocprim7__merge17predicate_wrapperIxxNSC_4lessIxEEEEEE10hipError_tPvRmT0_T1_T2_T3_T4_T5_mmT6_P12ihipStream_tbEUlT_E_NS1_11comp_targetILNS1_3genE9ELNS1_11target_archE1100ELNS1_3gpuE3ELNS1_3repE0EEENS1_30default_config_static_selectorELNS0_4arch9wavefront6targetE0EEEvS10_.kd
    .uniform_work_group_size: 1
    .uses_dynamic_stack: false
    .vgpr_count:     0
    .vgpr_spill_count: 0
    .wavefront_size: 32
  - .args:
      - .offset:         0
        .size:           64
        .value_kind:     by_value
    .group_segment_fixed_size: 0
    .kernarg_segment_align: 8
    .kernarg_segment_size: 64
    .language:       OpenCL C
    .language_version:
      - 2
      - 0
    .max_flat_workgroup_size: 256
    .name:           _ZN7rocprim17ROCPRIM_400000_NS6detail17trampoline_kernelINS0_14default_configENS1_21merge_config_selectorINS0_5tupleIJxxEEENS0_10empty_typeEEEZNS1_10merge_implIS3_NS0_12zip_iteratorINS5_IJN6thrust23THRUST_200600_302600_NS6detail15normal_iteratorINSC_10device_ptrIKxEEEESI_EEEEESK_NSA_INS5_IJNSE_INSF_IxEEEESM_EEEEEPS7_SP_SP_NSC_11hip_rocprim7__merge17predicate_wrapperIxxNSC_4lessIxEEEEEE10hipError_tPvRmT0_T1_T2_T3_T4_T5_mmT6_P12ihipStream_tbEUlT_E_NS1_11comp_targetILNS1_3genE8ELNS1_11target_archE1030ELNS1_3gpuE2ELNS1_3repE0EEENS1_30default_config_static_selectorELNS0_4arch9wavefront6targetE0EEEvS10_
    .private_segment_fixed_size: 0
    .sgpr_count:     0
    .sgpr_spill_count: 0
    .symbol:         _ZN7rocprim17ROCPRIM_400000_NS6detail17trampoline_kernelINS0_14default_configENS1_21merge_config_selectorINS0_5tupleIJxxEEENS0_10empty_typeEEEZNS1_10merge_implIS3_NS0_12zip_iteratorINS5_IJN6thrust23THRUST_200600_302600_NS6detail15normal_iteratorINSC_10device_ptrIKxEEEESI_EEEEESK_NSA_INS5_IJNSE_INSF_IxEEEESM_EEEEEPS7_SP_SP_NSC_11hip_rocprim7__merge17predicate_wrapperIxxNSC_4lessIxEEEEEE10hipError_tPvRmT0_T1_T2_T3_T4_T5_mmT6_P12ihipStream_tbEUlT_E_NS1_11comp_targetILNS1_3genE8ELNS1_11target_archE1030ELNS1_3gpuE2ELNS1_3repE0EEENS1_30default_config_static_selectorELNS0_4arch9wavefront6targetE0EEEvS10_.kd
    .uniform_work_group_size: 1
    .uses_dynamic_stack: false
    .vgpr_count:     0
    .vgpr_spill_count: 0
    .wavefront_size: 32
  - .args:
      - .offset:         0
        .size:           112
        .value_kind:     by_value
    .group_segment_fixed_size: 16896
    .kernarg_segment_align: 8
    .kernarg_segment_size: 112
    .language:       OpenCL C
    .language_version:
      - 2
      - 0
    .max_flat_workgroup_size: 512
    .name:           _ZN7rocprim17ROCPRIM_400000_NS6detail17trampoline_kernelINS0_14default_configENS1_21merge_config_selectorINS0_5tupleIJxxEEENS0_10empty_typeEEEZNS1_10merge_implIS3_NS0_12zip_iteratorINS5_IJN6thrust23THRUST_200600_302600_NS6detail15normal_iteratorINSC_10device_ptrIKxEEEESI_EEEEESK_NSA_INS5_IJNSE_INSF_IxEEEESM_EEEEEPS7_SP_SP_NSC_11hip_rocprim7__merge17predicate_wrapperIxxNSC_4lessIxEEEEEE10hipError_tPvRmT0_T1_T2_T3_T4_T5_mmT6_P12ihipStream_tbEUlT_E0_NS1_11comp_targetILNS1_3genE0ELNS1_11target_archE4294967295ELNS1_3gpuE0ELNS1_3repE0EEENS1_30default_config_static_selectorELNS0_4arch9wavefront6targetE0EEEvS10_
    .private_segment_fixed_size: 0
    .sgpr_count:     27
    .sgpr_spill_count: 0
    .symbol:         _ZN7rocprim17ROCPRIM_400000_NS6detail17trampoline_kernelINS0_14default_configENS1_21merge_config_selectorINS0_5tupleIJxxEEENS0_10empty_typeEEEZNS1_10merge_implIS3_NS0_12zip_iteratorINS5_IJN6thrust23THRUST_200600_302600_NS6detail15normal_iteratorINSC_10device_ptrIKxEEEESI_EEEEESK_NSA_INS5_IJNSE_INSF_IxEEEESM_EEEEEPS7_SP_SP_NSC_11hip_rocprim7__merge17predicate_wrapperIxxNSC_4lessIxEEEEEE10hipError_tPvRmT0_T1_T2_T3_T4_T5_mmT6_P12ihipStream_tbEUlT_E0_NS1_11comp_targetILNS1_3genE0ELNS1_11target_archE4294967295ELNS1_3gpuE0ELNS1_3repE0EEENS1_30default_config_static_selectorELNS0_4arch9wavefront6targetE0EEEvS10_.kd
    .uniform_work_group_size: 1
    .uses_dynamic_stack: false
    .vgpr_count:     23
    .vgpr_spill_count: 0
    .wavefront_size: 32
  - .args:
      - .offset:         0
        .size:           112
        .value_kind:     by_value
    .group_segment_fixed_size: 0
    .kernarg_segment_align: 8
    .kernarg_segment_size: 112
    .language:       OpenCL C
    .language_version:
      - 2
      - 0
    .max_flat_workgroup_size: 256
    .name:           _ZN7rocprim17ROCPRIM_400000_NS6detail17trampoline_kernelINS0_14default_configENS1_21merge_config_selectorINS0_5tupleIJxxEEENS0_10empty_typeEEEZNS1_10merge_implIS3_NS0_12zip_iteratorINS5_IJN6thrust23THRUST_200600_302600_NS6detail15normal_iteratorINSC_10device_ptrIKxEEEESI_EEEEESK_NSA_INS5_IJNSE_INSF_IxEEEESM_EEEEEPS7_SP_SP_NSC_11hip_rocprim7__merge17predicate_wrapperIxxNSC_4lessIxEEEEEE10hipError_tPvRmT0_T1_T2_T3_T4_T5_mmT6_P12ihipStream_tbEUlT_E0_NS1_11comp_targetILNS1_3genE5ELNS1_11target_archE942ELNS1_3gpuE9ELNS1_3repE0EEENS1_30default_config_static_selectorELNS0_4arch9wavefront6targetE0EEEvS10_
    .private_segment_fixed_size: 0
    .sgpr_count:     0
    .sgpr_spill_count: 0
    .symbol:         _ZN7rocprim17ROCPRIM_400000_NS6detail17trampoline_kernelINS0_14default_configENS1_21merge_config_selectorINS0_5tupleIJxxEEENS0_10empty_typeEEEZNS1_10merge_implIS3_NS0_12zip_iteratorINS5_IJN6thrust23THRUST_200600_302600_NS6detail15normal_iteratorINSC_10device_ptrIKxEEEESI_EEEEESK_NSA_INS5_IJNSE_INSF_IxEEEESM_EEEEEPS7_SP_SP_NSC_11hip_rocprim7__merge17predicate_wrapperIxxNSC_4lessIxEEEEEE10hipError_tPvRmT0_T1_T2_T3_T4_T5_mmT6_P12ihipStream_tbEUlT_E0_NS1_11comp_targetILNS1_3genE5ELNS1_11target_archE942ELNS1_3gpuE9ELNS1_3repE0EEENS1_30default_config_static_selectorELNS0_4arch9wavefront6targetE0EEEvS10_.kd
    .uniform_work_group_size: 1
    .uses_dynamic_stack: false
    .vgpr_count:     0
    .vgpr_spill_count: 0
    .wavefront_size: 32
  - .args:
      - .offset:         0
        .size:           112
        .value_kind:     by_value
    .group_segment_fixed_size: 0
    .kernarg_segment_align: 8
    .kernarg_segment_size: 112
    .language:       OpenCL C
    .language_version:
      - 2
      - 0
    .max_flat_workgroup_size: 512
    .name:           _ZN7rocprim17ROCPRIM_400000_NS6detail17trampoline_kernelINS0_14default_configENS1_21merge_config_selectorINS0_5tupleIJxxEEENS0_10empty_typeEEEZNS1_10merge_implIS3_NS0_12zip_iteratorINS5_IJN6thrust23THRUST_200600_302600_NS6detail15normal_iteratorINSC_10device_ptrIKxEEEESI_EEEEESK_NSA_INS5_IJNSE_INSF_IxEEEESM_EEEEEPS7_SP_SP_NSC_11hip_rocprim7__merge17predicate_wrapperIxxNSC_4lessIxEEEEEE10hipError_tPvRmT0_T1_T2_T3_T4_T5_mmT6_P12ihipStream_tbEUlT_E0_NS1_11comp_targetILNS1_3genE4ELNS1_11target_archE910ELNS1_3gpuE8ELNS1_3repE0EEENS1_30default_config_static_selectorELNS0_4arch9wavefront6targetE0EEEvS10_
    .private_segment_fixed_size: 0
    .sgpr_count:     0
    .sgpr_spill_count: 0
    .symbol:         _ZN7rocprim17ROCPRIM_400000_NS6detail17trampoline_kernelINS0_14default_configENS1_21merge_config_selectorINS0_5tupleIJxxEEENS0_10empty_typeEEEZNS1_10merge_implIS3_NS0_12zip_iteratorINS5_IJN6thrust23THRUST_200600_302600_NS6detail15normal_iteratorINSC_10device_ptrIKxEEEESI_EEEEESK_NSA_INS5_IJNSE_INSF_IxEEEESM_EEEEEPS7_SP_SP_NSC_11hip_rocprim7__merge17predicate_wrapperIxxNSC_4lessIxEEEEEE10hipError_tPvRmT0_T1_T2_T3_T4_T5_mmT6_P12ihipStream_tbEUlT_E0_NS1_11comp_targetILNS1_3genE4ELNS1_11target_archE910ELNS1_3gpuE8ELNS1_3repE0EEENS1_30default_config_static_selectorELNS0_4arch9wavefront6targetE0EEEvS10_.kd
    .uniform_work_group_size: 1
    .uses_dynamic_stack: false
    .vgpr_count:     0
    .vgpr_spill_count: 0
    .wavefront_size: 32
  - .args:
      - .offset:         0
        .size:           112
        .value_kind:     by_value
    .group_segment_fixed_size: 0
    .kernarg_segment_align: 8
    .kernarg_segment_size: 112
    .language:       OpenCL C
    .language_version:
      - 2
      - 0
    .max_flat_workgroup_size: 512
    .name:           _ZN7rocprim17ROCPRIM_400000_NS6detail17trampoline_kernelINS0_14default_configENS1_21merge_config_selectorINS0_5tupleIJxxEEENS0_10empty_typeEEEZNS1_10merge_implIS3_NS0_12zip_iteratorINS5_IJN6thrust23THRUST_200600_302600_NS6detail15normal_iteratorINSC_10device_ptrIKxEEEESI_EEEEESK_NSA_INS5_IJNSE_INSF_IxEEEESM_EEEEEPS7_SP_SP_NSC_11hip_rocprim7__merge17predicate_wrapperIxxNSC_4lessIxEEEEEE10hipError_tPvRmT0_T1_T2_T3_T4_T5_mmT6_P12ihipStream_tbEUlT_E0_NS1_11comp_targetILNS1_3genE3ELNS1_11target_archE908ELNS1_3gpuE7ELNS1_3repE0EEENS1_30default_config_static_selectorELNS0_4arch9wavefront6targetE0EEEvS10_
    .private_segment_fixed_size: 0
    .sgpr_count:     0
    .sgpr_spill_count: 0
    .symbol:         _ZN7rocprim17ROCPRIM_400000_NS6detail17trampoline_kernelINS0_14default_configENS1_21merge_config_selectorINS0_5tupleIJxxEEENS0_10empty_typeEEEZNS1_10merge_implIS3_NS0_12zip_iteratorINS5_IJN6thrust23THRUST_200600_302600_NS6detail15normal_iteratorINSC_10device_ptrIKxEEEESI_EEEEESK_NSA_INS5_IJNSE_INSF_IxEEEESM_EEEEEPS7_SP_SP_NSC_11hip_rocprim7__merge17predicate_wrapperIxxNSC_4lessIxEEEEEE10hipError_tPvRmT0_T1_T2_T3_T4_T5_mmT6_P12ihipStream_tbEUlT_E0_NS1_11comp_targetILNS1_3genE3ELNS1_11target_archE908ELNS1_3gpuE7ELNS1_3repE0EEENS1_30default_config_static_selectorELNS0_4arch9wavefront6targetE0EEEvS10_.kd
    .uniform_work_group_size: 1
    .uses_dynamic_stack: false
    .vgpr_count:     0
    .vgpr_spill_count: 0
    .wavefront_size: 32
  - .args:
      - .offset:         0
        .size:           112
        .value_kind:     by_value
    .group_segment_fixed_size: 0
    .kernarg_segment_align: 8
    .kernarg_segment_size: 112
    .language:       OpenCL C
    .language_version:
      - 2
      - 0
    .max_flat_workgroup_size: 512
    .name:           _ZN7rocprim17ROCPRIM_400000_NS6detail17trampoline_kernelINS0_14default_configENS1_21merge_config_selectorINS0_5tupleIJxxEEENS0_10empty_typeEEEZNS1_10merge_implIS3_NS0_12zip_iteratorINS5_IJN6thrust23THRUST_200600_302600_NS6detail15normal_iteratorINSC_10device_ptrIKxEEEESI_EEEEESK_NSA_INS5_IJNSE_INSF_IxEEEESM_EEEEEPS7_SP_SP_NSC_11hip_rocprim7__merge17predicate_wrapperIxxNSC_4lessIxEEEEEE10hipError_tPvRmT0_T1_T2_T3_T4_T5_mmT6_P12ihipStream_tbEUlT_E0_NS1_11comp_targetILNS1_3genE2ELNS1_11target_archE906ELNS1_3gpuE6ELNS1_3repE0EEENS1_30default_config_static_selectorELNS0_4arch9wavefront6targetE0EEEvS10_
    .private_segment_fixed_size: 0
    .sgpr_count:     0
    .sgpr_spill_count: 0
    .symbol:         _ZN7rocprim17ROCPRIM_400000_NS6detail17trampoline_kernelINS0_14default_configENS1_21merge_config_selectorINS0_5tupleIJxxEEENS0_10empty_typeEEEZNS1_10merge_implIS3_NS0_12zip_iteratorINS5_IJN6thrust23THRUST_200600_302600_NS6detail15normal_iteratorINSC_10device_ptrIKxEEEESI_EEEEESK_NSA_INS5_IJNSE_INSF_IxEEEESM_EEEEEPS7_SP_SP_NSC_11hip_rocprim7__merge17predicate_wrapperIxxNSC_4lessIxEEEEEE10hipError_tPvRmT0_T1_T2_T3_T4_T5_mmT6_P12ihipStream_tbEUlT_E0_NS1_11comp_targetILNS1_3genE2ELNS1_11target_archE906ELNS1_3gpuE6ELNS1_3repE0EEENS1_30default_config_static_selectorELNS0_4arch9wavefront6targetE0EEEvS10_.kd
    .uniform_work_group_size: 1
    .uses_dynamic_stack: false
    .vgpr_count:     0
    .vgpr_spill_count: 0
    .wavefront_size: 32
  - .args:
      - .offset:         0
        .size:           112
        .value_kind:     by_value
    .group_segment_fixed_size: 0
    .kernarg_segment_align: 8
    .kernarg_segment_size: 112
    .language:       OpenCL C
    .language_version:
      - 2
      - 0
    .max_flat_workgroup_size: 512
    .name:           _ZN7rocprim17ROCPRIM_400000_NS6detail17trampoline_kernelINS0_14default_configENS1_21merge_config_selectorINS0_5tupleIJxxEEENS0_10empty_typeEEEZNS1_10merge_implIS3_NS0_12zip_iteratorINS5_IJN6thrust23THRUST_200600_302600_NS6detail15normal_iteratorINSC_10device_ptrIKxEEEESI_EEEEESK_NSA_INS5_IJNSE_INSF_IxEEEESM_EEEEEPS7_SP_SP_NSC_11hip_rocprim7__merge17predicate_wrapperIxxNSC_4lessIxEEEEEE10hipError_tPvRmT0_T1_T2_T3_T4_T5_mmT6_P12ihipStream_tbEUlT_E0_NS1_11comp_targetILNS1_3genE10ELNS1_11target_archE1201ELNS1_3gpuE5ELNS1_3repE0EEENS1_30default_config_static_selectorELNS0_4arch9wavefront6targetE0EEEvS10_
    .private_segment_fixed_size: 0
    .sgpr_count:     0
    .sgpr_spill_count: 0
    .symbol:         _ZN7rocprim17ROCPRIM_400000_NS6detail17trampoline_kernelINS0_14default_configENS1_21merge_config_selectorINS0_5tupleIJxxEEENS0_10empty_typeEEEZNS1_10merge_implIS3_NS0_12zip_iteratorINS5_IJN6thrust23THRUST_200600_302600_NS6detail15normal_iteratorINSC_10device_ptrIKxEEEESI_EEEEESK_NSA_INS5_IJNSE_INSF_IxEEEESM_EEEEEPS7_SP_SP_NSC_11hip_rocprim7__merge17predicate_wrapperIxxNSC_4lessIxEEEEEE10hipError_tPvRmT0_T1_T2_T3_T4_T5_mmT6_P12ihipStream_tbEUlT_E0_NS1_11comp_targetILNS1_3genE10ELNS1_11target_archE1201ELNS1_3gpuE5ELNS1_3repE0EEENS1_30default_config_static_selectorELNS0_4arch9wavefront6targetE0EEEvS10_.kd
    .uniform_work_group_size: 1
    .uses_dynamic_stack: false
    .vgpr_count:     0
    .vgpr_spill_count: 0
    .wavefront_size: 32
  - .args:
      - .offset:         0
        .size:           112
        .value_kind:     by_value
    .group_segment_fixed_size: 0
    .kernarg_segment_align: 8
    .kernarg_segment_size: 112
    .language:       OpenCL C
    .language_version:
      - 2
      - 0
    .max_flat_workgroup_size: 256
    .name:           _ZN7rocprim17ROCPRIM_400000_NS6detail17trampoline_kernelINS0_14default_configENS1_21merge_config_selectorINS0_5tupleIJxxEEENS0_10empty_typeEEEZNS1_10merge_implIS3_NS0_12zip_iteratorINS5_IJN6thrust23THRUST_200600_302600_NS6detail15normal_iteratorINSC_10device_ptrIKxEEEESI_EEEEESK_NSA_INS5_IJNSE_INSF_IxEEEESM_EEEEEPS7_SP_SP_NSC_11hip_rocprim7__merge17predicate_wrapperIxxNSC_4lessIxEEEEEE10hipError_tPvRmT0_T1_T2_T3_T4_T5_mmT6_P12ihipStream_tbEUlT_E0_NS1_11comp_targetILNS1_3genE10ELNS1_11target_archE1200ELNS1_3gpuE4ELNS1_3repE0EEENS1_30default_config_static_selectorELNS0_4arch9wavefront6targetE0EEEvS10_
    .private_segment_fixed_size: 0
    .sgpr_count:     0
    .sgpr_spill_count: 0
    .symbol:         _ZN7rocprim17ROCPRIM_400000_NS6detail17trampoline_kernelINS0_14default_configENS1_21merge_config_selectorINS0_5tupleIJxxEEENS0_10empty_typeEEEZNS1_10merge_implIS3_NS0_12zip_iteratorINS5_IJN6thrust23THRUST_200600_302600_NS6detail15normal_iteratorINSC_10device_ptrIKxEEEESI_EEEEESK_NSA_INS5_IJNSE_INSF_IxEEEESM_EEEEEPS7_SP_SP_NSC_11hip_rocprim7__merge17predicate_wrapperIxxNSC_4lessIxEEEEEE10hipError_tPvRmT0_T1_T2_T3_T4_T5_mmT6_P12ihipStream_tbEUlT_E0_NS1_11comp_targetILNS1_3genE10ELNS1_11target_archE1200ELNS1_3gpuE4ELNS1_3repE0EEENS1_30default_config_static_selectorELNS0_4arch9wavefront6targetE0EEEvS10_.kd
    .uniform_work_group_size: 1
    .uses_dynamic_stack: false
    .vgpr_count:     0
    .vgpr_spill_count: 0
    .wavefront_size: 32
  - .args:
      - .offset:         0
        .size:           112
        .value_kind:     by_value
    .group_segment_fixed_size: 0
    .kernarg_segment_align: 8
    .kernarg_segment_size: 112
    .language:       OpenCL C
    .language_version:
      - 2
      - 0
    .max_flat_workgroup_size: 1024
    .name:           _ZN7rocprim17ROCPRIM_400000_NS6detail17trampoline_kernelINS0_14default_configENS1_21merge_config_selectorINS0_5tupleIJxxEEENS0_10empty_typeEEEZNS1_10merge_implIS3_NS0_12zip_iteratorINS5_IJN6thrust23THRUST_200600_302600_NS6detail15normal_iteratorINSC_10device_ptrIKxEEEESI_EEEEESK_NSA_INS5_IJNSE_INSF_IxEEEESM_EEEEEPS7_SP_SP_NSC_11hip_rocprim7__merge17predicate_wrapperIxxNSC_4lessIxEEEEEE10hipError_tPvRmT0_T1_T2_T3_T4_T5_mmT6_P12ihipStream_tbEUlT_E0_NS1_11comp_targetILNS1_3genE9ELNS1_11target_archE1100ELNS1_3gpuE3ELNS1_3repE0EEENS1_30default_config_static_selectorELNS0_4arch9wavefront6targetE0EEEvS10_
    .private_segment_fixed_size: 0
    .sgpr_count:     0
    .sgpr_spill_count: 0
    .symbol:         _ZN7rocprim17ROCPRIM_400000_NS6detail17trampoline_kernelINS0_14default_configENS1_21merge_config_selectorINS0_5tupleIJxxEEENS0_10empty_typeEEEZNS1_10merge_implIS3_NS0_12zip_iteratorINS5_IJN6thrust23THRUST_200600_302600_NS6detail15normal_iteratorINSC_10device_ptrIKxEEEESI_EEEEESK_NSA_INS5_IJNSE_INSF_IxEEEESM_EEEEEPS7_SP_SP_NSC_11hip_rocprim7__merge17predicate_wrapperIxxNSC_4lessIxEEEEEE10hipError_tPvRmT0_T1_T2_T3_T4_T5_mmT6_P12ihipStream_tbEUlT_E0_NS1_11comp_targetILNS1_3genE9ELNS1_11target_archE1100ELNS1_3gpuE3ELNS1_3repE0EEENS1_30default_config_static_selectorELNS0_4arch9wavefront6targetE0EEEvS10_.kd
    .uniform_work_group_size: 1
    .uses_dynamic_stack: false
    .vgpr_count:     0
    .vgpr_spill_count: 0
    .wavefront_size: 32
  - .args:
      - .offset:         0
        .size:           112
        .value_kind:     by_value
    .group_segment_fixed_size: 0
    .kernarg_segment_align: 8
    .kernarg_segment_size: 112
    .language:       OpenCL C
    .language_version:
      - 2
      - 0
    .max_flat_workgroup_size: 256
    .name:           _ZN7rocprim17ROCPRIM_400000_NS6detail17trampoline_kernelINS0_14default_configENS1_21merge_config_selectorINS0_5tupleIJxxEEENS0_10empty_typeEEEZNS1_10merge_implIS3_NS0_12zip_iteratorINS5_IJN6thrust23THRUST_200600_302600_NS6detail15normal_iteratorINSC_10device_ptrIKxEEEESI_EEEEESK_NSA_INS5_IJNSE_INSF_IxEEEESM_EEEEEPS7_SP_SP_NSC_11hip_rocprim7__merge17predicate_wrapperIxxNSC_4lessIxEEEEEE10hipError_tPvRmT0_T1_T2_T3_T4_T5_mmT6_P12ihipStream_tbEUlT_E0_NS1_11comp_targetILNS1_3genE8ELNS1_11target_archE1030ELNS1_3gpuE2ELNS1_3repE0EEENS1_30default_config_static_selectorELNS0_4arch9wavefront6targetE0EEEvS10_
    .private_segment_fixed_size: 0
    .sgpr_count:     0
    .sgpr_spill_count: 0
    .symbol:         _ZN7rocprim17ROCPRIM_400000_NS6detail17trampoline_kernelINS0_14default_configENS1_21merge_config_selectorINS0_5tupleIJxxEEENS0_10empty_typeEEEZNS1_10merge_implIS3_NS0_12zip_iteratorINS5_IJN6thrust23THRUST_200600_302600_NS6detail15normal_iteratorINSC_10device_ptrIKxEEEESI_EEEEESK_NSA_INS5_IJNSE_INSF_IxEEEESM_EEEEEPS7_SP_SP_NSC_11hip_rocprim7__merge17predicate_wrapperIxxNSC_4lessIxEEEEEE10hipError_tPvRmT0_T1_T2_T3_T4_T5_mmT6_P12ihipStream_tbEUlT_E0_NS1_11comp_targetILNS1_3genE8ELNS1_11target_archE1030ELNS1_3gpuE2ELNS1_3repE0EEENS1_30default_config_static_selectorELNS0_4arch9wavefront6targetE0EEEvS10_.kd
    .uniform_work_group_size: 1
    .uses_dynamic_stack: false
    .vgpr_count:     0
    .vgpr_spill_count: 0
    .wavefront_size: 32
  - .args:
      - .offset:         0
        .size:           104
        .value_kind:     by_value
    .group_segment_fixed_size: 128
    .kernarg_segment_align: 8
    .kernarg_segment_size: 104
    .language:       OpenCL C
    .language_version:
      - 2
      - 0
    .max_flat_workgroup_size: 128
    .name:           _ZN7rocprim17ROCPRIM_400000_NS6detail17trampoline_kernelINS0_14default_configENS1_22reduce_config_selectorIN6thrust23THRUST_200600_302600_NS5tupleIblNS6_9null_typeES8_S8_S8_S8_S8_S8_S8_EEEEZNS1_11reduce_implILb1ES3_NS6_12zip_iteratorINS7_INS6_11hip_rocprim26transform_input_iterator_tIbNSD_35transform_pair_of_input_iterators_tIbNS6_6detail15normal_iteratorINS6_10device_ptrIKxEEEESL_NS6_8equal_toIxEEEENSG_9not_fun_tINSD_8identityEEEEENSD_19counting_iterator_tIlEES8_S8_S8_S8_S8_S8_S8_S8_EEEEPS9_S9_NSD_9__find_if7functorIS9_EEEE10hipError_tPvRmT1_T2_T3_mT4_P12ihipStream_tbEUlT_E0_NS1_11comp_targetILNS1_3genE0ELNS1_11target_archE4294967295ELNS1_3gpuE0ELNS1_3repE0EEENS1_30default_config_static_selectorELNS0_4arch9wavefront6targetE0EEEvS14_
    .private_segment_fixed_size: 0
    .sgpr_count:     30
    .sgpr_spill_count: 0
    .symbol:         _ZN7rocprim17ROCPRIM_400000_NS6detail17trampoline_kernelINS0_14default_configENS1_22reduce_config_selectorIN6thrust23THRUST_200600_302600_NS5tupleIblNS6_9null_typeES8_S8_S8_S8_S8_S8_S8_EEEEZNS1_11reduce_implILb1ES3_NS6_12zip_iteratorINS7_INS6_11hip_rocprim26transform_input_iterator_tIbNSD_35transform_pair_of_input_iterators_tIbNS6_6detail15normal_iteratorINS6_10device_ptrIKxEEEESL_NS6_8equal_toIxEEEENSG_9not_fun_tINSD_8identityEEEEENSD_19counting_iterator_tIlEES8_S8_S8_S8_S8_S8_S8_S8_EEEEPS9_S9_NSD_9__find_if7functorIS9_EEEE10hipError_tPvRmT1_T2_T3_mT4_P12ihipStream_tbEUlT_E0_NS1_11comp_targetILNS1_3genE0ELNS1_11target_archE4294967295ELNS1_3gpuE0ELNS1_3repE0EEENS1_30default_config_static_selectorELNS0_4arch9wavefront6targetE0EEEvS14_.kd
    .uniform_work_group_size: 1
    .uses_dynamic_stack: false
    .vgpr_count:     16
    .vgpr_spill_count: 0
    .wavefront_size: 32
  - .args:
      - .offset:         0
        .size:           104
        .value_kind:     by_value
    .group_segment_fixed_size: 0
    .kernarg_segment_align: 8
    .kernarg_segment_size: 104
    .language:       OpenCL C
    .language_version:
      - 2
      - 0
    .max_flat_workgroup_size: 256
    .name:           _ZN7rocprim17ROCPRIM_400000_NS6detail17trampoline_kernelINS0_14default_configENS1_22reduce_config_selectorIN6thrust23THRUST_200600_302600_NS5tupleIblNS6_9null_typeES8_S8_S8_S8_S8_S8_S8_EEEEZNS1_11reduce_implILb1ES3_NS6_12zip_iteratorINS7_INS6_11hip_rocprim26transform_input_iterator_tIbNSD_35transform_pair_of_input_iterators_tIbNS6_6detail15normal_iteratorINS6_10device_ptrIKxEEEESL_NS6_8equal_toIxEEEENSG_9not_fun_tINSD_8identityEEEEENSD_19counting_iterator_tIlEES8_S8_S8_S8_S8_S8_S8_S8_EEEEPS9_S9_NSD_9__find_if7functorIS9_EEEE10hipError_tPvRmT1_T2_T3_mT4_P12ihipStream_tbEUlT_E0_NS1_11comp_targetILNS1_3genE5ELNS1_11target_archE942ELNS1_3gpuE9ELNS1_3repE0EEENS1_30default_config_static_selectorELNS0_4arch9wavefront6targetE0EEEvS14_
    .private_segment_fixed_size: 0
    .sgpr_count:     0
    .sgpr_spill_count: 0
    .symbol:         _ZN7rocprim17ROCPRIM_400000_NS6detail17trampoline_kernelINS0_14default_configENS1_22reduce_config_selectorIN6thrust23THRUST_200600_302600_NS5tupleIblNS6_9null_typeES8_S8_S8_S8_S8_S8_S8_EEEEZNS1_11reduce_implILb1ES3_NS6_12zip_iteratorINS7_INS6_11hip_rocprim26transform_input_iterator_tIbNSD_35transform_pair_of_input_iterators_tIbNS6_6detail15normal_iteratorINS6_10device_ptrIKxEEEESL_NS6_8equal_toIxEEEENSG_9not_fun_tINSD_8identityEEEEENSD_19counting_iterator_tIlEES8_S8_S8_S8_S8_S8_S8_S8_EEEEPS9_S9_NSD_9__find_if7functorIS9_EEEE10hipError_tPvRmT1_T2_T3_mT4_P12ihipStream_tbEUlT_E0_NS1_11comp_targetILNS1_3genE5ELNS1_11target_archE942ELNS1_3gpuE9ELNS1_3repE0EEENS1_30default_config_static_selectorELNS0_4arch9wavefront6targetE0EEEvS14_.kd
    .uniform_work_group_size: 1
    .uses_dynamic_stack: false
    .vgpr_count:     0
    .vgpr_spill_count: 0
    .wavefront_size: 32
  - .args:
      - .offset:         0
        .size:           104
        .value_kind:     by_value
    .group_segment_fixed_size: 0
    .kernarg_segment_align: 8
    .kernarg_segment_size: 104
    .language:       OpenCL C
    .language_version:
      - 2
      - 0
    .max_flat_workgroup_size: 256
    .name:           _ZN7rocprim17ROCPRIM_400000_NS6detail17trampoline_kernelINS0_14default_configENS1_22reduce_config_selectorIN6thrust23THRUST_200600_302600_NS5tupleIblNS6_9null_typeES8_S8_S8_S8_S8_S8_S8_EEEEZNS1_11reduce_implILb1ES3_NS6_12zip_iteratorINS7_INS6_11hip_rocprim26transform_input_iterator_tIbNSD_35transform_pair_of_input_iterators_tIbNS6_6detail15normal_iteratorINS6_10device_ptrIKxEEEESL_NS6_8equal_toIxEEEENSG_9not_fun_tINSD_8identityEEEEENSD_19counting_iterator_tIlEES8_S8_S8_S8_S8_S8_S8_S8_EEEEPS9_S9_NSD_9__find_if7functorIS9_EEEE10hipError_tPvRmT1_T2_T3_mT4_P12ihipStream_tbEUlT_E0_NS1_11comp_targetILNS1_3genE4ELNS1_11target_archE910ELNS1_3gpuE8ELNS1_3repE0EEENS1_30default_config_static_selectorELNS0_4arch9wavefront6targetE0EEEvS14_
    .private_segment_fixed_size: 0
    .sgpr_count:     0
    .sgpr_spill_count: 0
    .symbol:         _ZN7rocprim17ROCPRIM_400000_NS6detail17trampoline_kernelINS0_14default_configENS1_22reduce_config_selectorIN6thrust23THRUST_200600_302600_NS5tupleIblNS6_9null_typeES8_S8_S8_S8_S8_S8_S8_EEEEZNS1_11reduce_implILb1ES3_NS6_12zip_iteratorINS7_INS6_11hip_rocprim26transform_input_iterator_tIbNSD_35transform_pair_of_input_iterators_tIbNS6_6detail15normal_iteratorINS6_10device_ptrIKxEEEESL_NS6_8equal_toIxEEEENSG_9not_fun_tINSD_8identityEEEEENSD_19counting_iterator_tIlEES8_S8_S8_S8_S8_S8_S8_S8_EEEEPS9_S9_NSD_9__find_if7functorIS9_EEEE10hipError_tPvRmT1_T2_T3_mT4_P12ihipStream_tbEUlT_E0_NS1_11comp_targetILNS1_3genE4ELNS1_11target_archE910ELNS1_3gpuE8ELNS1_3repE0EEENS1_30default_config_static_selectorELNS0_4arch9wavefront6targetE0EEEvS14_.kd
    .uniform_work_group_size: 1
    .uses_dynamic_stack: false
    .vgpr_count:     0
    .vgpr_spill_count: 0
    .wavefront_size: 32
  - .args:
      - .offset:         0
        .size:           104
        .value_kind:     by_value
    .group_segment_fixed_size: 0
    .kernarg_segment_align: 8
    .kernarg_segment_size: 104
    .language:       OpenCL C
    .language_version:
      - 2
      - 0
    .max_flat_workgroup_size: 128
    .name:           _ZN7rocprim17ROCPRIM_400000_NS6detail17trampoline_kernelINS0_14default_configENS1_22reduce_config_selectorIN6thrust23THRUST_200600_302600_NS5tupleIblNS6_9null_typeES8_S8_S8_S8_S8_S8_S8_EEEEZNS1_11reduce_implILb1ES3_NS6_12zip_iteratorINS7_INS6_11hip_rocprim26transform_input_iterator_tIbNSD_35transform_pair_of_input_iterators_tIbNS6_6detail15normal_iteratorINS6_10device_ptrIKxEEEESL_NS6_8equal_toIxEEEENSG_9not_fun_tINSD_8identityEEEEENSD_19counting_iterator_tIlEES8_S8_S8_S8_S8_S8_S8_S8_EEEEPS9_S9_NSD_9__find_if7functorIS9_EEEE10hipError_tPvRmT1_T2_T3_mT4_P12ihipStream_tbEUlT_E0_NS1_11comp_targetILNS1_3genE3ELNS1_11target_archE908ELNS1_3gpuE7ELNS1_3repE0EEENS1_30default_config_static_selectorELNS0_4arch9wavefront6targetE0EEEvS14_
    .private_segment_fixed_size: 0
    .sgpr_count:     0
    .sgpr_spill_count: 0
    .symbol:         _ZN7rocprim17ROCPRIM_400000_NS6detail17trampoline_kernelINS0_14default_configENS1_22reduce_config_selectorIN6thrust23THRUST_200600_302600_NS5tupleIblNS6_9null_typeES8_S8_S8_S8_S8_S8_S8_EEEEZNS1_11reduce_implILb1ES3_NS6_12zip_iteratorINS7_INS6_11hip_rocprim26transform_input_iterator_tIbNSD_35transform_pair_of_input_iterators_tIbNS6_6detail15normal_iteratorINS6_10device_ptrIKxEEEESL_NS6_8equal_toIxEEEENSG_9not_fun_tINSD_8identityEEEEENSD_19counting_iterator_tIlEES8_S8_S8_S8_S8_S8_S8_S8_EEEEPS9_S9_NSD_9__find_if7functorIS9_EEEE10hipError_tPvRmT1_T2_T3_mT4_P12ihipStream_tbEUlT_E0_NS1_11comp_targetILNS1_3genE3ELNS1_11target_archE908ELNS1_3gpuE7ELNS1_3repE0EEENS1_30default_config_static_selectorELNS0_4arch9wavefront6targetE0EEEvS14_.kd
    .uniform_work_group_size: 1
    .uses_dynamic_stack: false
    .vgpr_count:     0
    .vgpr_spill_count: 0
    .wavefront_size: 32
  - .args:
      - .offset:         0
        .size:           104
        .value_kind:     by_value
    .group_segment_fixed_size: 0
    .kernarg_segment_align: 8
    .kernarg_segment_size: 104
    .language:       OpenCL C
    .language_version:
      - 2
      - 0
    .max_flat_workgroup_size: 128
    .name:           _ZN7rocprim17ROCPRIM_400000_NS6detail17trampoline_kernelINS0_14default_configENS1_22reduce_config_selectorIN6thrust23THRUST_200600_302600_NS5tupleIblNS6_9null_typeES8_S8_S8_S8_S8_S8_S8_EEEEZNS1_11reduce_implILb1ES3_NS6_12zip_iteratorINS7_INS6_11hip_rocprim26transform_input_iterator_tIbNSD_35transform_pair_of_input_iterators_tIbNS6_6detail15normal_iteratorINS6_10device_ptrIKxEEEESL_NS6_8equal_toIxEEEENSG_9not_fun_tINSD_8identityEEEEENSD_19counting_iterator_tIlEES8_S8_S8_S8_S8_S8_S8_S8_EEEEPS9_S9_NSD_9__find_if7functorIS9_EEEE10hipError_tPvRmT1_T2_T3_mT4_P12ihipStream_tbEUlT_E0_NS1_11comp_targetILNS1_3genE2ELNS1_11target_archE906ELNS1_3gpuE6ELNS1_3repE0EEENS1_30default_config_static_selectorELNS0_4arch9wavefront6targetE0EEEvS14_
    .private_segment_fixed_size: 0
    .sgpr_count:     0
    .sgpr_spill_count: 0
    .symbol:         _ZN7rocprim17ROCPRIM_400000_NS6detail17trampoline_kernelINS0_14default_configENS1_22reduce_config_selectorIN6thrust23THRUST_200600_302600_NS5tupleIblNS6_9null_typeES8_S8_S8_S8_S8_S8_S8_EEEEZNS1_11reduce_implILb1ES3_NS6_12zip_iteratorINS7_INS6_11hip_rocprim26transform_input_iterator_tIbNSD_35transform_pair_of_input_iterators_tIbNS6_6detail15normal_iteratorINS6_10device_ptrIKxEEEESL_NS6_8equal_toIxEEEENSG_9not_fun_tINSD_8identityEEEEENSD_19counting_iterator_tIlEES8_S8_S8_S8_S8_S8_S8_S8_EEEEPS9_S9_NSD_9__find_if7functorIS9_EEEE10hipError_tPvRmT1_T2_T3_mT4_P12ihipStream_tbEUlT_E0_NS1_11comp_targetILNS1_3genE2ELNS1_11target_archE906ELNS1_3gpuE6ELNS1_3repE0EEENS1_30default_config_static_selectorELNS0_4arch9wavefront6targetE0EEEvS14_.kd
    .uniform_work_group_size: 1
    .uses_dynamic_stack: false
    .vgpr_count:     0
    .vgpr_spill_count: 0
    .wavefront_size: 32
  - .args:
      - .offset:         0
        .size:           104
        .value_kind:     by_value
    .group_segment_fixed_size: 0
    .kernarg_segment_align: 8
    .kernarg_segment_size: 104
    .language:       OpenCL C
    .language_version:
      - 2
      - 0
    .max_flat_workgroup_size: 256
    .name:           _ZN7rocprim17ROCPRIM_400000_NS6detail17trampoline_kernelINS0_14default_configENS1_22reduce_config_selectorIN6thrust23THRUST_200600_302600_NS5tupleIblNS6_9null_typeES8_S8_S8_S8_S8_S8_S8_EEEEZNS1_11reduce_implILb1ES3_NS6_12zip_iteratorINS7_INS6_11hip_rocprim26transform_input_iterator_tIbNSD_35transform_pair_of_input_iterators_tIbNS6_6detail15normal_iteratorINS6_10device_ptrIKxEEEESL_NS6_8equal_toIxEEEENSG_9not_fun_tINSD_8identityEEEEENSD_19counting_iterator_tIlEES8_S8_S8_S8_S8_S8_S8_S8_EEEEPS9_S9_NSD_9__find_if7functorIS9_EEEE10hipError_tPvRmT1_T2_T3_mT4_P12ihipStream_tbEUlT_E0_NS1_11comp_targetILNS1_3genE10ELNS1_11target_archE1201ELNS1_3gpuE5ELNS1_3repE0EEENS1_30default_config_static_selectorELNS0_4arch9wavefront6targetE0EEEvS14_
    .private_segment_fixed_size: 0
    .sgpr_count:     0
    .sgpr_spill_count: 0
    .symbol:         _ZN7rocprim17ROCPRIM_400000_NS6detail17trampoline_kernelINS0_14default_configENS1_22reduce_config_selectorIN6thrust23THRUST_200600_302600_NS5tupleIblNS6_9null_typeES8_S8_S8_S8_S8_S8_S8_EEEEZNS1_11reduce_implILb1ES3_NS6_12zip_iteratorINS7_INS6_11hip_rocprim26transform_input_iterator_tIbNSD_35transform_pair_of_input_iterators_tIbNS6_6detail15normal_iteratorINS6_10device_ptrIKxEEEESL_NS6_8equal_toIxEEEENSG_9not_fun_tINSD_8identityEEEEENSD_19counting_iterator_tIlEES8_S8_S8_S8_S8_S8_S8_S8_EEEEPS9_S9_NSD_9__find_if7functorIS9_EEEE10hipError_tPvRmT1_T2_T3_mT4_P12ihipStream_tbEUlT_E0_NS1_11comp_targetILNS1_3genE10ELNS1_11target_archE1201ELNS1_3gpuE5ELNS1_3repE0EEENS1_30default_config_static_selectorELNS0_4arch9wavefront6targetE0EEEvS14_.kd
    .uniform_work_group_size: 1
    .uses_dynamic_stack: false
    .vgpr_count:     0
    .vgpr_spill_count: 0
    .wavefront_size: 32
  - .args:
      - .offset:         0
        .size:           104
        .value_kind:     by_value
    .group_segment_fixed_size: 0
    .kernarg_segment_align: 8
    .kernarg_segment_size: 104
    .language:       OpenCL C
    .language_version:
      - 2
      - 0
    .max_flat_workgroup_size: 256
    .name:           _ZN7rocprim17ROCPRIM_400000_NS6detail17trampoline_kernelINS0_14default_configENS1_22reduce_config_selectorIN6thrust23THRUST_200600_302600_NS5tupleIblNS6_9null_typeES8_S8_S8_S8_S8_S8_S8_EEEEZNS1_11reduce_implILb1ES3_NS6_12zip_iteratorINS7_INS6_11hip_rocprim26transform_input_iterator_tIbNSD_35transform_pair_of_input_iterators_tIbNS6_6detail15normal_iteratorINS6_10device_ptrIKxEEEESL_NS6_8equal_toIxEEEENSG_9not_fun_tINSD_8identityEEEEENSD_19counting_iterator_tIlEES8_S8_S8_S8_S8_S8_S8_S8_EEEEPS9_S9_NSD_9__find_if7functorIS9_EEEE10hipError_tPvRmT1_T2_T3_mT4_P12ihipStream_tbEUlT_E0_NS1_11comp_targetILNS1_3genE10ELNS1_11target_archE1200ELNS1_3gpuE4ELNS1_3repE0EEENS1_30default_config_static_selectorELNS0_4arch9wavefront6targetE0EEEvS14_
    .private_segment_fixed_size: 0
    .sgpr_count:     0
    .sgpr_spill_count: 0
    .symbol:         _ZN7rocprim17ROCPRIM_400000_NS6detail17trampoline_kernelINS0_14default_configENS1_22reduce_config_selectorIN6thrust23THRUST_200600_302600_NS5tupleIblNS6_9null_typeES8_S8_S8_S8_S8_S8_S8_EEEEZNS1_11reduce_implILb1ES3_NS6_12zip_iteratorINS7_INS6_11hip_rocprim26transform_input_iterator_tIbNSD_35transform_pair_of_input_iterators_tIbNS6_6detail15normal_iteratorINS6_10device_ptrIKxEEEESL_NS6_8equal_toIxEEEENSG_9not_fun_tINSD_8identityEEEEENSD_19counting_iterator_tIlEES8_S8_S8_S8_S8_S8_S8_S8_EEEEPS9_S9_NSD_9__find_if7functorIS9_EEEE10hipError_tPvRmT1_T2_T3_mT4_P12ihipStream_tbEUlT_E0_NS1_11comp_targetILNS1_3genE10ELNS1_11target_archE1200ELNS1_3gpuE4ELNS1_3repE0EEENS1_30default_config_static_selectorELNS0_4arch9wavefront6targetE0EEEvS14_.kd
    .uniform_work_group_size: 1
    .uses_dynamic_stack: false
    .vgpr_count:     0
    .vgpr_spill_count: 0
    .wavefront_size: 32
  - .args:
      - .offset:         0
        .size:           104
        .value_kind:     by_value
    .group_segment_fixed_size: 0
    .kernarg_segment_align: 8
    .kernarg_segment_size: 104
    .language:       OpenCL C
    .language_version:
      - 2
      - 0
    .max_flat_workgroup_size: 256
    .name:           _ZN7rocprim17ROCPRIM_400000_NS6detail17trampoline_kernelINS0_14default_configENS1_22reduce_config_selectorIN6thrust23THRUST_200600_302600_NS5tupleIblNS6_9null_typeES8_S8_S8_S8_S8_S8_S8_EEEEZNS1_11reduce_implILb1ES3_NS6_12zip_iteratorINS7_INS6_11hip_rocprim26transform_input_iterator_tIbNSD_35transform_pair_of_input_iterators_tIbNS6_6detail15normal_iteratorINS6_10device_ptrIKxEEEESL_NS6_8equal_toIxEEEENSG_9not_fun_tINSD_8identityEEEEENSD_19counting_iterator_tIlEES8_S8_S8_S8_S8_S8_S8_S8_EEEEPS9_S9_NSD_9__find_if7functorIS9_EEEE10hipError_tPvRmT1_T2_T3_mT4_P12ihipStream_tbEUlT_E0_NS1_11comp_targetILNS1_3genE9ELNS1_11target_archE1100ELNS1_3gpuE3ELNS1_3repE0EEENS1_30default_config_static_selectorELNS0_4arch9wavefront6targetE0EEEvS14_
    .private_segment_fixed_size: 0
    .sgpr_count:     0
    .sgpr_spill_count: 0
    .symbol:         _ZN7rocprim17ROCPRIM_400000_NS6detail17trampoline_kernelINS0_14default_configENS1_22reduce_config_selectorIN6thrust23THRUST_200600_302600_NS5tupleIblNS6_9null_typeES8_S8_S8_S8_S8_S8_S8_EEEEZNS1_11reduce_implILb1ES3_NS6_12zip_iteratorINS7_INS6_11hip_rocprim26transform_input_iterator_tIbNSD_35transform_pair_of_input_iterators_tIbNS6_6detail15normal_iteratorINS6_10device_ptrIKxEEEESL_NS6_8equal_toIxEEEENSG_9not_fun_tINSD_8identityEEEEENSD_19counting_iterator_tIlEES8_S8_S8_S8_S8_S8_S8_S8_EEEEPS9_S9_NSD_9__find_if7functorIS9_EEEE10hipError_tPvRmT1_T2_T3_mT4_P12ihipStream_tbEUlT_E0_NS1_11comp_targetILNS1_3genE9ELNS1_11target_archE1100ELNS1_3gpuE3ELNS1_3repE0EEENS1_30default_config_static_selectorELNS0_4arch9wavefront6targetE0EEEvS14_.kd
    .uniform_work_group_size: 1
    .uses_dynamic_stack: false
    .vgpr_count:     0
    .vgpr_spill_count: 0
    .wavefront_size: 32
  - .args:
      - .offset:         0
        .size:           104
        .value_kind:     by_value
    .group_segment_fixed_size: 0
    .kernarg_segment_align: 8
    .kernarg_segment_size: 104
    .language:       OpenCL C
    .language_version:
      - 2
      - 0
    .max_flat_workgroup_size: 256
    .name:           _ZN7rocprim17ROCPRIM_400000_NS6detail17trampoline_kernelINS0_14default_configENS1_22reduce_config_selectorIN6thrust23THRUST_200600_302600_NS5tupleIblNS6_9null_typeES8_S8_S8_S8_S8_S8_S8_EEEEZNS1_11reduce_implILb1ES3_NS6_12zip_iteratorINS7_INS6_11hip_rocprim26transform_input_iterator_tIbNSD_35transform_pair_of_input_iterators_tIbNS6_6detail15normal_iteratorINS6_10device_ptrIKxEEEESL_NS6_8equal_toIxEEEENSG_9not_fun_tINSD_8identityEEEEENSD_19counting_iterator_tIlEES8_S8_S8_S8_S8_S8_S8_S8_EEEEPS9_S9_NSD_9__find_if7functorIS9_EEEE10hipError_tPvRmT1_T2_T3_mT4_P12ihipStream_tbEUlT_E0_NS1_11comp_targetILNS1_3genE8ELNS1_11target_archE1030ELNS1_3gpuE2ELNS1_3repE0EEENS1_30default_config_static_selectorELNS0_4arch9wavefront6targetE0EEEvS14_
    .private_segment_fixed_size: 0
    .sgpr_count:     0
    .sgpr_spill_count: 0
    .symbol:         _ZN7rocprim17ROCPRIM_400000_NS6detail17trampoline_kernelINS0_14default_configENS1_22reduce_config_selectorIN6thrust23THRUST_200600_302600_NS5tupleIblNS6_9null_typeES8_S8_S8_S8_S8_S8_S8_EEEEZNS1_11reduce_implILb1ES3_NS6_12zip_iteratorINS7_INS6_11hip_rocprim26transform_input_iterator_tIbNSD_35transform_pair_of_input_iterators_tIbNS6_6detail15normal_iteratorINS6_10device_ptrIKxEEEESL_NS6_8equal_toIxEEEENSG_9not_fun_tINSD_8identityEEEEENSD_19counting_iterator_tIlEES8_S8_S8_S8_S8_S8_S8_S8_EEEEPS9_S9_NSD_9__find_if7functorIS9_EEEE10hipError_tPvRmT1_T2_T3_mT4_P12ihipStream_tbEUlT_E0_NS1_11comp_targetILNS1_3genE8ELNS1_11target_archE1030ELNS1_3gpuE2ELNS1_3repE0EEENS1_30default_config_static_selectorELNS0_4arch9wavefront6targetE0EEEvS14_.kd
    .uniform_work_group_size: 1
    .uses_dynamic_stack: false
    .vgpr_count:     0
    .vgpr_spill_count: 0
    .wavefront_size: 32
  - .args:
      - .offset:         0
        .size:           88
        .value_kind:     by_value
    .group_segment_fixed_size: 320
    .kernarg_segment_align: 8
    .kernarg_segment_size: 88
    .language:       OpenCL C
    .language_version:
      - 2
      - 0
    .max_flat_workgroup_size: 128
    .name:           _ZN7rocprim17ROCPRIM_400000_NS6detail17trampoline_kernelINS0_14default_configENS1_22reduce_config_selectorIN6thrust23THRUST_200600_302600_NS5tupleIblNS6_9null_typeES8_S8_S8_S8_S8_S8_S8_EEEEZNS1_11reduce_implILb1ES3_NS6_12zip_iteratorINS7_INS6_11hip_rocprim26transform_input_iterator_tIbNSD_35transform_pair_of_input_iterators_tIbNS6_6detail15normal_iteratorINS6_10device_ptrIKxEEEESL_NS6_8equal_toIxEEEENSG_9not_fun_tINSD_8identityEEEEENSD_19counting_iterator_tIlEES8_S8_S8_S8_S8_S8_S8_S8_EEEEPS9_S9_NSD_9__find_if7functorIS9_EEEE10hipError_tPvRmT1_T2_T3_mT4_P12ihipStream_tbEUlT_E1_NS1_11comp_targetILNS1_3genE0ELNS1_11target_archE4294967295ELNS1_3gpuE0ELNS1_3repE0EEENS1_30default_config_static_selectorELNS0_4arch9wavefront6targetE0EEEvS14_
    .private_segment_fixed_size: 0
    .sgpr_count:     30
    .sgpr_spill_count: 0
    .symbol:         _ZN7rocprim17ROCPRIM_400000_NS6detail17trampoline_kernelINS0_14default_configENS1_22reduce_config_selectorIN6thrust23THRUST_200600_302600_NS5tupleIblNS6_9null_typeES8_S8_S8_S8_S8_S8_S8_EEEEZNS1_11reduce_implILb1ES3_NS6_12zip_iteratorINS7_INS6_11hip_rocprim26transform_input_iterator_tIbNSD_35transform_pair_of_input_iterators_tIbNS6_6detail15normal_iteratorINS6_10device_ptrIKxEEEESL_NS6_8equal_toIxEEEENSG_9not_fun_tINSD_8identityEEEEENSD_19counting_iterator_tIlEES8_S8_S8_S8_S8_S8_S8_S8_EEEEPS9_S9_NSD_9__find_if7functorIS9_EEEE10hipError_tPvRmT1_T2_T3_mT4_P12ihipStream_tbEUlT_E1_NS1_11comp_targetILNS1_3genE0ELNS1_11target_archE4294967295ELNS1_3gpuE0ELNS1_3repE0EEENS1_30default_config_static_selectorELNS0_4arch9wavefront6targetE0EEEvS14_.kd
    .uniform_work_group_size: 1
    .uses_dynamic_stack: false
    .vgpr_count:     36
    .vgpr_spill_count: 0
    .wavefront_size: 32
  - .args:
      - .offset:         0
        .size:           88
        .value_kind:     by_value
    .group_segment_fixed_size: 0
    .kernarg_segment_align: 8
    .kernarg_segment_size: 88
    .language:       OpenCL C
    .language_version:
      - 2
      - 0
    .max_flat_workgroup_size: 256
    .name:           _ZN7rocprim17ROCPRIM_400000_NS6detail17trampoline_kernelINS0_14default_configENS1_22reduce_config_selectorIN6thrust23THRUST_200600_302600_NS5tupleIblNS6_9null_typeES8_S8_S8_S8_S8_S8_S8_EEEEZNS1_11reduce_implILb1ES3_NS6_12zip_iteratorINS7_INS6_11hip_rocprim26transform_input_iterator_tIbNSD_35transform_pair_of_input_iterators_tIbNS6_6detail15normal_iteratorINS6_10device_ptrIKxEEEESL_NS6_8equal_toIxEEEENSG_9not_fun_tINSD_8identityEEEEENSD_19counting_iterator_tIlEES8_S8_S8_S8_S8_S8_S8_S8_EEEEPS9_S9_NSD_9__find_if7functorIS9_EEEE10hipError_tPvRmT1_T2_T3_mT4_P12ihipStream_tbEUlT_E1_NS1_11comp_targetILNS1_3genE5ELNS1_11target_archE942ELNS1_3gpuE9ELNS1_3repE0EEENS1_30default_config_static_selectorELNS0_4arch9wavefront6targetE0EEEvS14_
    .private_segment_fixed_size: 0
    .sgpr_count:     0
    .sgpr_spill_count: 0
    .symbol:         _ZN7rocprim17ROCPRIM_400000_NS6detail17trampoline_kernelINS0_14default_configENS1_22reduce_config_selectorIN6thrust23THRUST_200600_302600_NS5tupleIblNS6_9null_typeES8_S8_S8_S8_S8_S8_S8_EEEEZNS1_11reduce_implILb1ES3_NS6_12zip_iteratorINS7_INS6_11hip_rocprim26transform_input_iterator_tIbNSD_35transform_pair_of_input_iterators_tIbNS6_6detail15normal_iteratorINS6_10device_ptrIKxEEEESL_NS6_8equal_toIxEEEENSG_9not_fun_tINSD_8identityEEEEENSD_19counting_iterator_tIlEES8_S8_S8_S8_S8_S8_S8_S8_EEEEPS9_S9_NSD_9__find_if7functorIS9_EEEE10hipError_tPvRmT1_T2_T3_mT4_P12ihipStream_tbEUlT_E1_NS1_11comp_targetILNS1_3genE5ELNS1_11target_archE942ELNS1_3gpuE9ELNS1_3repE0EEENS1_30default_config_static_selectorELNS0_4arch9wavefront6targetE0EEEvS14_.kd
    .uniform_work_group_size: 1
    .uses_dynamic_stack: false
    .vgpr_count:     0
    .vgpr_spill_count: 0
    .wavefront_size: 32
  - .args:
      - .offset:         0
        .size:           88
        .value_kind:     by_value
    .group_segment_fixed_size: 0
    .kernarg_segment_align: 8
    .kernarg_segment_size: 88
    .language:       OpenCL C
    .language_version:
      - 2
      - 0
    .max_flat_workgroup_size: 256
    .name:           _ZN7rocprim17ROCPRIM_400000_NS6detail17trampoline_kernelINS0_14default_configENS1_22reduce_config_selectorIN6thrust23THRUST_200600_302600_NS5tupleIblNS6_9null_typeES8_S8_S8_S8_S8_S8_S8_EEEEZNS1_11reduce_implILb1ES3_NS6_12zip_iteratorINS7_INS6_11hip_rocprim26transform_input_iterator_tIbNSD_35transform_pair_of_input_iterators_tIbNS6_6detail15normal_iteratorINS6_10device_ptrIKxEEEESL_NS6_8equal_toIxEEEENSG_9not_fun_tINSD_8identityEEEEENSD_19counting_iterator_tIlEES8_S8_S8_S8_S8_S8_S8_S8_EEEEPS9_S9_NSD_9__find_if7functorIS9_EEEE10hipError_tPvRmT1_T2_T3_mT4_P12ihipStream_tbEUlT_E1_NS1_11comp_targetILNS1_3genE4ELNS1_11target_archE910ELNS1_3gpuE8ELNS1_3repE0EEENS1_30default_config_static_selectorELNS0_4arch9wavefront6targetE0EEEvS14_
    .private_segment_fixed_size: 0
    .sgpr_count:     0
    .sgpr_spill_count: 0
    .symbol:         _ZN7rocprim17ROCPRIM_400000_NS6detail17trampoline_kernelINS0_14default_configENS1_22reduce_config_selectorIN6thrust23THRUST_200600_302600_NS5tupleIblNS6_9null_typeES8_S8_S8_S8_S8_S8_S8_EEEEZNS1_11reduce_implILb1ES3_NS6_12zip_iteratorINS7_INS6_11hip_rocprim26transform_input_iterator_tIbNSD_35transform_pair_of_input_iterators_tIbNS6_6detail15normal_iteratorINS6_10device_ptrIKxEEEESL_NS6_8equal_toIxEEEENSG_9not_fun_tINSD_8identityEEEEENSD_19counting_iterator_tIlEES8_S8_S8_S8_S8_S8_S8_S8_EEEEPS9_S9_NSD_9__find_if7functorIS9_EEEE10hipError_tPvRmT1_T2_T3_mT4_P12ihipStream_tbEUlT_E1_NS1_11comp_targetILNS1_3genE4ELNS1_11target_archE910ELNS1_3gpuE8ELNS1_3repE0EEENS1_30default_config_static_selectorELNS0_4arch9wavefront6targetE0EEEvS14_.kd
    .uniform_work_group_size: 1
    .uses_dynamic_stack: false
    .vgpr_count:     0
    .vgpr_spill_count: 0
    .wavefront_size: 32
  - .args:
      - .offset:         0
        .size:           88
        .value_kind:     by_value
    .group_segment_fixed_size: 0
    .kernarg_segment_align: 8
    .kernarg_segment_size: 88
    .language:       OpenCL C
    .language_version:
      - 2
      - 0
    .max_flat_workgroup_size: 128
    .name:           _ZN7rocprim17ROCPRIM_400000_NS6detail17trampoline_kernelINS0_14default_configENS1_22reduce_config_selectorIN6thrust23THRUST_200600_302600_NS5tupleIblNS6_9null_typeES8_S8_S8_S8_S8_S8_S8_EEEEZNS1_11reduce_implILb1ES3_NS6_12zip_iteratorINS7_INS6_11hip_rocprim26transform_input_iterator_tIbNSD_35transform_pair_of_input_iterators_tIbNS6_6detail15normal_iteratorINS6_10device_ptrIKxEEEESL_NS6_8equal_toIxEEEENSG_9not_fun_tINSD_8identityEEEEENSD_19counting_iterator_tIlEES8_S8_S8_S8_S8_S8_S8_S8_EEEEPS9_S9_NSD_9__find_if7functorIS9_EEEE10hipError_tPvRmT1_T2_T3_mT4_P12ihipStream_tbEUlT_E1_NS1_11comp_targetILNS1_3genE3ELNS1_11target_archE908ELNS1_3gpuE7ELNS1_3repE0EEENS1_30default_config_static_selectorELNS0_4arch9wavefront6targetE0EEEvS14_
    .private_segment_fixed_size: 0
    .sgpr_count:     0
    .sgpr_spill_count: 0
    .symbol:         _ZN7rocprim17ROCPRIM_400000_NS6detail17trampoline_kernelINS0_14default_configENS1_22reduce_config_selectorIN6thrust23THRUST_200600_302600_NS5tupleIblNS6_9null_typeES8_S8_S8_S8_S8_S8_S8_EEEEZNS1_11reduce_implILb1ES3_NS6_12zip_iteratorINS7_INS6_11hip_rocprim26transform_input_iterator_tIbNSD_35transform_pair_of_input_iterators_tIbNS6_6detail15normal_iteratorINS6_10device_ptrIKxEEEESL_NS6_8equal_toIxEEEENSG_9not_fun_tINSD_8identityEEEEENSD_19counting_iterator_tIlEES8_S8_S8_S8_S8_S8_S8_S8_EEEEPS9_S9_NSD_9__find_if7functorIS9_EEEE10hipError_tPvRmT1_T2_T3_mT4_P12ihipStream_tbEUlT_E1_NS1_11comp_targetILNS1_3genE3ELNS1_11target_archE908ELNS1_3gpuE7ELNS1_3repE0EEENS1_30default_config_static_selectorELNS0_4arch9wavefront6targetE0EEEvS14_.kd
    .uniform_work_group_size: 1
    .uses_dynamic_stack: false
    .vgpr_count:     0
    .vgpr_spill_count: 0
    .wavefront_size: 32
  - .args:
      - .offset:         0
        .size:           88
        .value_kind:     by_value
    .group_segment_fixed_size: 0
    .kernarg_segment_align: 8
    .kernarg_segment_size: 88
    .language:       OpenCL C
    .language_version:
      - 2
      - 0
    .max_flat_workgroup_size: 128
    .name:           _ZN7rocprim17ROCPRIM_400000_NS6detail17trampoline_kernelINS0_14default_configENS1_22reduce_config_selectorIN6thrust23THRUST_200600_302600_NS5tupleIblNS6_9null_typeES8_S8_S8_S8_S8_S8_S8_EEEEZNS1_11reduce_implILb1ES3_NS6_12zip_iteratorINS7_INS6_11hip_rocprim26transform_input_iterator_tIbNSD_35transform_pair_of_input_iterators_tIbNS6_6detail15normal_iteratorINS6_10device_ptrIKxEEEESL_NS6_8equal_toIxEEEENSG_9not_fun_tINSD_8identityEEEEENSD_19counting_iterator_tIlEES8_S8_S8_S8_S8_S8_S8_S8_EEEEPS9_S9_NSD_9__find_if7functorIS9_EEEE10hipError_tPvRmT1_T2_T3_mT4_P12ihipStream_tbEUlT_E1_NS1_11comp_targetILNS1_3genE2ELNS1_11target_archE906ELNS1_3gpuE6ELNS1_3repE0EEENS1_30default_config_static_selectorELNS0_4arch9wavefront6targetE0EEEvS14_
    .private_segment_fixed_size: 0
    .sgpr_count:     0
    .sgpr_spill_count: 0
    .symbol:         _ZN7rocprim17ROCPRIM_400000_NS6detail17trampoline_kernelINS0_14default_configENS1_22reduce_config_selectorIN6thrust23THRUST_200600_302600_NS5tupleIblNS6_9null_typeES8_S8_S8_S8_S8_S8_S8_EEEEZNS1_11reduce_implILb1ES3_NS6_12zip_iteratorINS7_INS6_11hip_rocprim26transform_input_iterator_tIbNSD_35transform_pair_of_input_iterators_tIbNS6_6detail15normal_iteratorINS6_10device_ptrIKxEEEESL_NS6_8equal_toIxEEEENSG_9not_fun_tINSD_8identityEEEEENSD_19counting_iterator_tIlEES8_S8_S8_S8_S8_S8_S8_S8_EEEEPS9_S9_NSD_9__find_if7functorIS9_EEEE10hipError_tPvRmT1_T2_T3_mT4_P12ihipStream_tbEUlT_E1_NS1_11comp_targetILNS1_3genE2ELNS1_11target_archE906ELNS1_3gpuE6ELNS1_3repE0EEENS1_30default_config_static_selectorELNS0_4arch9wavefront6targetE0EEEvS14_.kd
    .uniform_work_group_size: 1
    .uses_dynamic_stack: false
    .vgpr_count:     0
    .vgpr_spill_count: 0
    .wavefront_size: 32
  - .args:
      - .offset:         0
        .size:           88
        .value_kind:     by_value
    .group_segment_fixed_size: 0
    .kernarg_segment_align: 8
    .kernarg_segment_size: 88
    .language:       OpenCL C
    .language_version:
      - 2
      - 0
    .max_flat_workgroup_size: 256
    .name:           _ZN7rocprim17ROCPRIM_400000_NS6detail17trampoline_kernelINS0_14default_configENS1_22reduce_config_selectorIN6thrust23THRUST_200600_302600_NS5tupleIblNS6_9null_typeES8_S8_S8_S8_S8_S8_S8_EEEEZNS1_11reduce_implILb1ES3_NS6_12zip_iteratorINS7_INS6_11hip_rocprim26transform_input_iterator_tIbNSD_35transform_pair_of_input_iterators_tIbNS6_6detail15normal_iteratorINS6_10device_ptrIKxEEEESL_NS6_8equal_toIxEEEENSG_9not_fun_tINSD_8identityEEEEENSD_19counting_iterator_tIlEES8_S8_S8_S8_S8_S8_S8_S8_EEEEPS9_S9_NSD_9__find_if7functorIS9_EEEE10hipError_tPvRmT1_T2_T3_mT4_P12ihipStream_tbEUlT_E1_NS1_11comp_targetILNS1_3genE10ELNS1_11target_archE1201ELNS1_3gpuE5ELNS1_3repE0EEENS1_30default_config_static_selectorELNS0_4arch9wavefront6targetE0EEEvS14_
    .private_segment_fixed_size: 0
    .sgpr_count:     0
    .sgpr_spill_count: 0
    .symbol:         _ZN7rocprim17ROCPRIM_400000_NS6detail17trampoline_kernelINS0_14default_configENS1_22reduce_config_selectorIN6thrust23THRUST_200600_302600_NS5tupleIblNS6_9null_typeES8_S8_S8_S8_S8_S8_S8_EEEEZNS1_11reduce_implILb1ES3_NS6_12zip_iteratorINS7_INS6_11hip_rocprim26transform_input_iterator_tIbNSD_35transform_pair_of_input_iterators_tIbNS6_6detail15normal_iteratorINS6_10device_ptrIKxEEEESL_NS6_8equal_toIxEEEENSG_9not_fun_tINSD_8identityEEEEENSD_19counting_iterator_tIlEES8_S8_S8_S8_S8_S8_S8_S8_EEEEPS9_S9_NSD_9__find_if7functorIS9_EEEE10hipError_tPvRmT1_T2_T3_mT4_P12ihipStream_tbEUlT_E1_NS1_11comp_targetILNS1_3genE10ELNS1_11target_archE1201ELNS1_3gpuE5ELNS1_3repE0EEENS1_30default_config_static_selectorELNS0_4arch9wavefront6targetE0EEEvS14_.kd
    .uniform_work_group_size: 1
    .uses_dynamic_stack: false
    .vgpr_count:     0
    .vgpr_spill_count: 0
    .wavefront_size: 32
  - .args:
      - .offset:         0
        .size:           88
        .value_kind:     by_value
    .group_segment_fixed_size: 0
    .kernarg_segment_align: 8
    .kernarg_segment_size: 88
    .language:       OpenCL C
    .language_version:
      - 2
      - 0
    .max_flat_workgroup_size: 256
    .name:           _ZN7rocprim17ROCPRIM_400000_NS6detail17trampoline_kernelINS0_14default_configENS1_22reduce_config_selectorIN6thrust23THRUST_200600_302600_NS5tupleIblNS6_9null_typeES8_S8_S8_S8_S8_S8_S8_EEEEZNS1_11reduce_implILb1ES3_NS6_12zip_iteratorINS7_INS6_11hip_rocprim26transform_input_iterator_tIbNSD_35transform_pair_of_input_iterators_tIbNS6_6detail15normal_iteratorINS6_10device_ptrIKxEEEESL_NS6_8equal_toIxEEEENSG_9not_fun_tINSD_8identityEEEEENSD_19counting_iterator_tIlEES8_S8_S8_S8_S8_S8_S8_S8_EEEEPS9_S9_NSD_9__find_if7functorIS9_EEEE10hipError_tPvRmT1_T2_T3_mT4_P12ihipStream_tbEUlT_E1_NS1_11comp_targetILNS1_3genE10ELNS1_11target_archE1200ELNS1_3gpuE4ELNS1_3repE0EEENS1_30default_config_static_selectorELNS0_4arch9wavefront6targetE0EEEvS14_
    .private_segment_fixed_size: 0
    .sgpr_count:     0
    .sgpr_spill_count: 0
    .symbol:         _ZN7rocprim17ROCPRIM_400000_NS6detail17trampoline_kernelINS0_14default_configENS1_22reduce_config_selectorIN6thrust23THRUST_200600_302600_NS5tupleIblNS6_9null_typeES8_S8_S8_S8_S8_S8_S8_EEEEZNS1_11reduce_implILb1ES3_NS6_12zip_iteratorINS7_INS6_11hip_rocprim26transform_input_iterator_tIbNSD_35transform_pair_of_input_iterators_tIbNS6_6detail15normal_iteratorINS6_10device_ptrIKxEEEESL_NS6_8equal_toIxEEEENSG_9not_fun_tINSD_8identityEEEEENSD_19counting_iterator_tIlEES8_S8_S8_S8_S8_S8_S8_S8_EEEEPS9_S9_NSD_9__find_if7functorIS9_EEEE10hipError_tPvRmT1_T2_T3_mT4_P12ihipStream_tbEUlT_E1_NS1_11comp_targetILNS1_3genE10ELNS1_11target_archE1200ELNS1_3gpuE4ELNS1_3repE0EEENS1_30default_config_static_selectorELNS0_4arch9wavefront6targetE0EEEvS14_.kd
    .uniform_work_group_size: 1
    .uses_dynamic_stack: false
    .vgpr_count:     0
    .vgpr_spill_count: 0
    .wavefront_size: 32
  - .args:
      - .offset:         0
        .size:           88
        .value_kind:     by_value
    .group_segment_fixed_size: 0
    .kernarg_segment_align: 8
    .kernarg_segment_size: 88
    .language:       OpenCL C
    .language_version:
      - 2
      - 0
    .max_flat_workgroup_size: 256
    .name:           _ZN7rocprim17ROCPRIM_400000_NS6detail17trampoline_kernelINS0_14default_configENS1_22reduce_config_selectorIN6thrust23THRUST_200600_302600_NS5tupleIblNS6_9null_typeES8_S8_S8_S8_S8_S8_S8_EEEEZNS1_11reduce_implILb1ES3_NS6_12zip_iteratorINS7_INS6_11hip_rocprim26transform_input_iterator_tIbNSD_35transform_pair_of_input_iterators_tIbNS6_6detail15normal_iteratorINS6_10device_ptrIKxEEEESL_NS6_8equal_toIxEEEENSG_9not_fun_tINSD_8identityEEEEENSD_19counting_iterator_tIlEES8_S8_S8_S8_S8_S8_S8_S8_EEEEPS9_S9_NSD_9__find_if7functorIS9_EEEE10hipError_tPvRmT1_T2_T3_mT4_P12ihipStream_tbEUlT_E1_NS1_11comp_targetILNS1_3genE9ELNS1_11target_archE1100ELNS1_3gpuE3ELNS1_3repE0EEENS1_30default_config_static_selectorELNS0_4arch9wavefront6targetE0EEEvS14_
    .private_segment_fixed_size: 0
    .sgpr_count:     0
    .sgpr_spill_count: 0
    .symbol:         _ZN7rocprim17ROCPRIM_400000_NS6detail17trampoline_kernelINS0_14default_configENS1_22reduce_config_selectorIN6thrust23THRUST_200600_302600_NS5tupleIblNS6_9null_typeES8_S8_S8_S8_S8_S8_S8_EEEEZNS1_11reduce_implILb1ES3_NS6_12zip_iteratorINS7_INS6_11hip_rocprim26transform_input_iterator_tIbNSD_35transform_pair_of_input_iterators_tIbNS6_6detail15normal_iteratorINS6_10device_ptrIKxEEEESL_NS6_8equal_toIxEEEENSG_9not_fun_tINSD_8identityEEEEENSD_19counting_iterator_tIlEES8_S8_S8_S8_S8_S8_S8_S8_EEEEPS9_S9_NSD_9__find_if7functorIS9_EEEE10hipError_tPvRmT1_T2_T3_mT4_P12ihipStream_tbEUlT_E1_NS1_11comp_targetILNS1_3genE9ELNS1_11target_archE1100ELNS1_3gpuE3ELNS1_3repE0EEENS1_30default_config_static_selectorELNS0_4arch9wavefront6targetE0EEEvS14_.kd
    .uniform_work_group_size: 1
    .uses_dynamic_stack: false
    .vgpr_count:     0
    .vgpr_spill_count: 0
    .wavefront_size: 32
  - .args:
      - .offset:         0
        .size:           88
        .value_kind:     by_value
    .group_segment_fixed_size: 0
    .kernarg_segment_align: 8
    .kernarg_segment_size: 88
    .language:       OpenCL C
    .language_version:
      - 2
      - 0
    .max_flat_workgroup_size: 256
    .name:           _ZN7rocprim17ROCPRIM_400000_NS6detail17trampoline_kernelINS0_14default_configENS1_22reduce_config_selectorIN6thrust23THRUST_200600_302600_NS5tupleIblNS6_9null_typeES8_S8_S8_S8_S8_S8_S8_EEEEZNS1_11reduce_implILb1ES3_NS6_12zip_iteratorINS7_INS6_11hip_rocprim26transform_input_iterator_tIbNSD_35transform_pair_of_input_iterators_tIbNS6_6detail15normal_iteratorINS6_10device_ptrIKxEEEESL_NS6_8equal_toIxEEEENSG_9not_fun_tINSD_8identityEEEEENSD_19counting_iterator_tIlEES8_S8_S8_S8_S8_S8_S8_S8_EEEEPS9_S9_NSD_9__find_if7functorIS9_EEEE10hipError_tPvRmT1_T2_T3_mT4_P12ihipStream_tbEUlT_E1_NS1_11comp_targetILNS1_3genE8ELNS1_11target_archE1030ELNS1_3gpuE2ELNS1_3repE0EEENS1_30default_config_static_selectorELNS0_4arch9wavefront6targetE0EEEvS14_
    .private_segment_fixed_size: 0
    .sgpr_count:     0
    .sgpr_spill_count: 0
    .symbol:         _ZN7rocprim17ROCPRIM_400000_NS6detail17trampoline_kernelINS0_14default_configENS1_22reduce_config_selectorIN6thrust23THRUST_200600_302600_NS5tupleIblNS6_9null_typeES8_S8_S8_S8_S8_S8_S8_EEEEZNS1_11reduce_implILb1ES3_NS6_12zip_iteratorINS7_INS6_11hip_rocprim26transform_input_iterator_tIbNSD_35transform_pair_of_input_iterators_tIbNS6_6detail15normal_iteratorINS6_10device_ptrIKxEEEESL_NS6_8equal_toIxEEEENSG_9not_fun_tINSD_8identityEEEEENSD_19counting_iterator_tIlEES8_S8_S8_S8_S8_S8_S8_S8_EEEEPS9_S9_NSD_9__find_if7functorIS9_EEEE10hipError_tPvRmT1_T2_T3_mT4_P12ihipStream_tbEUlT_E1_NS1_11comp_targetILNS1_3genE8ELNS1_11target_archE1030ELNS1_3gpuE2ELNS1_3repE0EEENS1_30default_config_static_selectorELNS0_4arch9wavefront6targetE0EEEvS14_.kd
    .uniform_work_group_size: 1
    .uses_dynamic_stack: false
    .vgpr_count:     0
    .vgpr_spill_count: 0
    .wavefront_size: 32
  - .args:
      - .offset:         0
        .size:           64
        .value_kind:     by_value
      - .offset:         64
        .size:           4
        .value_kind:     hidden_block_count_x
      - .offset:         68
        .size:           4
        .value_kind:     hidden_block_count_y
      - .offset:         72
        .size:           4
        .value_kind:     hidden_block_count_z
      - .offset:         76
        .size:           2
        .value_kind:     hidden_group_size_x
      - .offset:         78
        .size:           2
        .value_kind:     hidden_group_size_y
      - .offset:         80
        .size:           2
        .value_kind:     hidden_group_size_z
      - .offset:         82
        .size:           2
        .value_kind:     hidden_remainder_x
      - .offset:         84
        .size:           2
        .value_kind:     hidden_remainder_y
      - .offset:         86
        .size:           2
        .value_kind:     hidden_remainder_z
      - .offset:         104
        .size:           8
        .value_kind:     hidden_global_offset_x
      - .offset:         112
        .size:           8
        .value_kind:     hidden_global_offset_y
      - .offset:         120
        .size:           8
        .value_kind:     hidden_global_offset_z
      - .offset:         128
        .size:           2
        .value_kind:     hidden_grid_dims
    .group_segment_fixed_size: 0
    .kernarg_segment_align: 8
    .kernarg_segment_size: 320
    .language:       OpenCL C
    .language_version:
      - 2
      - 0
    .max_flat_workgroup_size: 256
    .name:           _ZN7rocprim17ROCPRIM_400000_NS6detail17trampoline_kernelINS0_14default_configENS1_21merge_config_selectorINS0_5tupleIJiiEEENS0_10empty_typeEEEZNS1_10merge_implIS3_NS0_12zip_iteratorINS5_IJN6thrust23THRUST_200600_302600_NS6detail15normal_iteratorINSC_10device_ptrIKiEEEESI_EEEEESK_NSA_INS5_IJNSE_INSF_IiEEEESM_EEEEEPS7_SP_SP_NSC_11hip_rocprim7__merge17predicate_wrapperIiiNSC_4lessIiEEEEEE10hipError_tPvRmT0_T1_T2_T3_T4_T5_mmT6_P12ihipStream_tbEUlT_E_NS1_11comp_targetILNS1_3genE0ELNS1_11target_archE4294967295ELNS1_3gpuE0ELNS1_3repE0EEENS1_30default_config_static_selectorELNS0_4arch9wavefront6targetE0EEEvS10_
    .private_segment_fixed_size: 0
    .sgpr_count:     16
    .sgpr_spill_count: 0
    .symbol:         _ZN7rocprim17ROCPRIM_400000_NS6detail17trampoline_kernelINS0_14default_configENS1_21merge_config_selectorINS0_5tupleIJiiEEENS0_10empty_typeEEEZNS1_10merge_implIS3_NS0_12zip_iteratorINS5_IJN6thrust23THRUST_200600_302600_NS6detail15normal_iteratorINSC_10device_ptrIKiEEEESI_EEEEESK_NSA_INS5_IJNSE_INSF_IiEEEESM_EEEEEPS7_SP_SP_NSC_11hip_rocprim7__merge17predicate_wrapperIiiNSC_4lessIiEEEEEE10hipError_tPvRmT0_T1_T2_T3_T4_T5_mmT6_P12ihipStream_tbEUlT_E_NS1_11comp_targetILNS1_3genE0ELNS1_11target_archE4294967295ELNS1_3gpuE0ELNS1_3repE0EEENS1_30default_config_static_selectorELNS0_4arch9wavefront6targetE0EEEvS10_.kd
    .uniform_work_group_size: 1
    .uses_dynamic_stack: false
    .vgpr_count:     15
    .vgpr_spill_count: 0
    .wavefront_size: 32
  - .args:
      - .offset:         0
        .size:           64
        .value_kind:     by_value
    .group_segment_fixed_size: 0
    .kernarg_segment_align: 8
    .kernarg_segment_size: 64
    .language:       OpenCL C
    .language_version:
      - 2
      - 0
    .max_flat_workgroup_size: 256
    .name:           _ZN7rocprim17ROCPRIM_400000_NS6detail17trampoline_kernelINS0_14default_configENS1_21merge_config_selectorINS0_5tupleIJiiEEENS0_10empty_typeEEEZNS1_10merge_implIS3_NS0_12zip_iteratorINS5_IJN6thrust23THRUST_200600_302600_NS6detail15normal_iteratorINSC_10device_ptrIKiEEEESI_EEEEESK_NSA_INS5_IJNSE_INSF_IiEEEESM_EEEEEPS7_SP_SP_NSC_11hip_rocprim7__merge17predicate_wrapperIiiNSC_4lessIiEEEEEE10hipError_tPvRmT0_T1_T2_T3_T4_T5_mmT6_P12ihipStream_tbEUlT_E_NS1_11comp_targetILNS1_3genE5ELNS1_11target_archE942ELNS1_3gpuE9ELNS1_3repE0EEENS1_30default_config_static_selectorELNS0_4arch9wavefront6targetE0EEEvS10_
    .private_segment_fixed_size: 0
    .sgpr_count:     0
    .sgpr_spill_count: 0
    .symbol:         _ZN7rocprim17ROCPRIM_400000_NS6detail17trampoline_kernelINS0_14default_configENS1_21merge_config_selectorINS0_5tupleIJiiEEENS0_10empty_typeEEEZNS1_10merge_implIS3_NS0_12zip_iteratorINS5_IJN6thrust23THRUST_200600_302600_NS6detail15normal_iteratorINSC_10device_ptrIKiEEEESI_EEEEESK_NSA_INS5_IJNSE_INSF_IiEEEESM_EEEEEPS7_SP_SP_NSC_11hip_rocprim7__merge17predicate_wrapperIiiNSC_4lessIiEEEEEE10hipError_tPvRmT0_T1_T2_T3_T4_T5_mmT6_P12ihipStream_tbEUlT_E_NS1_11comp_targetILNS1_3genE5ELNS1_11target_archE942ELNS1_3gpuE9ELNS1_3repE0EEENS1_30default_config_static_selectorELNS0_4arch9wavefront6targetE0EEEvS10_.kd
    .uniform_work_group_size: 1
    .uses_dynamic_stack: false
    .vgpr_count:     0
    .vgpr_spill_count: 0
    .wavefront_size: 32
  - .args:
      - .offset:         0
        .size:           64
        .value_kind:     by_value
    .group_segment_fixed_size: 0
    .kernarg_segment_align: 8
    .kernarg_segment_size: 64
    .language:       OpenCL C
    .language_version:
      - 2
      - 0
    .max_flat_workgroup_size: 256
    .name:           _ZN7rocprim17ROCPRIM_400000_NS6detail17trampoline_kernelINS0_14default_configENS1_21merge_config_selectorINS0_5tupleIJiiEEENS0_10empty_typeEEEZNS1_10merge_implIS3_NS0_12zip_iteratorINS5_IJN6thrust23THRUST_200600_302600_NS6detail15normal_iteratorINSC_10device_ptrIKiEEEESI_EEEEESK_NSA_INS5_IJNSE_INSF_IiEEEESM_EEEEEPS7_SP_SP_NSC_11hip_rocprim7__merge17predicate_wrapperIiiNSC_4lessIiEEEEEE10hipError_tPvRmT0_T1_T2_T3_T4_T5_mmT6_P12ihipStream_tbEUlT_E_NS1_11comp_targetILNS1_3genE4ELNS1_11target_archE910ELNS1_3gpuE8ELNS1_3repE0EEENS1_30default_config_static_selectorELNS0_4arch9wavefront6targetE0EEEvS10_
    .private_segment_fixed_size: 0
    .sgpr_count:     0
    .sgpr_spill_count: 0
    .symbol:         _ZN7rocprim17ROCPRIM_400000_NS6detail17trampoline_kernelINS0_14default_configENS1_21merge_config_selectorINS0_5tupleIJiiEEENS0_10empty_typeEEEZNS1_10merge_implIS3_NS0_12zip_iteratorINS5_IJN6thrust23THRUST_200600_302600_NS6detail15normal_iteratorINSC_10device_ptrIKiEEEESI_EEEEESK_NSA_INS5_IJNSE_INSF_IiEEEESM_EEEEEPS7_SP_SP_NSC_11hip_rocprim7__merge17predicate_wrapperIiiNSC_4lessIiEEEEEE10hipError_tPvRmT0_T1_T2_T3_T4_T5_mmT6_P12ihipStream_tbEUlT_E_NS1_11comp_targetILNS1_3genE4ELNS1_11target_archE910ELNS1_3gpuE8ELNS1_3repE0EEENS1_30default_config_static_selectorELNS0_4arch9wavefront6targetE0EEEvS10_.kd
    .uniform_work_group_size: 1
    .uses_dynamic_stack: false
    .vgpr_count:     0
    .vgpr_spill_count: 0
    .wavefront_size: 32
  - .args:
      - .offset:         0
        .size:           64
        .value_kind:     by_value
    .group_segment_fixed_size: 0
    .kernarg_segment_align: 8
    .kernarg_segment_size: 64
    .language:       OpenCL C
    .language_version:
      - 2
      - 0
    .max_flat_workgroup_size: 256
    .name:           _ZN7rocprim17ROCPRIM_400000_NS6detail17trampoline_kernelINS0_14default_configENS1_21merge_config_selectorINS0_5tupleIJiiEEENS0_10empty_typeEEEZNS1_10merge_implIS3_NS0_12zip_iteratorINS5_IJN6thrust23THRUST_200600_302600_NS6detail15normal_iteratorINSC_10device_ptrIKiEEEESI_EEEEESK_NSA_INS5_IJNSE_INSF_IiEEEESM_EEEEEPS7_SP_SP_NSC_11hip_rocprim7__merge17predicate_wrapperIiiNSC_4lessIiEEEEEE10hipError_tPvRmT0_T1_T2_T3_T4_T5_mmT6_P12ihipStream_tbEUlT_E_NS1_11comp_targetILNS1_3genE3ELNS1_11target_archE908ELNS1_3gpuE7ELNS1_3repE0EEENS1_30default_config_static_selectorELNS0_4arch9wavefront6targetE0EEEvS10_
    .private_segment_fixed_size: 0
    .sgpr_count:     0
    .sgpr_spill_count: 0
    .symbol:         _ZN7rocprim17ROCPRIM_400000_NS6detail17trampoline_kernelINS0_14default_configENS1_21merge_config_selectorINS0_5tupleIJiiEEENS0_10empty_typeEEEZNS1_10merge_implIS3_NS0_12zip_iteratorINS5_IJN6thrust23THRUST_200600_302600_NS6detail15normal_iteratorINSC_10device_ptrIKiEEEESI_EEEEESK_NSA_INS5_IJNSE_INSF_IiEEEESM_EEEEEPS7_SP_SP_NSC_11hip_rocprim7__merge17predicate_wrapperIiiNSC_4lessIiEEEEEE10hipError_tPvRmT0_T1_T2_T3_T4_T5_mmT6_P12ihipStream_tbEUlT_E_NS1_11comp_targetILNS1_3genE3ELNS1_11target_archE908ELNS1_3gpuE7ELNS1_3repE0EEENS1_30default_config_static_selectorELNS0_4arch9wavefront6targetE0EEEvS10_.kd
    .uniform_work_group_size: 1
    .uses_dynamic_stack: false
    .vgpr_count:     0
    .vgpr_spill_count: 0
    .wavefront_size: 32
  - .args:
      - .offset:         0
        .size:           64
        .value_kind:     by_value
    .group_segment_fixed_size: 0
    .kernarg_segment_align: 8
    .kernarg_segment_size: 64
    .language:       OpenCL C
    .language_version:
      - 2
      - 0
    .max_flat_workgroup_size: 256
    .name:           _ZN7rocprim17ROCPRIM_400000_NS6detail17trampoline_kernelINS0_14default_configENS1_21merge_config_selectorINS0_5tupleIJiiEEENS0_10empty_typeEEEZNS1_10merge_implIS3_NS0_12zip_iteratorINS5_IJN6thrust23THRUST_200600_302600_NS6detail15normal_iteratorINSC_10device_ptrIKiEEEESI_EEEEESK_NSA_INS5_IJNSE_INSF_IiEEEESM_EEEEEPS7_SP_SP_NSC_11hip_rocprim7__merge17predicate_wrapperIiiNSC_4lessIiEEEEEE10hipError_tPvRmT0_T1_T2_T3_T4_T5_mmT6_P12ihipStream_tbEUlT_E_NS1_11comp_targetILNS1_3genE2ELNS1_11target_archE906ELNS1_3gpuE6ELNS1_3repE0EEENS1_30default_config_static_selectorELNS0_4arch9wavefront6targetE0EEEvS10_
    .private_segment_fixed_size: 0
    .sgpr_count:     0
    .sgpr_spill_count: 0
    .symbol:         _ZN7rocprim17ROCPRIM_400000_NS6detail17trampoline_kernelINS0_14default_configENS1_21merge_config_selectorINS0_5tupleIJiiEEENS0_10empty_typeEEEZNS1_10merge_implIS3_NS0_12zip_iteratorINS5_IJN6thrust23THRUST_200600_302600_NS6detail15normal_iteratorINSC_10device_ptrIKiEEEESI_EEEEESK_NSA_INS5_IJNSE_INSF_IiEEEESM_EEEEEPS7_SP_SP_NSC_11hip_rocprim7__merge17predicate_wrapperIiiNSC_4lessIiEEEEEE10hipError_tPvRmT0_T1_T2_T3_T4_T5_mmT6_P12ihipStream_tbEUlT_E_NS1_11comp_targetILNS1_3genE2ELNS1_11target_archE906ELNS1_3gpuE6ELNS1_3repE0EEENS1_30default_config_static_selectorELNS0_4arch9wavefront6targetE0EEEvS10_.kd
    .uniform_work_group_size: 1
    .uses_dynamic_stack: false
    .vgpr_count:     0
    .vgpr_spill_count: 0
    .wavefront_size: 32
  - .args:
      - .offset:         0
        .size:           64
        .value_kind:     by_value
    .group_segment_fixed_size: 0
    .kernarg_segment_align: 8
    .kernarg_segment_size: 64
    .language:       OpenCL C
    .language_version:
      - 2
      - 0
    .max_flat_workgroup_size: 512
    .name:           _ZN7rocprim17ROCPRIM_400000_NS6detail17trampoline_kernelINS0_14default_configENS1_21merge_config_selectorINS0_5tupleIJiiEEENS0_10empty_typeEEEZNS1_10merge_implIS3_NS0_12zip_iteratorINS5_IJN6thrust23THRUST_200600_302600_NS6detail15normal_iteratorINSC_10device_ptrIKiEEEESI_EEEEESK_NSA_INS5_IJNSE_INSF_IiEEEESM_EEEEEPS7_SP_SP_NSC_11hip_rocprim7__merge17predicate_wrapperIiiNSC_4lessIiEEEEEE10hipError_tPvRmT0_T1_T2_T3_T4_T5_mmT6_P12ihipStream_tbEUlT_E_NS1_11comp_targetILNS1_3genE10ELNS1_11target_archE1201ELNS1_3gpuE5ELNS1_3repE0EEENS1_30default_config_static_selectorELNS0_4arch9wavefront6targetE0EEEvS10_
    .private_segment_fixed_size: 0
    .sgpr_count:     0
    .sgpr_spill_count: 0
    .symbol:         _ZN7rocprim17ROCPRIM_400000_NS6detail17trampoline_kernelINS0_14default_configENS1_21merge_config_selectorINS0_5tupleIJiiEEENS0_10empty_typeEEEZNS1_10merge_implIS3_NS0_12zip_iteratorINS5_IJN6thrust23THRUST_200600_302600_NS6detail15normal_iteratorINSC_10device_ptrIKiEEEESI_EEEEESK_NSA_INS5_IJNSE_INSF_IiEEEESM_EEEEEPS7_SP_SP_NSC_11hip_rocprim7__merge17predicate_wrapperIiiNSC_4lessIiEEEEEE10hipError_tPvRmT0_T1_T2_T3_T4_T5_mmT6_P12ihipStream_tbEUlT_E_NS1_11comp_targetILNS1_3genE10ELNS1_11target_archE1201ELNS1_3gpuE5ELNS1_3repE0EEENS1_30default_config_static_selectorELNS0_4arch9wavefront6targetE0EEEvS10_.kd
    .uniform_work_group_size: 1
    .uses_dynamic_stack: false
    .vgpr_count:     0
    .vgpr_spill_count: 0
    .wavefront_size: 32
  - .args:
      - .offset:         0
        .size:           64
        .value_kind:     by_value
    .group_segment_fixed_size: 0
    .kernarg_segment_align: 8
    .kernarg_segment_size: 64
    .language:       OpenCL C
    .language_version:
      - 2
      - 0
    .max_flat_workgroup_size: 1024
    .name:           _ZN7rocprim17ROCPRIM_400000_NS6detail17trampoline_kernelINS0_14default_configENS1_21merge_config_selectorINS0_5tupleIJiiEEENS0_10empty_typeEEEZNS1_10merge_implIS3_NS0_12zip_iteratorINS5_IJN6thrust23THRUST_200600_302600_NS6detail15normal_iteratorINSC_10device_ptrIKiEEEESI_EEEEESK_NSA_INS5_IJNSE_INSF_IiEEEESM_EEEEEPS7_SP_SP_NSC_11hip_rocprim7__merge17predicate_wrapperIiiNSC_4lessIiEEEEEE10hipError_tPvRmT0_T1_T2_T3_T4_T5_mmT6_P12ihipStream_tbEUlT_E_NS1_11comp_targetILNS1_3genE10ELNS1_11target_archE1200ELNS1_3gpuE4ELNS1_3repE0EEENS1_30default_config_static_selectorELNS0_4arch9wavefront6targetE0EEEvS10_
    .private_segment_fixed_size: 0
    .sgpr_count:     0
    .sgpr_spill_count: 0
    .symbol:         _ZN7rocprim17ROCPRIM_400000_NS6detail17trampoline_kernelINS0_14default_configENS1_21merge_config_selectorINS0_5tupleIJiiEEENS0_10empty_typeEEEZNS1_10merge_implIS3_NS0_12zip_iteratorINS5_IJN6thrust23THRUST_200600_302600_NS6detail15normal_iteratorINSC_10device_ptrIKiEEEESI_EEEEESK_NSA_INS5_IJNSE_INSF_IiEEEESM_EEEEEPS7_SP_SP_NSC_11hip_rocprim7__merge17predicate_wrapperIiiNSC_4lessIiEEEEEE10hipError_tPvRmT0_T1_T2_T3_T4_T5_mmT6_P12ihipStream_tbEUlT_E_NS1_11comp_targetILNS1_3genE10ELNS1_11target_archE1200ELNS1_3gpuE4ELNS1_3repE0EEENS1_30default_config_static_selectorELNS0_4arch9wavefront6targetE0EEEvS10_.kd
    .uniform_work_group_size: 1
    .uses_dynamic_stack: false
    .vgpr_count:     0
    .vgpr_spill_count: 0
    .wavefront_size: 32
  - .args:
      - .offset:         0
        .size:           64
        .value_kind:     by_value
    .group_segment_fixed_size: 0
    .kernarg_segment_align: 8
    .kernarg_segment_size: 64
    .language:       OpenCL C
    .language_version:
      - 2
      - 0
    .max_flat_workgroup_size: 1024
    .name:           _ZN7rocprim17ROCPRIM_400000_NS6detail17trampoline_kernelINS0_14default_configENS1_21merge_config_selectorINS0_5tupleIJiiEEENS0_10empty_typeEEEZNS1_10merge_implIS3_NS0_12zip_iteratorINS5_IJN6thrust23THRUST_200600_302600_NS6detail15normal_iteratorINSC_10device_ptrIKiEEEESI_EEEEESK_NSA_INS5_IJNSE_INSF_IiEEEESM_EEEEEPS7_SP_SP_NSC_11hip_rocprim7__merge17predicate_wrapperIiiNSC_4lessIiEEEEEE10hipError_tPvRmT0_T1_T2_T3_T4_T5_mmT6_P12ihipStream_tbEUlT_E_NS1_11comp_targetILNS1_3genE9ELNS1_11target_archE1100ELNS1_3gpuE3ELNS1_3repE0EEENS1_30default_config_static_selectorELNS0_4arch9wavefront6targetE0EEEvS10_
    .private_segment_fixed_size: 0
    .sgpr_count:     0
    .sgpr_spill_count: 0
    .symbol:         _ZN7rocprim17ROCPRIM_400000_NS6detail17trampoline_kernelINS0_14default_configENS1_21merge_config_selectorINS0_5tupleIJiiEEENS0_10empty_typeEEEZNS1_10merge_implIS3_NS0_12zip_iteratorINS5_IJN6thrust23THRUST_200600_302600_NS6detail15normal_iteratorINSC_10device_ptrIKiEEEESI_EEEEESK_NSA_INS5_IJNSE_INSF_IiEEEESM_EEEEEPS7_SP_SP_NSC_11hip_rocprim7__merge17predicate_wrapperIiiNSC_4lessIiEEEEEE10hipError_tPvRmT0_T1_T2_T3_T4_T5_mmT6_P12ihipStream_tbEUlT_E_NS1_11comp_targetILNS1_3genE9ELNS1_11target_archE1100ELNS1_3gpuE3ELNS1_3repE0EEENS1_30default_config_static_selectorELNS0_4arch9wavefront6targetE0EEEvS10_.kd
    .uniform_work_group_size: 1
    .uses_dynamic_stack: false
    .vgpr_count:     0
    .vgpr_spill_count: 0
    .wavefront_size: 32
  - .args:
      - .offset:         0
        .size:           64
        .value_kind:     by_value
    .group_segment_fixed_size: 0
    .kernarg_segment_align: 8
    .kernarg_segment_size: 64
    .language:       OpenCL C
    .language_version:
      - 2
      - 0
    .max_flat_workgroup_size: 256
    .name:           _ZN7rocprim17ROCPRIM_400000_NS6detail17trampoline_kernelINS0_14default_configENS1_21merge_config_selectorINS0_5tupleIJiiEEENS0_10empty_typeEEEZNS1_10merge_implIS3_NS0_12zip_iteratorINS5_IJN6thrust23THRUST_200600_302600_NS6detail15normal_iteratorINSC_10device_ptrIKiEEEESI_EEEEESK_NSA_INS5_IJNSE_INSF_IiEEEESM_EEEEEPS7_SP_SP_NSC_11hip_rocprim7__merge17predicate_wrapperIiiNSC_4lessIiEEEEEE10hipError_tPvRmT0_T1_T2_T3_T4_T5_mmT6_P12ihipStream_tbEUlT_E_NS1_11comp_targetILNS1_3genE8ELNS1_11target_archE1030ELNS1_3gpuE2ELNS1_3repE0EEENS1_30default_config_static_selectorELNS0_4arch9wavefront6targetE0EEEvS10_
    .private_segment_fixed_size: 0
    .sgpr_count:     0
    .sgpr_spill_count: 0
    .symbol:         _ZN7rocprim17ROCPRIM_400000_NS6detail17trampoline_kernelINS0_14default_configENS1_21merge_config_selectorINS0_5tupleIJiiEEENS0_10empty_typeEEEZNS1_10merge_implIS3_NS0_12zip_iteratorINS5_IJN6thrust23THRUST_200600_302600_NS6detail15normal_iteratorINSC_10device_ptrIKiEEEESI_EEEEESK_NSA_INS5_IJNSE_INSF_IiEEEESM_EEEEEPS7_SP_SP_NSC_11hip_rocprim7__merge17predicate_wrapperIiiNSC_4lessIiEEEEEE10hipError_tPvRmT0_T1_T2_T3_T4_T5_mmT6_P12ihipStream_tbEUlT_E_NS1_11comp_targetILNS1_3genE8ELNS1_11target_archE1030ELNS1_3gpuE2ELNS1_3repE0EEENS1_30default_config_static_selectorELNS0_4arch9wavefront6targetE0EEEvS10_.kd
    .uniform_work_group_size: 1
    .uses_dynamic_stack: false
    .vgpr_count:     0
    .vgpr_spill_count: 0
    .wavefront_size: 32
  - .args:
      - .offset:         0
        .size:           112
        .value_kind:     by_value
    .group_segment_fixed_size: 14352
    .kernarg_segment_align: 8
    .kernarg_segment_size: 112
    .language:       OpenCL C
    .language_version:
      - 2
      - 0
    .max_flat_workgroup_size: 256
    .name:           _ZN7rocprim17ROCPRIM_400000_NS6detail17trampoline_kernelINS0_14default_configENS1_21merge_config_selectorINS0_5tupleIJiiEEENS0_10empty_typeEEEZNS1_10merge_implIS3_NS0_12zip_iteratorINS5_IJN6thrust23THRUST_200600_302600_NS6detail15normal_iteratorINSC_10device_ptrIKiEEEESI_EEEEESK_NSA_INS5_IJNSE_INSF_IiEEEESM_EEEEEPS7_SP_SP_NSC_11hip_rocprim7__merge17predicate_wrapperIiiNSC_4lessIiEEEEEE10hipError_tPvRmT0_T1_T2_T3_T4_T5_mmT6_P12ihipStream_tbEUlT_E0_NS1_11comp_targetILNS1_3genE0ELNS1_11target_archE4294967295ELNS1_3gpuE0ELNS1_3repE0EEENS1_30default_config_static_selectorELNS0_4arch9wavefront6targetE0EEEvS10_
    .private_segment_fixed_size: 0
    .sgpr_count:     28
    .sgpr_spill_count: 0
    .symbol:         _ZN7rocprim17ROCPRIM_400000_NS6detail17trampoline_kernelINS0_14default_configENS1_21merge_config_selectorINS0_5tupleIJiiEEENS0_10empty_typeEEEZNS1_10merge_implIS3_NS0_12zip_iteratorINS5_IJN6thrust23THRUST_200600_302600_NS6detail15normal_iteratorINSC_10device_ptrIKiEEEESI_EEEEESK_NSA_INS5_IJNSE_INSF_IiEEEESM_EEEEEPS7_SP_SP_NSC_11hip_rocprim7__merge17predicate_wrapperIiiNSC_4lessIiEEEEEE10hipError_tPvRmT0_T1_T2_T3_T4_T5_mmT6_P12ihipStream_tbEUlT_E0_NS1_11comp_targetILNS1_3genE0ELNS1_11target_archE4294967295ELNS1_3gpuE0ELNS1_3repE0EEENS1_30default_config_static_selectorELNS0_4arch9wavefront6targetE0EEEvS10_.kd
    .uniform_work_group_size: 1
    .uses_dynamic_stack: false
    .vgpr_count:     35
    .vgpr_spill_count: 0
    .wavefront_size: 32
  - .args:
      - .offset:         0
        .size:           112
        .value_kind:     by_value
    .group_segment_fixed_size: 0
    .kernarg_segment_align: 8
    .kernarg_segment_size: 112
    .language:       OpenCL C
    .language_version:
      - 2
      - 0
    .max_flat_workgroup_size: 256
    .name:           _ZN7rocprim17ROCPRIM_400000_NS6detail17trampoline_kernelINS0_14default_configENS1_21merge_config_selectorINS0_5tupleIJiiEEENS0_10empty_typeEEEZNS1_10merge_implIS3_NS0_12zip_iteratorINS5_IJN6thrust23THRUST_200600_302600_NS6detail15normal_iteratorINSC_10device_ptrIKiEEEESI_EEEEESK_NSA_INS5_IJNSE_INSF_IiEEEESM_EEEEEPS7_SP_SP_NSC_11hip_rocprim7__merge17predicate_wrapperIiiNSC_4lessIiEEEEEE10hipError_tPvRmT0_T1_T2_T3_T4_T5_mmT6_P12ihipStream_tbEUlT_E0_NS1_11comp_targetILNS1_3genE5ELNS1_11target_archE942ELNS1_3gpuE9ELNS1_3repE0EEENS1_30default_config_static_selectorELNS0_4arch9wavefront6targetE0EEEvS10_
    .private_segment_fixed_size: 0
    .sgpr_count:     0
    .sgpr_spill_count: 0
    .symbol:         _ZN7rocprim17ROCPRIM_400000_NS6detail17trampoline_kernelINS0_14default_configENS1_21merge_config_selectorINS0_5tupleIJiiEEENS0_10empty_typeEEEZNS1_10merge_implIS3_NS0_12zip_iteratorINS5_IJN6thrust23THRUST_200600_302600_NS6detail15normal_iteratorINSC_10device_ptrIKiEEEESI_EEEEESK_NSA_INS5_IJNSE_INSF_IiEEEESM_EEEEEPS7_SP_SP_NSC_11hip_rocprim7__merge17predicate_wrapperIiiNSC_4lessIiEEEEEE10hipError_tPvRmT0_T1_T2_T3_T4_T5_mmT6_P12ihipStream_tbEUlT_E0_NS1_11comp_targetILNS1_3genE5ELNS1_11target_archE942ELNS1_3gpuE9ELNS1_3repE0EEENS1_30default_config_static_selectorELNS0_4arch9wavefront6targetE0EEEvS10_.kd
    .uniform_work_group_size: 1
    .uses_dynamic_stack: false
    .vgpr_count:     0
    .vgpr_spill_count: 0
    .wavefront_size: 32
  - .args:
      - .offset:         0
        .size:           112
        .value_kind:     by_value
    .group_segment_fixed_size: 0
    .kernarg_segment_align: 8
    .kernarg_segment_size: 112
    .language:       OpenCL C
    .language_version:
      - 2
      - 0
    .max_flat_workgroup_size: 256
    .name:           _ZN7rocprim17ROCPRIM_400000_NS6detail17trampoline_kernelINS0_14default_configENS1_21merge_config_selectorINS0_5tupleIJiiEEENS0_10empty_typeEEEZNS1_10merge_implIS3_NS0_12zip_iteratorINS5_IJN6thrust23THRUST_200600_302600_NS6detail15normal_iteratorINSC_10device_ptrIKiEEEESI_EEEEESK_NSA_INS5_IJNSE_INSF_IiEEEESM_EEEEEPS7_SP_SP_NSC_11hip_rocprim7__merge17predicate_wrapperIiiNSC_4lessIiEEEEEE10hipError_tPvRmT0_T1_T2_T3_T4_T5_mmT6_P12ihipStream_tbEUlT_E0_NS1_11comp_targetILNS1_3genE4ELNS1_11target_archE910ELNS1_3gpuE8ELNS1_3repE0EEENS1_30default_config_static_selectorELNS0_4arch9wavefront6targetE0EEEvS10_
    .private_segment_fixed_size: 0
    .sgpr_count:     0
    .sgpr_spill_count: 0
    .symbol:         _ZN7rocprim17ROCPRIM_400000_NS6detail17trampoline_kernelINS0_14default_configENS1_21merge_config_selectorINS0_5tupleIJiiEEENS0_10empty_typeEEEZNS1_10merge_implIS3_NS0_12zip_iteratorINS5_IJN6thrust23THRUST_200600_302600_NS6detail15normal_iteratorINSC_10device_ptrIKiEEEESI_EEEEESK_NSA_INS5_IJNSE_INSF_IiEEEESM_EEEEEPS7_SP_SP_NSC_11hip_rocprim7__merge17predicate_wrapperIiiNSC_4lessIiEEEEEE10hipError_tPvRmT0_T1_T2_T3_T4_T5_mmT6_P12ihipStream_tbEUlT_E0_NS1_11comp_targetILNS1_3genE4ELNS1_11target_archE910ELNS1_3gpuE8ELNS1_3repE0EEENS1_30default_config_static_selectorELNS0_4arch9wavefront6targetE0EEEvS10_.kd
    .uniform_work_group_size: 1
    .uses_dynamic_stack: false
    .vgpr_count:     0
    .vgpr_spill_count: 0
    .wavefront_size: 32
  - .args:
      - .offset:         0
        .size:           112
        .value_kind:     by_value
    .group_segment_fixed_size: 0
    .kernarg_segment_align: 8
    .kernarg_segment_size: 112
    .language:       OpenCL C
    .language_version:
      - 2
      - 0
    .max_flat_workgroup_size: 256
    .name:           _ZN7rocprim17ROCPRIM_400000_NS6detail17trampoline_kernelINS0_14default_configENS1_21merge_config_selectorINS0_5tupleIJiiEEENS0_10empty_typeEEEZNS1_10merge_implIS3_NS0_12zip_iteratorINS5_IJN6thrust23THRUST_200600_302600_NS6detail15normal_iteratorINSC_10device_ptrIKiEEEESI_EEEEESK_NSA_INS5_IJNSE_INSF_IiEEEESM_EEEEEPS7_SP_SP_NSC_11hip_rocprim7__merge17predicate_wrapperIiiNSC_4lessIiEEEEEE10hipError_tPvRmT0_T1_T2_T3_T4_T5_mmT6_P12ihipStream_tbEUlT_E0_NS1_11comp_targetILNS1_3genE3ELNS1_11target_archE908ELNS1_3gpuE7ELNS1_3repE0EEENS1_30default_config_static_selectorELNS0_4arch9wavefront6targetE0EEEvS10_
    .private_segment_fixed_size: 0
    .sgpr_count:     0
    .sgpr_spill_count: 0
    .symbol:         _ZN7rocprim17ROCPRIM_400000_NS6detail17trampoline_kernelINS0_14default_configENS1_21merge_config_selectorINS0_5tupleIJiiEEENS0_10empty_typeEEEZNS1_10merge_implIS3_NS0_12zip_iteratorINS5_IJN6thrust23THRUST_200600_302600_NS6detail15normal_iteratorINSC_10device_ptrIKiEEEESI_EEEEESK_NSA_INS5_IJNSE_INSF_IiEEEESM_EEEEEPS7_SP_SP_NSC_11hip_rocprim7__merge17predicate_wrapperIiiNSC_4lessIiEEEEEE10hipError_tPvRmT0_T1_T2_T3_T4_T5_mmT6_P12ihipStream_tbEUlT_E0_NS1_11comp_targetILNS1_3genE3ELNS1_11target_archE908ELNS1_3gpuE7ELNS1_3repE0EEENS1_30default_config_static_selectorELNS0_4arch9wavefront6targetE0EEEvS10_.kd
    .uniform_work_group_size: 1
    .uses_dynamic_stack: false
    .vgpr_count:     0
    .vgpr_spill_count: 0
    .wavefront_size: 32
  - .args:
      - .offset:         0
        .size:           112
        .value_kind:     by_value
    .group_segment_fixed_size: 0
    .kernarg_segment_align: 8
    .kernarg_segment_size: 112
    .language:       OpenCL C
    .language_version:
      - 2
      - 0
    .max_flat_workgroup_size: 256
    .name:           _ZN7rocprim17ROCPRIM_400000_NS6detail17trampoline_kernelINS0_14default_configENS1_21merge_config_selectorINS0_5tupleIJiiEEENS0_10empty_typeEEEZNS1_10merge_implIS3_NS0_12zip_iteratorINS5_IJN6thrust23THRUST_200600_302600_NS6detail15normal_iteratorINSC_10device_ptrIKiEEEESI_EEEEESK_NSA_INS5_IJNSE_INSF_IiEEEESM_EEEEEPS7_SP_SP_NSC_11hip_rocprim7__merge17predicate_wrapperIiiNSC_4lessIiEEEEEE10hipError_tPvRmT0_T1_T2_T3_T4_T5_mmT6_P12ihipStream_tbEUlT_E0_NS1_11comp_targetILNS1_3genE2ELNS1_11target_archE906ELNS1_3gpuE6ELNS1_3repE0EEENS1_30default_config_static_selectorELNS0_4arch9wavefront6targetE0EEEvS10_
    .private_segment_fixed_size: 0
    .sgpr_count:     0
    .sgpr_spill_count: 0
    .symbol:         _ZN7rocprim17ROCPRIM_400000_NS6detail17trampoline_kernelINS0_14default_configENS1_21merge_config_selectorINS0_5tupleIJiiEEENS0_10empty_typeEEEZNS1_10merge_implIS3_NS0_12zip_iteratorINS5_IJN6thrust23THRUST_200600_302600_NS6detail15normal_iteratorINSC_10device_ptrIKiEEEESI_EEEEESK_NSA_INS5_IJNSE_INSF_IiEEEESM_EEEEEPS7_SP_SP_NSC_11hip_rocprim7__merge17predicate_wrapperIiiNSC_4lessIiEEEEEE10hipError_tPvRmT0_T1_T2_T3_T4_T5_mmT6_P12ihipStream_tbEUlT_E0_NS1_11comp_targetILNS1_3genE2ELNS1_11target_archE906ELNS1_3gpuE6ELNS1_3repE0EEENS1_30default_config_static_selectorELNS0_4arch9wavefront6targetE0EEEvS10_.kd
    .uniform_work_group_size: 1
    .uses_dynamic_stack: false
    .vgpr_count:     0
    .vgpr_spill_count: 0
    .wavefront_size: 32
  - .args:
      - .offset:         0
        .size:           112
        .value_kind:     by_value
    .group_segment_fixed_size: 0
    .kernarg_segment_align: 8
    .kernarg_segment_size: 112
    .language:       OpenCL C
    .language_version:
      - 2
      - 0
    .max_flat_workgroup_size: 512
    .name:           _ZN7rocprim17ROCPRIM_400000_NS6detail17trampoline_kernelINS0_14default_configENS1_21merge_config_selectorINS0_5tupleIJiiEEENS0_10empty_typeEEEZNS1_10merge_implIS3_NS0_12zip_iteratorINS5_IJN6thrust23THRUST_200600_302600_NS6detail15normal_iteratorINSC_10device_ptrIKiEEEESI_EEEEESK_NSA_INS5_IJNSE_INSF_IiEEEESM_EEEEEPS7_SP_SP_NSC_11hip_rocprim7__merge17predicate_wrapperIiiNSC_4lessIiEEEEEE10hipError_tPvRmT0_T1_T2_T3_T4_T5_mmT6_P12ihipStream_tbEUlT_E0_NS1_11comp_targetILNS1_3genE10ELNS1_11target_archE1201ELNS1_3gpuE5ELNS1_3repE0EEENS1_30default_config_static_selectorELNS0_4arch9wavefront6targetE0EEEvS10_
    .private_segment_fixed_size: 0
    .sgpr_count:     0
    .sgpr_spill_count: 0
    .symbol:         _ZN7rocprim17ROCPRIM_400000_NS6detail17trampoline_kernelINS0_14default_configENS1_21merge_config_selectorINS0_5tupleIJiiEEENS0_10empty_typeEEEZNS1_10merge_implIS3_NS0_12zip_iteratorINS5_IJN6thrust23THRUST_200600_302600_NS6detail15normal_iteratorINSC_10device_ptrIKiEEEESI_EEEEESK_NSA_INS5_IJNSE_INSF_IiEEEESM_EEEEEPS7_SP_SP_NSC_11hip_rocprim7__merge17predicate_wrapperIiiNSC_4lessIiEEEEEE10hipError_tPvRmT0_T1_T2_T3_T4_T5_mmT6_P12ihipStream_tbEUlT_E0_NS1_11comp_targetILNS1_3genE10ELNS1_11target_archE1201ELNS1_3gpuE5ELNS1_3repE0EEENS1_30default_config_static_selectorELNS0_4arch9wavefront6targetE0EEEvS10_.kd
    .uniform_work_group_size: 1
    .uses_dynamic_stack: false
    .vgpr_count:     0
    .vgpr_spill_count: 0
    .wavefront_size: 32
  - .args:
      - .offset:         0
        .size:           112
        .value_kind:     by_value
    .group_segment_fixed_size: 0
    .kernarg_segment_align: 8
    .kernarg_segment_size: 112
    .language:       OpenCL C
    .language_version:
      - 2
      - 0
    .max_flat_workgroup_size: 1024
    .name:           _ZN7rocprim17ROCPRIM_400000_NS6detail17trampoline_kernelINS0_14default_configENS1_21merge_config_selectorINS0_5tupleIJiiEEENS0_10empty_typeEEEZNS1_10merge_implIS3_NS0_12zip_iteratorINS5_IJN6thrust23THRUST_200600_302600_NS6detail15normal_iteratorINSC_10device_ptrIKiEEEESI_EEEEESK_NSA_INS5_IJNSE_INSF_IiEEEESM_EEEEEPS7_SP_SP_NSC_11hip_rocprim7__merge17predicate_wrapperIiiNSC_4lessIiEEEEEE10hipError_tPvRmT0_T1_T2_T3_T4_T5_mmT6_P12ihipStream_tbEUlT_E0_NS1_11comp_targetILNS1_3genE10ELNS1_11target_archE1200ELNS1_3gpuE4ELNS1_3repE0EEENS1_30default_config_static_selectorELNS0_4arch9wavefront6targetE0EEEvS10_
    .private_segment_fixed_size: 0
    .sgpr_count:     0
    .sgpr_spill_count: 0
    .symbol:         _ZN7rocprim17ROCPRIM_400000_NS6detail17trampoline_kernelINS0_14default_configENS1_21merge_config_selectorINS0_5tupleIJiiEEENS0_10empty_typeEEEZNS1_10merge_implIS3_NS0_12zip_iteratorINS5_IJN6thrust23THRUST_200600_302600_NS6detail15normal_iteratorINSC_10device_ptrIKiEEEESI_EEEEESK_NSA_INS5_IJNSE_INSF_IiEEEESM_EEEEEPS7_SP_SP_NSC_11hip_rocprim7__merge17predicate_wrapperIiiNSC_4lessIiEEEEEE10hipError_tPvRmT0_T1_T2_T3_T4_T5_mmT6_P12ihipStream_tbEUlT_E0_NS1_11comp_targetILNS1_3genE10ELNS1_11target_archE1200ELNS1_3gpuE4ELNS1_3repE0EEENS1_30default_config_static_selectorELNS0_4arch9wavefront6targetE0EEEvS10_.kd
    .uniform_work_group_size: 1
    .uses_dynamic_stack: false
    .vgpr_count:     0
    .vgpr_spill_count: 0
    .wavefront_size: 32
  - .args:
      - .offset:         0
        .size:           112
        .value_kind:     by_value
    .group_segment_fixed_size: 0
    .kernarg_segment_align: 8
    .kernarg_segment_size: 112
    .language:       OpenCL C
    .language_version:
      - 2
      - 0
    .max_flat_workgroup_size: 1024
    .name:           _ZN7rocprim17ROCPRIM_400000_NS6detail17trampoline_kernelINS0_14default_configENS1_21merge_config_selectorINS0_5tupleIJiiEEENS0_10empty_typeEEEZNS1_10merge_implIS3_NS0_12zip_iteratorINS5_IJN6thrust23THRUST_200600_302600_NS6detail15normal_iteratorINSC_10device_ptrIKiEEEESI_EEEEESK_NSA_INS5_IJNSE_INSF_IiEEEESM_EEEEEPS7_SP_SP_NSC_11hip_rocprim7__merge17predicate_wrapperIiiNSC_4lessIiEEEEEE10hipError_tPvRmT0_T1_T2_T3_T4_T5_mmT6_P12ihipStream_tbEUlT_E0_NS1_11comp_targetILNS1_3genE9ELNS1_11target_archE1100ELNS1_3gpuE3ELNS1_3repE0EEENS1_30default_config_static_selectorELNS0_4arch9wavefront6targetE0EEEvS10_
    .private_segment_fixed_size: 0
    .sgpr_count:     0
    .sgpr_spill_count: 0
    .symbol:         _ZN7rocprim17ROCPRIM_400000_NS6detail17trampoline_kernelINS0_14default_configENS1_21merge_config_selectorINS0_5tupleIJiiEEENS0_10empty_typeEEEZNS1_10merge_implIS3_NS0_12zip_iteratorINS5_IJN6thrust23THRUST_200600_302600_NS6detail15normal_iteratorINSC_10device_ptrIKiEEEESI_EEEEESK_NSA_INS5_IJNSE_INSF_IiEEEESM_EEEEEPS7_SP_SP_NSC_11hip_rocprim7__merge17predicate_wrapperIiiNSC_4lessIiEEEEEE10hipError_tPvRmT0_T1_T2_T3_T4_T5_mmT6_P12ihipStream_tbEUlT_E0_NS1_11comp_targetILNS1_3genE9ELNS1_11target_archE1100ELNS1_3gpuE3ELNS1_3repE0EEENS1_30default_config_static_selectorELNS0_4arch9wavefront6targetE0EEEvS10_.kd
    .uniform_work_group_size: 1
    .uses_dynamic_stack: false
    .vgpr_count:     0
    .vgpr_spill_count: 0
    .wavefront_size: 32
  - .args:
      - .offset:         0
        .size:           112
        .value_kind:     by_value
    .group_segment_fixed_size: 0
    .kernarg_segment_align: 8
    .kernarg_segment_size: 112
    .language:       OpenCL C
    .language_version:
      - 2
      - 0
    .max_flat_workgroup_size: 256
    .name:           _ZN7rocprim17ROCPRIM_400000_NS6detail17trampoline_kernelINS0_14default_configENS1_21merge_config_selectorINS0_5tupleIJiiEEENS0_10empty_typeEEEZNS1_10merge_implIS3_NS0_12zip_iteratorINS5_IJN6thrust23THRUST_200600_302600_NS6detail15normal_iteratorINSC_10device_ptrIKiEEEESI_EEEEESK_NSA_INS5_IJNSE_INSF_IiEEEESM_EEEEEPS7_SP_SP_NSC_11hip_rocprim7__merge17predicate_wrapperIiiNSC_4lessIiEEEEEE10hipError_tPvRmT0_T1_T2_T3_T4_T5_mmT6_P12ihipStream_tbEUlT_E0_NS1_11comp_targetILNS1_3genE8ELNS1_11target_archE1030ELNS1_3gpuE2ELNS1_3repE0EEENS1_30default_config_static_selectorELNS0_4arch9wavefront6targetE0EEEvS10_
    .private_segment_fixed_size: 0
    .sgpr_count:     0
    .sgpr_spill_count: 0
    .symbol:         _ZN7rocprim17ROCPRIM_400000_NS6detail17trampoline_kernelINS0_14default_configENS1_21merge_config_selectorINS0_5tupleIJiiEEENS0_10empty_typeEEEZNS1_10merge_implIS3_NS0_12zip_iteratorINS5_IJN6thrust23THRUST_200600_302600_NS6detail15normal_iteratorINSC_10device_ptrIKiEEEESI_EEEEESK_NSA_INS5_IJNSE_INSF_IiEEEESM_EEEEEPS7_SP_SP_NSC_11hip_rocprim7__merge17predicate_wrapperIiiNSC_4lessIiEEEEEE10hipError_tPvRmT0_T1_T2_T3_T4_T5_mmT6_P12ihipStream_tbEUlT_E0_NS1_11comp_targetILNS1_3genE8ELNS1_11target_archE1030ELNS1_3gpuE2ELNS1_3repE0EEENS1_30default_config_static_selectorELNS0_4arch9wavefront6targetE0EEEvS10_.kd
    .uniform_work_group_size: 1
    .uses_dynamic_stack: false
    .vgpr_count:     0
    .vgpr_spill_count: 0
    .wavefront_size: 32
  - .args:
      - .offset:         0
        .size:           104
        .value_kind:     by_value
    .group_segment_fixed_size: 128
    .kernarg_segment_align: 8
    .kernarg_segment_size: 104
    .language:       OpenCL C
    .language_version:
      - 2
      - 0
    .max_flat_workgroup_size: 128
    .name:           _ZN7rocprim17ROCPRIM_400000_NS6detail17trampoline_kernelINS0_14default_configENS1_22reduce_config_selectorIN6thrust23THRUST_200600_302600_NS5tupleIblNS6_9null_typeES8_S8_S8_S8_S8_S8_S8_EEEEZNS1_11reduce_implILb1ES3_NS6_12zip_iteratorINS7_INS6_11hip_rocprim26transform_input_iterator_tIbNSD_35transform_pair_of_input_iterators_tIbNS6_6detail15normal_iteratorINS6_10device_ptrIKiEEEESL_NS6_8equal_toIiEEEENSG_9not_fun_tINSD_8identityEEEEENSD_19counting_iterator_tIlEES8_S8_S8_S8_S8_S8_S8_S8_EEEEPS9_S9_NSD_9__find_if7functorIS9_EEEE10hipError_tPvRmT1_T2_T3_mT4_P12ihipStream_tbEUlT_E0_NS1_11comp_targetILNS1_3genE0ELNS1_11target_archE4294967295ELNS1_3gpuE0ELNS1_3repE0EEENS1_30default_config_static_selectorELNS0_4arch9wavefront6targetE0EEEvS14_
    .private_segment_fixed_size: 0
    .sgpr_count:     30
    .sgpr_spill_count: 0
    .symbol:         _ZN7rocprim17ROCPRIM_400000_NS6detail17trampoline_kernelINS0_14default_configENS1_22reduce_config_selectorIN6thrust23THRUST_200600_302600_NS5tupleIblNS6_9null_typeES8_S8_S8_S8_S8_S8_S8_EEEEZNS1_11reduce_implILb1ES3_NS6_12zip_iteratorINS7_INS6_11hip_rocprim26transform_input_iterator_tIbNSD_35transform_pair_of_input_iterators_tIbNS6_6detail15normal_iteratorINS6_10device_ptrIKiEEEESL_NS6_8equal_toIiEEEENSG_9not_fun_tINSD_8identityEEEEENSD_19counting_iterator_tIlEES8_S8_S8_S8_S8_S8_S8_S8_EEEEPS9_S9_NSD_9__find_if7functorIS9_EEEE10hipError_tPvRmT1_T2_T3_mT4_P12ihipStream_tbEUlT_E0_NS1_11comp_targetILNS1_3genE0ELNS1_11target_archE4294967295ELNS1_3gpuE0ELNS1_3repE0EEENS1_30default_config_static_selectorELNS0_4arch9wavefront6targetE0EEEvS14_.kd
    .uniform_work_group_size: 1
    .uses_dynamic_stack: false
    .vgpr_count:     14
    .vgpr_spill_count: 0
    .wavefront_size: 32
  - .args:
      - .offset:         0
        .size:           104
        .value_kind:     by_value
    .group_segment_fixed_size: 0
    .kernarg_segment_align: 8
    .kernarg_segment_size: 104
    .language:       OpenCL C
    .language_version:
      - 2
      - 0
    .max_flat_workgroup_size: 256
    .name:           _ZN7rocprim17ROCPRIM_400000_NS6detail17trampoline_kernelINS0_14default_configENS1_22reduce_config_selectorIN6thrust23THRUST_200600_302600_NS5tupleIblNS6_9null_typeES8_S8_S8_S8_S8_S8_S8_EEEEZNS1_11reduce_implILb1ES3_NS6_12zip_iteratorINS7_INS6_11hip_rocprim26transform_input_iterator_tIbNSD_35transform_pair_of_input_iterators_tIbNS6_6detail15normal_iteratorINS6_10device_ptrIKiEEEESL_NS6_8equal_toIiEEEENSG_9not_fun_tINSD_8identityEEEEENSD_19counting_iterator_tIlEES8_S8_S8_S8_S8_S8_S8_S8_EEEEPS9_S9_NSD_9__find_if7functorIS9_EEEE10hipError_tPvRmT1_T2_T3_mT4_P12ihipStream_tbEUlT_E0_NS1_11comp_targetILNS1_3genE5ELNS1_11target_archE942ELNS1_3gpuE9ELNS1_3repE0EEENS1_30default_config_static_selectorELNS0_4arch9wavefront6targetE0EEEvS14_
    .private_segment_fixed_size: 0
    .sgpr_count:     0
    .sgpr_spill_count: 0
    .symbol:         _ZN7rocprim17ROCPRIM_400000_NS6detail17trampoline_kernelINS0_14default_configENS1_22reduce_config_selectorIN6thrust23THRUST_200600_302600_NS5tupleIblNS6_9null_typeES8_S8_S8_S8_S8_S8_S8_EEEEZNS1_11reduce_implILb1ES3_NS6_12zip_iteratorINS7_INS6_11hip_rocprim26transform_input_iterator_tIbNSD_35transform_pair_of_input_iterators_tIbNS6_6detail15normal_iteratorINS6_10device_ptrIKiEEEESL_NS6_8equal_toIiEEEENSG_9not_fun_tINSD_8identityEEEEENSD_19counting_iterator_tIlEES8_S8_S8_S8_S8_S8_S8_S8_EEEEPS9_S9_NSD_9__find_if7functorIS9_EEEE10hipError_tPvRmT1_T2_T3_mT4_P12ihipStream_tbEUlT_E0_NS1_11comp_targetILNS1_3genE5ELNS1_11target_archE942ELNS1_3gpuE9ELNS1_3repE0EEENS1_30default_config_static_selectorELNS0_4arch9wavefront6targetE0EEEvS14_.kd
    .uniform_work_group_size: 1
    .uses_dynamic_stack: false
    .vgpr_count:     0
    .vgpr_spill_count: 0
    .wavefront_size: 32
  - .args:
      - .offset:         0
        .size:           104
        .value_kind:     by_value
    .group_segment_fixed_size: 0
    .kernarg_segment_align: 8
    .kernarg_segment_size: 104
    .language:       OpenCL C
    .language_version:
      - 2
      - 0
    .max_flat_workgroup_size: 256
    .name:           _ZN7rocprim17ROCPRIM_400000_NS6detail17trampoline_kernelINS0_14default_configENS1_22reduce_config_selectorIN6thrust23THRUST_200600_302600_NS5tupleIblNS6_9null_typeES8_S8_S8_S8_S8_S8_S8_EEEEZNS1_11reduce_implILb1ES3_NS6_12zip_iteratorINS7_INS6_11hip_rocprim26transform_input_iterator_tIbNSD_35transform_pair_of_input_iterators_tIbNS6_6detail15normal_iteratorINS6_10device_ptrIKiEEEESL_NS6_8equal_toIiEEEENSG_9not_fun_tINSD_8identityEEEEENSD_19counting_iterator_tIlEES8_S8_S8_S8_S8_S8_S8_S8_EEEEPS9_S9_NSD_9__find_if7functorIS9_EEEE10hipError_tPvRmT1_T2_T3_mT4_P12ihipStream_tbEUlT_E0_NS1_11comp_targetILNS1_3genE4ELNS1_11target_archE910ELNS1_3gpuE8ELNS1_3repE0EEENS1_30default_config_static_selectorELNS0_4arch9wavefront6targetE0EEEvS14_
    .private_segment_fixed_size: 0
    .sgpr_count:     0
    .sgpr_spill_count: 0
    .symbol:         _ZN7rocprim17ROCPRIM_400000_NS6detail17trampoline_kernelINS0_14default_configENS1_22reduce_config_selectorIN6thrust23THRUST_200600_302600_NS5tupleIblNS6_9null_typeES8_S8_S8_S8_S8_S8_S8_EEEEZNS1_11reduce_implILb1ES3_NS6_12zip_iteratorINS7_INS6_11hip_rocprim26transform_input_iterator_tIbNSD_35transform_pair_of_input_iterators_tIbNS6_6detail15normal_iteratorINS6_10device_ptrIKiEEEESL_NS6_8equal_toIiEEEENSG_9not_fun_tINSD_8identityEEEEENSD_19counting_iterator_tIlEES8_S8_S8_S8_S8_S8_S8_S8_EEEEPS9_S9_NSD_9__find_if7functorIS9_EEEE10hipError_tPvRmT1_T2_T3_mT4_P12ihipStream_tbEUlT_E0_NS1_11comp_targetILNS1_3genE4ELNS1_11target_archE910ELNS1_3gpuE8ELNS1_3repE0EEENS1_30default_config_static_selectorELNS0_4arch9wavefront6targetE0EEEvS14_.kd
    .uniform_work_group_size: 1
    .uses_dynamic_stack: false
    .vgpr_count:     0
    .vgpr_spill_count: 0
    .wavefront_size: 32
  - .args:
      - .offset:         0
        .size:           104
        .value_kind:     by_value
    .group_segment_fixed_size: 0
    .kernarg_segment_align: 8
    .kernarg_segment_size: 104
    .language:       OpenCL C
    .language_version:
      - 2
      - 0
    .max_flat_workgroup_size: 128
    .name:           _ZN7rocprim17ROCPRIM_400000_NS6detail17trampoline_kernelINS0_14default_configENS1_22reduce_config_selectorIN6thrust23THRUST_200600_302600_NS5tupleIblNS6_9null_typeES8_S8_S8_S8_S8_S8_S8_EEEEZNS1_11reduce_implILb1ES3_NS6_12zip_iteratorINS7_INS6_11hip_rocprim26transform_input_iterator_tIbNSD_35transform_pair_of_input_iterators_tIbNS6_6detail15normal_iteratorINS6_10device_ptrIKiEEEESL_NS6_8equal_toIiEEEENSG_9not_fun_tINSD_8identityEEEEENSD_19counting_iterator_tIlEES8_S8_S8_S8_S8_S8_S8_S8_EEEEPS9_S9_NSD_9__find_if7functorIS9_EEEE10hipError_tPvRmT1_T2_T3_mT4_P12ihipStream_tbEUlT_E0_NS1_11comp_targetILNS1_3genE3ELNS1_11target_archE908ELNS1_3gpuE7ELNS1_3repE0EEENS1_30default_config_static_selectorELNS0_4arch9wavefront6targetE0EEEvS14_
    .private_segment_fixed_size: 0
    .sgpr_count:     0
    .sgpr_spill_count: 0
    .symbol:         _ZN7rocprim17ROCPRIM_400000_NS6detail17trampoline_kernelINS0_14default_configENS1_22reduce_config_selectorIN6thrust23THRUST_200600_302600_NS5tupleIblNS6_9null_typeES8_S8_S8_S8_S8_S8_S8_EEEEZNS1_11reduce_implILb1ES3_NS6_12zip_iteratorINS7_INS6_11hip_rocprim26transform_input_iterator_tIbNSD_35transform_pair_of_input_iterators_tIbNS6_6detail15normal_iteratorINS6_10device_ptrIKiEEEESL_NS6_8equal_toIiEEEENSG_9not_fun_tINSD_8identityEEEEENSD_19counting_iterator_tIlEES8_S8_S8_S8_S8_S8_S8_S8_EEEEPS9_S9_NSD_9__find_if7functorIS9_EEEE10hipError_tPvRmT1_T2_T3_mT4_P12ihipStream_tbEUlT_E0_NS1_11comp_targetILNS1_3genE3ELNS1_11target_archE908ELNS1_3gpuE7ELNS1_3repE0EEENS1_30default_config_static_selectorELNS0_4arch9wavefront6targetE0EEEvS14_.kd
    .uniform_work_group_size: 1
    .uses_dynamic_stack: false
    .vgpr_count:     0
    .vgpr_spill_count: 0
    .wavefront_size: 32
  - .args:
      - .offset:         0
        .size:           104
        .value_kind:     by_value
    .group_segment_fixed_size: 0
    .kernarg_segment_align: 8
    .kernarg_segment_size: 104
    .language:       OpenCL C
    .language_version:
      - 2
      - 0
    .max_flat_workgroup_size: 128
    .name:           _ZN7rocprim17ROCPRIM_400000_NS6detail17trampoline_kernelINS0_14default_configENS1_22reduce_config_selectorIN6thrust23THRUST_200600_302600_NS5tupleIblNS6_9null_typeES8_S8_S8_S8_S8_S8_S8_EEEEZNS1_11reduce_implILb1ES3_NS6_12zip_iteratorINS7_INS6_11hip_rocprim26transform_input_iterator_tIbNSD_35transform_pair_of_input_iterators_tIbNS6_6detail15normal_iteratorINS6_10device_ptrIKiEEEESL_NS6_8equal_toIiEEEENSG_9not_fun_tINSD_8identityEEEEENSD_19counting_iterator_tIlEES8_S8_S8_S8_S8_S8_S8_S8_EEEEPS9_S9_NSD_9__find_if7functorIS9_EEEE10hipError_tPvRmT1_T2_T3_mT4_P12ihipStream_tbEUlT_E0_NS1_11comp_targetILNS1_3genE2ELNS1_11target_archE906ELNS1_3gpuE6ELNS1_3repE0EEENS1_30default_config_static_selectorELNS0_4arch9wavefront6targetE0EEEvS14_
    .private_segment_fixed_size: 0
    .sgpr_count:     0
    .sgpr_spill_count: 0
    .symbol:         _ZN7rocprim17ROCPRIM_400000_NS6detail17trampoline_kernelINS0_14default_configENS1_22reduce_config_selectorIN6thrust23THRUST_200600_302600_NS5tupleIblNS6_9null_typeES8_S8_S8_S8_S8_S8_S8_EEEEZNS1_11reduce_implILb1ES3_NS6_12zip_iteratorINS7_INS6_11hip_rocprim26transform_input_iterator_tIbNSD_35transform_pair_of_input_iterators_tIbNS6_6detail15normal_iteratorINS6_10device_ptrIKiEEEESL_NS6_8equal_toIiEEEENSG_9not_fun_tINSD_8identityEEEEENSD_19counting_iterator_tIlEES8_S8_S8_S8_S8_S8_S8_S8_EEEEPS9_S9_NSD_9__find_if7functorIS9_EEEE10hipError_tPvRmT1_T2_T3_mT4_P12ihipStream_tbEUlT_E0_NS1_11comp_targetILNS1_3genE2ELNS1_11target_archE906ELNS1_3gpuE6ELNS1_3repE0EEENS1_30default_config_static_selectorELNS0_4arch9wavefront6targetE0EEEvS14_.kd
    .uniform_work_group_size: 1
    .uses_dynamic_stack: false
    .vgpr_count:     0
    .vgpr_spill_count: 0
    .wavefront_size: 32
  - .args:
      - .offset:         0
        .size:           104
        .value_kind:     by_value
    .group_segment_fixed_size: 0
    .kernarg_segment_align: 8
    .kernarg_segment_size: 104
    .language:       OpenCL C
    .language_version:
      - 2
      - 0
    .max_flat_workgroup_size: 256
    .name:           _ZN7rocprim17ROCPRIM_400000_NS6detail17trampoline_kernelINS0_14default_configENS1_22reduce_config_selectorIN6thrust23THRUST_200600_302600_NS5tupleIblNS6_9null_typeES8_S8_S8_S8_S8_S8_S8_EEEEZNS1_11reduce_implILb1ES3_NS6_12zip_iteratorINS7_INS6_11hip_rocprim26transform_input_iterator_tIbNSD_35transform_pair_of_input_iterators_tIbNS6_6detail15normal_iteratorINS6_10device_ptrIKiEEEESL_NS6_8equal_toIiEEEENSG_9not_fun_tINSD_8identityEEEEENSD_19counting_iterator_tIlEES8_S8_S8_S8_S8_S8_S8_S8_EEEEPS9_S9_NSD_9__find_if7functorIS9_EEEE10hipError_tPvRmT1_T2_T3_mT4_P12ihipStream_tbEUlT_E0_NS1_11comp_targetILNS1_3genE10ELNS1_11target_archE1201ELNS1_3gpuE5ELNS1_3repE0EEENS1_30default_config_static_selectorELNS0_4arch9wavefront6targetE0EEEvS14_
    .private_segment_fixed_size: 0
    .sgpr_count:     0
    .sgpr_spill_count: 0
    .symbol:         _ZN7rocprim17ROCPRIM_400000_NS6detail17trampoline_kernelINS0_14default_configENS1_22reduce_config_selectorIN6thrust23THRUST_200600_302600_NS5tupleIblNS6_9null_typeES8_S8_S8_S8_S8_S8_S8_EEEEZNS1_11reduce_implILb1ES3_NS6_12zip_iteratorINS7_INS6_11hip_rocprim26transform_input_iterator_tIbNSD_35transform_pair_of_input_iterators_tIbNS6_6detail15normal_iteratorINS6_10device_ptrIKiEEEESL_NS6_8equal_toIiEEEENSG_9not_fun_tINSD_8identityEEEEENSD_19counting_iterator_tIlEES8_S8_S8_S8_S8_S8_S8_S8_EEEEPS9_S9_NSD_9__find_if7functorIS9_EEEE10hipError_tPvRmT1_T2_T3_mT4_P12ihipStream_tbEUlT_E0_NS1_11comp_targetILNS1_3genE10ELNS1_11target_archE1201ELNS1_3gpuE5ELNS1_3repE0EEENS1_30default_config_static_selectorELNS0_4arch9wavefront6targetE0EEEvS14_.kd
    .uniform_work_group_size: 1
    .uses_dynamic_stack: false
    .vgpr_count:     0
    .vgpr_spill_count: 0
    .wavefront_size: 32
  - .args:
      - .offset:         0
        .size:           104
        .value_kind:     by_value
    .group_segment_fixed_size: 0
    .kernarg_segment_align: 8
    .kernarg_segment_size: 104
    .language:       OpenCL C
    .language_version:
      - 2
      - 0
    .max_flat_workgroup_size: 256
    .name:           _ZN7rocprim17ROCPRIM_400000_NS6detail17trampoline_kernelINS0_14default_configENS1_22reduce_config_selectorIN6thrust23THRUST_200600_302600_NS5tupleIblNS6_9null_typeES8_S8_S8_S8_S8_S8_S8_EEEEZNS1_11reduce_implILb1ES3_NS6_12zip_iteratorINS7_INS6_11hip_rocprim26transform_input_iterator_tIbNSD_35transform_pair_of_input_iterators_tIbNS6_6detail15normal_iteratorINS6_10device_ptrIKiEEEESL_NS6_8equal_toIiEEEENSG_9not_fun_tINSD_8identityEEEEENSD_19counting_iterator_tIlEES8_S8_S8_S8_S8_S8_S8_S8_EEEEPS9_S9_NSD_9__find_if7functorIS9_EEEE10hipError_tPvRmT1_T2_T3_mT4_P12ihipStream_tbEUlT_E0_NS1_11comp_targetILNS1_3genE10ELNS1_11target_archE1200ELNS1_3gpuE4ELNS1_3repE0EEENS1_30default_config_static_selectorELNS0_4arch9wavefront6targetE0EEEvS14_
    .private_segment_fixed_size: 0
    .sgpr_count:     0
    .sgpr_spill_count: 0
    .symbol:         _ZN7rocprim17ROCPRIM_400000_NS6detail17trampoline_kernelINS0_14default_configENS1_22reduce_config_selectorIN6thrust23THRUST_200600_302600_NS5tupleIblNS6_9null_typeES8_S8_S8_S8_S8_S8_S8_EEEEZNS1_11reduce_implILb1ES3_NS6_12zip_iteratorINS7_INS6_11hip_rocprim26transform_input_iterator_tIbNSD_35transform_pair_of_input_iterators_tIbNS6_6detail15normal_iteratorINS6_10device_ptrIKiEEEESL_NS6_8equal_toIiEEEENSG_9not_fun_tINSD_8identityEEEEENSD_19counting_iterator_tIlEES8_S8_S8_S8_S8_S8_S8_S8_EEEEPS9_S9_NSD_9__find_if7functorIS9_EEEE10hipError_tPvRmT1_T2_T3_mT4_P12ihipStream_tbEUlT_E0_NS1_11comp_targetILNS1_3genE10ELNS1_11target_archE1200ELNS1_3gpuE4ELNS1_3repE0EEENS1_30default_config_static_selectorELNS0_4arch9wavefront6targetE0EEEvS14_.kd
    .uniform_work_group_size: 1
    .uses_dynamic_stack: false
    .vgpr_count:     0
    .vgpr_spill_count: 0
    .wavefront_size: 32
  - .args:
      - .offset:         0
        .size:           104
        .value_kind:     by_value
    .group_segment_fixed_size: 0
    .kernarg_segment_align: 8
    .kernarg_segment_size: 104
    .language:       OpenCL C
    .language_version:
      - 2
      - 0
    .max_flat_workgroup_size: 256
    .name:           _ZN7rocprim17ROCPRIM_400000_NS6detail17trampoline_kernelINS0_14default_configENS1_22reduce_config_selectorIN6thrust23THRUST_200600_302600_NS5tupleIblNS6_9null_typeES8_S8_S8_S8_S8_S8_S8_EEEEZNS1_11reduce_implILb1ES3_NS6_12zip_iteratorINS7_INS6_11hip_rocprim26transform_input_iterator_tIbNSD_35transform_pair_of_input_iterators_tIbNS6_6detail15normal_iteratorINS6_10device_ptrIKiEEEESL_NS6_8equal_toIiEEEENSG_9not_fun_tINSD_8identityEEEEENSD_19counting_iterator_tIlEES8_S8_S8_S8_S8_S8_S8_S8_EEEEPS9_S9_NSD_9__find_if7functorIS9_EEEE10hipError_tPvRmT1_T2_T3_mT4_P12ihipStream_tbEUlT_E0_NS1_11comp_targetILNS1_3genE9ELNS1_11target_archE1100ELNS1_3gpuE3ELNS1_3repE0EEENS1_30default_config_static_selectorELNS0_4arch9wavefront6targetE0EEEvS14_
    .private_segment_fixed_size: 0
    .sgpr_count:     0
    .sgpr_spill_count: 0
    .symbol:         _ZN7rocprim17ROCPRIM_400000_NS6detail17trampoline_kernelINS0_14default_configENS1_22reduce_config_selectorIN6thrust23THRUST_200600_302600_NS5tupleIblNS6_9null_typeES8_S8_S8_S8_S8_S8_S8_EEEEZNS1_11reduce_implILb1ES3_NS6_12zip_iteratorINS7_INS6_11hip_rocprim26transform_input_iterator_tIbNSD_35transform_pair_of_input_iterators_tIbNS6_6detail15normal_iteratorINS6_10device_ptrIKiEEEESL_NS6_8equal_toIiEEEENSG_9not_fun_tINSD_8identityEEEEENSD_19counting_iterator_tIlEES8_S8_S8_S8_S8_S8_S8_S8_EEEEPS9_S9_NSD_9__find_if7functorIS9_EEEE10hipError_tPvRmT1_T2_T3_mT4_P12ihipStream_tbEUlT_E0_NS1_11comp_targetILNS1_3genE9ELNS1_11target_archE1100ELNS1_3gpuE3ELNS1_3repE0EEENS1_30default_config_static_selectorELNS0_4arch9wavefront6targetE0EEEvS14_.kd
    .uniform_work_group_size: 1
    .uses_dynamic_stack: false
    .vgpr_count:     0
    .vgpr_spill_count: 0
    .wavefront_size: 32
  - .args:
      - .offset:         0
        .size:           104
        .value_kind:     by_value
    .group_segment_fixed_size: 0
    .kernarg_segment_align: 8
    .kernarg_segment_size: 104
    .language:       OpenCL C
    .language_version:
      - 2
      - 0
    .max_flat_workgroup_size: 256
    .name:           _ZN7rocprim17ROCPRIM_400000_NS6detail17trampoline_kernelINS0_14default_configENS1_22reduce_config_selectorIN6thrust23THRUST_200600_302600_NS5tupleIblNS6_9null_typeES8_S8_S8_S8_S8_S8_S8_EEEEZNS1_11reduce_implILb1ES3_NS6_12zip_iteratorINS7_INS6_11hip_rocprim26transform_input_iterator_tIbNSD_35transform_pair_of_input_iterators_tIbNS6_6detail15normal_iteratorINS6_10device_ptrIKiEEEESL_NS6_8equal_toIiEEEENSG_9not_fun_tINSD_8identityEEEEENSD_19counting_iterator_tIlEES8_S8_S8_S8_S8_S8_S8_S8_EEEEPS9_S9_NSD_9__find_if7functorIS9_EEEE10hipError_tPvRmT1_T2_T3_mT4_P12ihipStream_tbEUlT_E0_NS1_11comp_targetILNS1_3genE8ELNS1_11target_archE1030ELNS1_3gpuE2ELNS1_3repE0EEENS1_30default_config_static_selectorELNS0_4arch9wavefront6targetE0EEEvS14_
    .private_segment_fixed_size: 0
    .sgpr_count:     0
    .sgpr_spill_count: 0
    .symbol:         _ZN7rocprim17ROCPRIM_400000_NS6detail17trampoline_kernelINS0_14default_configENS1_22reduce_config_selectorIN6thrust23THRUST_200600_302600_NS5tupleIblNS6_9null_typeES8_S8_S8_S8_S8_S8_S8_EEEEZNS1_11reduce_implILb1ES3_NS6_12zip_iteratorINS7_INS6_11hip_rocprim26transform_input_iterator_tIbNSD_35transform_pair_of_input_iterators_tIbNS6_6detail15normal_iteratorINS6_10device_ptrIKiEEEESL_NS6_8equal_toIiEEEENSG_9not_fun_tINSD_8identityEEEEENSD_19counting_iterator_tIlEES8_S8_S8_S8_S8_S8_S8_S8_EEEEPS9_S9_NSD_9__find_if7functorIS9_EEEE10hipError_tPvRmT1_T2_T3_mT4_P12ihipStream_tbEUlT_E0_NS1_11comp_targetILNS1_3genE8ELNS1_11target_archE1030ELNS1_3gpuE2ELNS1_3repE0EEENS1_30default_config_static_selectorELNS0_4arch9wavefront6targetE0EEEvS14_.kd
    .uniform_work_group_size: 1
    .uses_dynamic_stack: false
    .vgpr_count:     0
    .vgpr_spill_count: 0
    .wavefront_size: 32
  - .args:
      - .offset:         0
        .size:           88
        .value_kind:     by_value
    .group_segment_fixed_size: 320
    .kernarg_segment_align: 8
    .kernarg_segment_size: 88
    .language:       OpenCL C
    .language_version:
      - 2
      - 0
    .max_flat_workgroup_size: 128
    .name:           _ZN7rocprim17ROCPRIM_400000_NS6detail17trampoline_kernelINS0_14default_configENS1_22reduce_config_selectorIN6thrust23THRUST_200600_302600_NS5tupleIblNS6_9null_typeES8_S8_S8_S8_S8_S8_S8_EEEEZNS1_11reduce_implILb1ES3_NS6_12zip_iteratorINS7_INS6_11hip_rocprim26transform_input_iterator_tIbNSD_35transform_pair_of_input_iterators_tIbNS6_6detail15normal_iteratorINS6_10device_ptrIKiEEEESL_NS6_8equal_toIiEEEENSG_9not_fun_tINSD_8identityEEEEENSD_19counting_iterator_tIlEES8_S8_S8_S8_S8_S8_S8_S8_EEEEPS9_S9_NSD_9__find_if7functorIS9_EEEE10hipError_tPvRmT1_T2_T3_mT4_P12ihipStream_tbEUlT_E1_NS1_11comp_targetILNS1_3genE0ELNS1_11target_archE4294967295ELNS1_3gpuE0ELNS1_3repE0EEENS1_30default_config_static_selectorELNS0_4arch9wavefront6targetE0EEEvS14_
    .private_segment_fixed_size: 0
    .sgpr_count:     30
    .sgpr_spill_count: 0
    .symbol:         _ZN7rocprim17ROCPRIM_400000_NS6detail17trampoline_kernelINS0_14default_configENS1_22reduce_config_selectorIN6thrust23THRUST_200600_302600_NS5tupleIblNS6_9null_typeES8_S8_S8_S8_S8_S8_S8_EEEEZNS1_11reduce_implILb1ES3_NS6_12zip_iteratorINS7_INS6_11hip_rocprim26transform_input_iterator_tIbNSD_35transform_pair_of_input_iterators_tIbNS6_6detail15normal_iteratorINS6_10device_ptrIKiEEEESL_NS6_8equal_toIiEEEENSG_9not_fun_tINSD_8identityEEEEENSD_19counting_iterator_tIlEES8_S8_S8_S8_S8_S8_S8_S8_EEEEPS9_S9_NSD_9__find_if7functorIS9_EEEE10hipError_tPvRmT1_T2_T3_mT4_P12ihipStream_tbEUlT_E1_NS1_11comp_targetILNS1_3genE0ELNS1_11target_archE4294967295ELNS1_3gpuE0ELNS1_3repE0EEENS1_30default_config_static_selectorELNS0_4arch9wavefront6targetE0EEEvS14_.kd
    .uniform_work_group_size: 1
    .uses_dynamic_stack: false
    .vgpr_count:     28
    .vgpr_spill_count: 0
    .wavefront_size: 32
  - .args:
      - .offset:         0
        .size:           88
        .value_kind:     by_value
    .group_segment_fixed_size: 0
    .kernarg_segment_align: 8
    .kernarg_segment_size: 88
    .language:       OpenCL C
    .language_version:
      - 2
      - 0
    .max_flat_workgroup_size: 256
    .name:           _ZN7rocprim17ROCPRIM_400000_NS6detail17trampoline_kernelINS0_14default_configENS1_22reduce_config_selectorIN6thrust23THRUST_200600_302600_NS5tupleIblNS6_9null_typeES8_S8_S8_S8_S8_S8_S8_EEEEZNS1_11reduce_implILb1ES3_NS6_12zip_iteratorINS7_INS6_11hip_rocprim26transform_input_iterator_tIbNSD_35transform_pair_of_input_iterators_tIbNS6_6detail15normal_iteratorINS6_10device_ptrIKiEEEESL_NS6_8equal_toIiEEEENSG_9not_fun_tINSD_8identityEEEEENSD_19counting_iterator_tIlEES8_S8_S8_S8_S8_S8_S8_S8_EEEEPS9_S9_NSD_9__find_if7functorIS9_EEEE10hipError_tPvRmT1_T2_T3_mT4_P12ihipStream_tbEUlT_E1_NS1_11comp_targetILNS1_3genE5ELNS1_11target_archE942ELNS1_3gpuE9ELNS1_3repE0EEENS1_30default_config_static_selectorELNS0_4arch9wavefront6targetE0EEEvS14_
    .private_segment_fixed_size: 0
    .sgpr_count:     0
    .sgpr_spill_count: 0
    .symbol:         _ZN7rocprim17ROCPRIM_400000_NS6detail17trampoline_kernelINS0_14default_configENS1_22reduce_config_selectorIN6thrust23THRUST_200600_302600_NS5tupleIblNS6_9null_typeES8_S8_S8_S8_S8_S8_S8_EEEEZNS1_11reduce_implILb1ES3_NS6_12zip_iteratorINS7_INS6_11hip_rocprim26transform_input_iterator_tIbNSD_35transform_pair_of_input_iterators_tIbNS6_6detail15normal_iteratorINS6_10device_ptrIKiEEEESL_NS6_8equal_toIiEEEENSG_9not_fun_tINSD_8identityEEEEENSD_19counting_iterator_tIlEES8_S8_S8_S8_S8_S8_S8_S8_EEEEPS9_S9_NSD_9__find_if7functorIS9_EEEE10hipError_tPvRmT1_T2_T3_mT4_P12ihipStream_tbEUlT_E1_NS1_11comp_targetILNS1_3genE5ELNS1_11target_archE942ELNS1_3gpuE9ELNS1_3repE0EEENS1_30default_config_static_selectorELNS0_4arch9wavefront6targetE0EEEvS14_.kd
    .uniform_work_group_size: 1
    .uses_dynamic_stack: false
    .vgpr_count:     0
    .vgpr_spill_count: 0
    .wavefront_size: 32
  - .args:
      - .offset:         0
        .size:           88
        .value_kind:     by_value
    .group_segment_fixed_size: 0
    .kernarg_segment_align: 8
    .kernarg_segment_size: 88
    .language:       OpenCL C
    .language_version:
      - 2
      - 0
    .max_flat_workgroup_size: 256
    .name:           _ZN7rocprim17ROCPRIM_400000_NS6detail17trampoline_kernelINS0_14default_configENS1_22reduce_config_selectorIN6thrust23THRUST_200600_302600_NS5tupleIblNS6_9null_typeES8_S8_S8_S8_S8_S8_S8_EEEEZNS1_11reduce_implILb1ES3_NS6_12zip_iteratorINS7_INS6_11hip_rocprim26transform_input_iterator_tIbNSD_35transform_pair_of_input_iterators_tIbNS6_6detail15normal_iteratorINS6_10device_ptrIKiEEEESL_NS6_8equal_toIiEEEENSG_9not_fun_tINSD_8identityEEEEENSD_19counting_iterator_tIlEES8_S8_S8_S8_S8_S8_S8_S8_EEEEPS9_S9_NSD_9__find_if7functorIS9_EEEE10hipError_tPvRmT1_T2_T3_mT4_P12ihipStream_tbEUlT_E1_NS1_11comp_targetILNS1_3genE4ELNS1_11target_archE910ELNS1_3gpuE8ELNS1_3repE0EEENS1_30default_config_static_selectorELNS0_4arch9wavefront6targetE0EEEvS14_
    .private_segment_fixed_size: 0
    .sgpr_count:     0
    .sgpr_spill_count: 0
    .symbol:         _ZN7rocprim17ROCPRIM_400000_NS6detail17trampoline_kernelINS0_14default_configENS1_22reduce_config_selectorIN6thrust23THRUST_200600_302600_NS5tupleIblNS6_9null_typeES8_S8_S8_S8_S8_S8_S8_EEEEZNS1_11reduce_implILb1ES3_NS6_12zip_iteratorINS7_INS6_11hip_rocprim26transform_input_iterator_tIbNSD_35transform_pair_of_input_iterators_tIbNS6_6detail15normal_iteratorINS6_10device_ptrIKiEEEESL_NS6_8equal_toIiEEEENSG_9not_fun_tINSD_8identityEEEEENSD_19counting_iterator_tIlEES8_S8_S8_S8_S8_S8_S8_S8_EEEEPS9_S9_NSD_9__find_if7functorIS9_EEEE10hipError_tPvRmT1_T2_T3_mT4_P12ihipStream_tbEUlT_E1_NS1_11comp_targetILNS1_3genE4ELNS1_11target_archE910ELNS1_3gpuE8ELNS1_3repE0EEENS1_30default_config_static_selectorELNS0_4arch9wavefront6targetE0EEEvS14_.kd
    .uniform_work_group_size: 1
    .uses_dynamic_stack: false
    .vgpr_count:     0
    .vgpr_spill_count: 0
    .wavefront_size: 32
  - .args:
      - .offset:         0
        .size:           88
        .value_kind:     by_value
    .group_segment_fixed_size: 0
    .kernarg_segment_align: 8
    .kernarg_segment_size: 88
    .language:       OpenCL C
    .language_version:
      - 2
      - 0
    .max_flat_workgroup_size: 128
    .name:           _ZN7rocprim17ROCPRIM_400000_NS6detail17trampoline_kernelINS0_14default_configENS1_22reduce_config_selectorIN6thrust23THRUST_200600_302600_NS5tupleIblNS6_9null_typeES8_S8_S8_S8_S8_S8_S8_EEEEZNS1_11reduce_implILb1ES3_NS6_12zip_iteratorINS7_INS6_11hip_rocprim26transform_input_iterator_tIbNSD_35transform_pair_of_input_iterators_tIbNS6_6detail15normal_iteratorINS6_10device_ptrIKiEEEESL_NS6_8equal_toIiEEEENSG_9not_fun_tINSD_8identityEEEEENSD_19counting_iterator_tIlEES8_S8_S8_S8_S8_S8_S8_S8_EEEEPS9_S9_NSD_9__find_if7functorIS9_EEEE10hipError_tPvRmT1_T2_T3_mT4_P12ihipStream_tbEUlT_E1_NS1_11comp_targetILNS1_3genE3ELNS1_11target_archE908ELNS1_3gpuE7ELNS1_3repE0EEENS1_30default_config_static_selectorELNS0_4arch9wavefront6targetE0EEEvS14_
    .private_segment_fixed_size: 0
    .sgpr_count:     0
    .sgpr_spill_count: 0
    .symbol:         _ZN7rocprim17ROCPRIM_400000_NS6detail17trampoline_kernelINS0_14default_configENS1_22reduce_config_selectorIN6thrust23THRUST_200600_302600_NS5tupleIblNS6_9null_typeES8_S8_S8_S8_S8_S8_S8_EEEEZNS1_11reduce_implILb1ES3_NS6_12zip_iteratorINS7_INS6_11hip_rocprim26transform_input_iterator_tIbNSD_35transform_pair_of_input_iterators_tIbNS6_6detail15normal_iteratorINS6_10device_ptrIKiEEEESL_NS6_8equal_toIiEEEENSG_9not_fun_tINSD_8identityEEEEENSD_19counting_iterator_tIlEES8_S8_S8_S8_S8_S8_S8_S8_EEEEPS9_S9_NSD_9__find_if7functorIS9_EEEE10hipError_tPvRmT1_T2_T3_mT4_P12ihipStream_tbEUlT_E1_NS1_11comp_targetILNS1_3genE3ELNS1_11target_archE908ELNS1_3gpuE7ELNS1_3repE0EEENS1_30default_config_static_selectorELNS0_4arch9wavefront6targetE0EEEvS14_.kd
    .uniform_work_group_size: 1
    .uses_dynamic_stack: false
    .vgpr_count:     0
    .vgpr_spill_count: 0
    .wavefront_size: 32
  - .args:
      - .offset:         0
        .size:           88
        .value_kind:     by_value
    .group_segment_fixed_size: 0
    .kernarg_segment_align: 8
    .kernarg_segment_size: 88
    .language:       OpenCL C
    .language_version:
      - 2
      - 0
    .max_flat_workgroup_size: 128
    .name:           _ZN7rocprim17ROCPRIM_400000_NS6detail17trampoline_kernelINS0_14default_configENS1_22reduce_config_selectorIN6thrust23THRUST_200600_302600_NS5tupleIblNS6_9null_typeES8_S8_S8_S8_S8_S8_S8_EEEEZNS1_11reduce_implILb1ES3_NS6_12zip_iteratorINS7_INS6_11hip_rocprim26transform_input_iterator_tIbNSD_35transform_pair_of_input_iterators_tIbNS6_6detail15normal_iteratorINS6_10device_ptrIKiEEEESL_NS6_8equal_toIiEEEENSG_9not_fun_tINSD_8identityEEEEENSD_19counting_iterator_tIlEES8_S8_S8_S8_S8_S8_S8_S8_EEEEPS9_S9_NSD_9__find_if7functorIS9_EEEE10hipError_tPvRmT1_T2_T3_mT4_P12ihipStream_tbEUlT_E1_NS1_11comp_targetILNS1_3genE2ELNS1_11target_archE906ELNS1_3gpuE6ELNS1_3repE0EEENS1_30default_config_static_selectorELNS0_4arch9wavefront6targetE0EEEvS14_
    .private_segment_fixed_size: 0
    .sgpr_count:     0
    .sgpr_spill_count: 0
    .symbol:         _ZN7rocprim17ROCPRIM_400000_NS6detail17trampoline_kernelINS0_14default_configENS1_22reduce_config_selectorIN6thrust23THRUST_200600_302600_NS5tupleIblNS6_9null_typeES8_S8_S8_S8_S8_S8_S8_EEEEZNS1_11reduce_implILb1ES3_NS6_12zip_iteratorINS7_INS6_11hip_rocprim26transform_input_iterator_tIbNSD_35transform_pair_of_input_iterators_tIbNS6_6detail15normal_iteratorINS6_10device_ptrIKiEEEESL_NS6_8equal_toIiEEEENSG_9not_fun_tINSD_8identityEEEEENSD_19counting_iterator_tIlEES8_S8_S8_S8_S8_S8_S8_S8_EEEEPS9_S9_NSD_9__find_if7functorIS9_EEEE10hipError_tPvRmT1_T2_T3_mT4_P12ihipStream_tbEUlT_E1_NS1_11comp_targetILNS1_3genE2ELNS1_11target_archE906ELNS1_3gpuE6ELNS1_3repE0EEENS1_30default_config_static_selectorELNS0_4arch9wavefront6targetE0EEEvS14_.kd
    .uniform_work_group_size: 1
    .uses_dynamic_stack: false
    .vgpr_count:     0
    .vgpr_spill_count: 0
    .wavefront_size: 32
  - .args:
      - .offset:         0
        .size:           88
        .value_kind:     by_value
    .group_segment_fixed_size: 0
    .kernarg_segment_align: 8
    .kernarg_segment_size: 88
    .language:       OpenCL C
    .language_version:
      - 2
      - 0
    .max_flat_workgroup_size: 256
    .name:           _ZN7rocprim17ROCPRIM_400000_NS6detail17trampoline_kernelINS0_14default_configENS1_22reduce_config_selectorIN6thrust23THRUST_200600_302600_NS5tupleIblNS6_9null_typeES8_S8_S8_S8_S8_S8_S8_EEEEZNS1_11reduce_implILb1ES3_NS6_12zip_iteratorINS7_INS6_11hip_rocprim26transform_input_iterator_tIbNSD_35transform_pair_of_input_iterators_tIbNS6_6detail15normal_iteratorINS6_10device_ptrIKiEEEESL_NS6_8equal_toIiEEEENSG_9not_fun_tINSD_8identityEEEEENSD_19counting_iterator_tIlEES8_S8_S8_S8_S8_S8_S8_S8_EEEEPS9_S9_NSD_9__find_if7functorIS9_EEEE10hipError_tPvRmT1_T2_T3_mT4_P12ihipStream_tbEUlT_E1_NS1_11comp_targetILNS1_3genE10ELNS1_11target_archE1201ELNS1_3gpuE5ELNS1_3repE0EEENS1_30default_config_static_selectorELNS0_4arch9wavefront6targetE0EEEvS14_
    .private_segment_fixed_size: 0
    .sgpr_count:     0
    .sgpr_spill_count: 0
    .symbol:         _ZN7rocprim17ROCPRIM_400000_NS6detail17trampoline_kernelINS0_14default_configENS1_22reduce_config_selectorIN6thrust23THRUST_200600_302600_NS5tupleIblNS6_9null_typeES8_S8_S8_S8_S8_S8_S8_EEEEZNS1_11reduce_implILb1ES3_NS6_12zip_iteratorINS7_INS6_11hip_rocprim26transform_input_iterator_tIbNSD_35transform_pair_of_input_iterators_tIbNS6_6detail15normal_iteratorINS6_10device_ptrIKiEEEESL_NS6_8equal_toIiEEEENSG_9not_fun_tINSD_8identityEEEEENSD_19counting_iterator_tIlEES8_S8_S8_S8_S8_S8_S8_S8_EEEEPS9_S9_NSD_9__find_if7functorIS9_EEEE10hipError_tPvRmT1_T2_T3_mT4_P12ihipStream_tbEUlT_E1_NS1_11comp_targetILNS1_3genE10ELNS1_11target_archE1201ELNS1_3gpuE5ELNS1_3repE0EEENS1_30default_config_static_selectorELNS0_4arch9wavefront6targetE0EEEvS14_.kd
    .uniform_work_group_size: 1
    .uses_dynamic_stack: false
    .vgpr_count:     0
    .vgpr_spill_count: 0
    .wavefront_size: 32
  - .args:
      - .offset:         0
        .size:           88
        .value_kind:     by_value
    .group_segment_fixed_size: 0
    .kernarg_segment_align: 8
    .kernarg_segment_size: 88
    .language:       OpenCL C
    .language_version:
      - 2
      - 0
    .max_flat_workgroup_size: 256
    .name:           _ZN7rocprim17ROCPRIM_400000_NS6detail17trampoline_kernelINS0_14default_configENS1_22reduce_config_selectorIN6thrust23THRUST_200600_302600_NS5tupleIblNS6_9null_typeES8_S8_S8_S8_S8_S8_S8_EEEEZNS1_11reduce_implILb1ES3_NS6_12zip_iteratorINS7_INS6_11hip_rocprim26transform_input_iterator_tIbNSD_35transform_pair_of_input_iterators_tIbNS6_6detail15normal_iteratorINS6_10device_ptrIKiEEEESL_NS6_8equal_toIiEEEENSG_9not_fun_tINSD_8identityEEEEENSD_19counting_iterator_tIlEES8_S8_S8_S8_S8_S8_S8_S8_EEEEPS9_S9_NSD_9__find_if7functorIS9_EEEE10hipError_tPvRmT1_T2_T3_mT4_P12ihipStream_tbEUlT_E1_NS1_11comp_targetILNS1_3genE10ELNS1_11target_archE1200ELNS1_3gpuE4ELNS1_3repE0EEENS1_30default_config_static_selectorELNS0_4arch9wavefront6targetE0EEEvS14_
    .private_segment_fixed_size: 0
    .sgpr_count:     0
    .sgpr_spill_count: 0
    .symbol:         _ZN7rocprim17ROCPRIM_400000_NS6detail17trampoline_kernelINS0_14default_configENS1_22reduce_config_selectorIN6thrust23THRUST_200600_302600_NS5tupleIblNS6_9null_typeES8_S8_S8_S8_S8_S8_S8_EEEEZNS1_11reduce_implILb1ES3_NS6_12zip_iteratorINS7_INS6_11hip_rocprim26transform_input_iterator_tIbNSD_35transform_pair_of_input_iterators_tIbNS6_6detail15normal_iteratorINS6_10device_ptrIKiEEEESL_NS6_8equal_toIiEEEENSG_9not_fun_tINSD_8identityEEEEENSD_19counting_iterator_tIlEES8_S8_S8_S8_S8_S8_S8_S8_EEEEPS9_S9_NSD_9__find_if7functorIS9_EEEE10hipError_tPvRmT1_T2_T3_mT4_P12ihipStream_tbEUlT_E1_NS1_11comp_targetILNS1_3genE10ELNS1_11target_archE1200ELNS1_3gpuE4ELNS1_3repE0EEENS1_30default_config_static_selectorELNS0_4arch9wavefront6targetE0EEEvS14_.kd
    .uniform_work_group_size: 1
    .uses_dynamic_stack: false
    .vgpr_count:     0
    .vgpr_spill_count: 0
    .wavefront_size: 32
  - .args:
      - .offset:         0
        .size:           88
        .value_kind:     by_value
    .group_segment_fixed_size: 0
    .kernarg_segment_align: 8
    .kernarg_segment_size: 88
    .language:       OpenCL C
    .language_version:
      - 2
      - 0
    .max_flat_workgroup_size: 256
    .name:           _ZN7rocprim17ROCPRIM_400000_NS6detail17trampoline_kernelINS0_14default_configENS1_22reduce_config_selectorIN6thrust23THRUST_200600_302600_NS5tupleIblNS6_9null_typeES8_S8_S8_S8_S8_S8_S8_EEEEZNS1_11reduce_implILb1ES3_NS6_12zip_iteratorINS7_INS6_11hip_rocprim26transform_input_iterator_tIbNSD_35transform_pair_of_input_iterators_tIbNS6_6detail15normal_iteratorINS6_10device_ptrIKiEEEESL_NS6_8equal_toIiEEEENSG_9not_fun_tINSD_8identityEEEEENSD_19counting_iterator_tIlEES8_S8_S8_S8_S8_S8_S8_S8_EEEEPS9_S9_NSD_9__find_if7functorIS9_EEEE10hipError_tPvRmT1_T2_T3_mT4_P12ihipStream_tbEUlT_E1_NS1_11comp_targetILNS1_3genE9ELNS1_11target_archE1100ELNS1_3gpuE3ELNS1_3repE0EEENS1_30default_config_static_selectorELNS0_4arch9wavefront6targetE0EEEvS14_
    .private_segment_fixed_size: 0
    .sgpr_count:     0
    .sgpr_spill_count: 0
    .symbol:         _ZN7rocprim17ROCPRIM_400000_NS6detail17trampoline_kernelINS0_14default_configENS1_22reduce_config_selectorIN6thrust23THRUST_200600_302600_NS5tupleIblNS6_9null_typeES8_S8_S8_S8_S8_S8_S8_EEEEZNS1_11reduce_implILb1ES3_NS6_12zip_iteratorINS7_INS6_11hip_rocprim26transform_input_iterator_tIbNSD_35transform_pair_of_input_iterators_tIbNS6_6detail15normal_iteratorINS6_10device_ptrIKiEEEESL_NS6_8equal_toIiEEEENSG_9not_fun_tINSD_8identityEEEEENSD_19counting_iterator_tIlEES8_S8_S8_S8_S8_S8_S8_S8_EEEEPS9_S9_NSD_9__find_if7functorIS9_EEEE10hipError_tPvRmT1_T2_T3_mT4_P12ihipStream_tbEUlT_E1_NS1_11comp_targetILNS1_3genE9ELNS1_11target_archE1100ELNS1_3gpuE3ELNS1_3repE0EEENS1_30default_config_static_selectorELNS0_4arch9wavefront6targetE0EEEvS14_.kd
    .uniform_work_group_size: 1
    .uses_dynamic_stack: false
    .vgpr_count:     0
    .vgpr_spill_count: 0
    .wavefront_size: 32
  - .args:
      - .offset:         0
        .size:           88
        .value_kind:     by_value
    .group_segment_fixed_size: 0
    .kernarg_segment_align: 8
    .kernarg_segment_size: 88
    .language:       OpenCL C
    .language_version:
      - 2
      - 0
    .max_flat_workgroup_size: 256
    .name:           _ZN7rocprim17ROCPRIM_400000_NS6detail17trampoline_kernelINS0_14default_configENS1_22reduce_config_selectorIN6thrust23THRUST_200600_302600_NS5tupleIblNS6_9null_typeES8_S8_S8_S8_S8_S8_S8_EEEEZNS1_11reduce_implILb1ES3_NS6_12zip_iteratorINS7_INS6_11hip_rocprim26transform_input_iterator_tIbNSD_35transform_pair_of_input_iterators_tIbNS6_6detail15normal_iteratorINS6_10device_ptrIKiEEEESL_NS6_8equal_toIiEEEENSG_9not_fun_tINSD_8identityEEEEENSD_19counting_iterator_tIlEES8_S8_S8_S8_S8_S8_S8_S8_EEEEPS9_S9_NSD_9__find_if7functorIS9_EEEE10hipError_tPvRmT1_T2_T3_mT4_P12ihipStream_tbEUlT_E1_NS1_11comp_targetILNS1_3genE8ELNS1_11target_archE1030ELNS1_3gpuE2ELNS1_3repE0EEENS1_30default_config_static_selectorELNS0_4arch9wavefront6targetE0EEEvS14_
    .private_segment_fixed_size: 0
    .sgpr_count:     0
    .sgpr_spill_count: 0
    .symbol:         _ZN7rocprim17ROCPRIM_400000_NS6detail17trampoline_kernelINS0_14default_configENS1_22reduce_config_selectorIN6thrust23THRUST_200600_302600_NS5tupleIblNS6_9null_typeES8_S8_S8_S8_S8_S8_S8_EEEEZNS1_11reduce_implILb1ES3_NS6_12zip_iteratorINS7_INS6_11hip_rocprim26transform_input_iterator_tIbNSD_35transform_pair_of_input_iterators_tIbNS6_6detail15normal_iteratorINS6_10device_ptrIKiEEEESL_NS6_8equal_toIiEEEENSG_9not_fun_tINSD_8identityEEEEENSD_19counting_iterator_tIlEES8_S8_S8_S8_S8_S8_S8_S8_EEEEPS9_S9_NSD_9__find_if7functorIS9_EEEE10hipError_tPvRmT1_T2_T3_mT4_P12ihipStream_tbEUlT_E1_NS1_11comp_targetILNS1_3genE8ELNS1_11target_archE1030ELNS1_3gpuE2ELNS1_3repE0EEENS1_30default_config_static_selectorELNS0_4arch9wavefront6targetE0EEEvS14_.kd
    .uniform_work_group_size: 1
    .uses_dynamic_stack: false
    .vgpr_count:     0
    .vgpr_spill_count: 0
    .wavefront_size: 32
  - .args:
      - .offset:         0
        .size:           16
        .value_kind:     by_value
      - .offset:         16
        .size:           8
        .value_kind:     by_value
      - .offset:         24
        .size:           8
        .value_kind:     by_value
    .group_segment_fixed_size: 0
    .kernarg_segment_align: 8
    .kernarg_segment_size: 32
    .language:       OpenCL C
    .language_version:
      - 2
      - 0
    .max_flat_workgroup_size: 256
    .name:           _ZN6thrust23THRUST_200600_302600_NS11hip_rocprim14__parallel_for6kernelILj256ENS1_20__uninitialized_fill7functorINS0_10device_ptrIsEEsEEmLj1EEEvT0_T1_SA_
    .private_segment_fixed_size: 0
    .sgpr_count:     14
    .sgpr_spill_count: 0
    .symbol:         _ZN6thrust23THRUST_200600_302600_NS11hip_rocprim14__parallel_for6kernelILj256ENS1_20__uninitialized_fill7functorINS0_10device_ptrIsEEsEEmLj1EEEvT0_T1_SA_.kd
    .uniform_work_group_size: 1
    .uses_dynamic_stack: false
    .vgpr_count:     2
    .vgpr_spill_count: 0
    .wavefront_size: 32
  - .args:
      - .offset:         0
        .size:           64
        .value_kind:     by_value
      - .offset:         64
        .size:           4
        .value_kind:     hidden_block_count_x
      - .offset:         68
        .size:           4
        .value_kind:     hidden_block_count_y
      - .offset:         72
        .size:           4
        .value_kind:     hidden_block_count_z
      - .offset:         76
        .size:           2
        .value_kind:     hidden_group_size_x
      - .offset:         78
        .size:           2
        .value_kind:     hidden_group_size_y
      - .offset:         80
        .size:           2
        .value_kind:     hidden_group_size_z
      - .offset:         82
        .size:           2
        .value_kind:     hidden_remainder_x
      - .offset:         84
        .size:           2
        .value_kind:     hidden_remainder_y
      - .offset:         86
        .size:           2
        .value_kind:     hidden_remainder_z
      - .offset:         104
        .size:           8
        .value_kind:     hidden_global_offset_x
      - .offset:         112
        .size:           8
        .value_kind:     hidden_global_offset_y
      - .offset:         120
        .size:           8
        .value_kind:     hidden_global_offset_z
      - .offset:         128
        .size:           2
        .value_kind:     hidden_grid_dims
    .group_segment_fixed_size: 0
    .kernarg_segment_align: 8
    .kernarg_segment_size: 320
    .language:       OpenCL C
    .language_version:
      - 2
      - 0
    .max_flat_workgroup_size: 256
    .name:           _ZN7rocprim17ROCPRIM_400000_NS6detail17trampoline_kernelINS0_14default_configENS1_21merge_config_selectorINS0_5tupleIJssEEENS0_10empty_typeEEEZNS1_10merge_implIS3_NS0_12zip_iteratorINS5_IJN6thrust23THRUST_200600_302600_NS6detail15normal_iteratorINSC_10device_ptrIKsEEEESI_EEEEESK_NSA_INS5_IJNSE_INSF_IsEEEESM_EEEEEPS7_SP_SP_NSC_11hip_rocprim7__merge17predicate_wrapperIssNSC_4lessIsEEEEEE10hipError_tPvRmT0_T1_T2_T3_T4_T5_mmT6_P12ihipStream_tbEUlT_E_NS1_11comp_targetILNS1_3genE0ELNS1_11target_archE4294967295ELNS1_3gpuE0ELNS1_3repE0EEENS1_30default_config_static_selectorELNS0_4arch9wavefront6targetE0EEEvS10_
    .private_segment_fixed_size: 0
    .sgpr_count:     16
    .sgpr_spill_count: 0
    .symbol:         _ZN7rocprim17ROCPRIM_400000_NS6detail17trampoline_kernelINS0_14default_configENS1_21merge_config_selectorINS0_5tupleIJssEEENS0_10empty_typeEEEZNS1_10merge_implIS3_NS0_12zip_iteratorINS5_IJN6thrust23THRUST_200600_302600_NS6detail15normal_iteratorINSC_10device_ptrIKsEEEESI_EEEEESK_NSA_INS5_IJNSE_INSF_IsEEEESM_EEEEEPS7_SP_SP_NSC_11hip_rocprim7__merge17predicate_wrapperIssNSC_4lessIsEEEEEE10hipError_tPvRmT0_T1_T2_T3_T4_T5_mmT6_P12ihipStream_tbEUlT_E_NS1_11comp_targetILNS1_3genE0ELNS1_11target_archE4294967295ELNS1_3gpuE0ELNS1_3repE0EEENS1_30default_config_static_selectorELNS0_4arch9wavefront6targetE0EEEvS10_.kd
    .uniform_work_group_size: 1
    .uses_dynamic_stack: false
    .vgpr_count:     15
    .vgpr_spill_count: 0
    .wavefront_size: 32
  - .args:
      - .offset:         0
        .size:           64
        .value_kind:     by_value
    .group_segment_fixed_size: 0
    .kernarg_segment_align: 8
    .kernarg_segment_size: 64
    .language:       OpenCL C
    .language_version:
      - 2
      - 0
    .max_flat_workgroup_size: 256
    .name:           _ZN7rocprim17ROCPRIM_400000_NS6detail17trampoline_kernelINS0_14default_configENS1_21merge_config_selectorINS0_5tupleIJssEEENS0_10empty_typeEEEZNS1_10merge_implIS3_NS0_12zip_iteratorINS5_IJN6thrust23THRUST_200600_302600_NS6detail15normal_iteratorINSC_10device_ptrIKsEEEESI_EEEEESK_NSA_INS5_IJNSE_INSF_IsEEEESM_EEEEEPS7_SP_SP_NSC_11hip_rocprim7__merge17predicate_wrapperIssNSC_4lessIsEEEEEE10hipError_tPvRmT0_T1_T2_T3_T4_T5_mmT6_P12ihipStream_tbEUlT_E_NS1_11comp_targetILNS1_3genE5ELNS1_11target_archE942ELNS1_3gpuE9ELNS1_3repE0EEENS1_30default_config_static_selectorELNS0_4arch9wavefront6targetE0EEEvS10_
    .private_segment_fixed_size: 0
    .sgpr_count:     0
    .sgpr_spill_count: 0
    .symbol:         _ZN7rocprim17ROCPRIM_400000_NS6detail17trampoline_kernelINS0_14default_configENS1_21merge_config_selectorINS0_5tupleIJssEEENS0_10empty_typeEEEZNS1_10merge_implIS3_NS0_12zip_iteratorINS5_IJN6thrust23THRUST_200600_302600_NS6detail15normal_iteratorINSC_10device_ptrIKsEEEESI_EEEEESK_NSA_INS5_IJNSE_INSF_IsEEEESM_EEEEEPS7_SP_SP_NSC_11hip_rocprim7__merge17predicate_wrapperIssNSC_4lessIsEEEEEE10hipError_tPvRmT0_T1_T2_T3_T4_T5_mmT6_P12ihipStream_tbEUlT_E_NS1_11comp_targetILNS1_3genE5ELNS1_11target_archE942ELNS1_3gpuE9ELNS1_3repE0EEENS1_30default_config_static_selectorELNS0_4arch9wavefront6targetE0EEEvS10_.kd
    .uniform_work_group_size: 1
    .uses_dynamic_stack: false
    .vgpr_count:     0
    .vgpr_spill_count: 0
    .wavefront_size: 32
  - .args:
      - .offset:         0
        .size:           64
        .value_kind:     by_value
    .group_segment_fixed_size: 0
    .kernarg_segment_align: 8
    .kernarg_segment_size: 64
    .language:       OpenCL C
    .language_version:
      - 2
      - 0
    .max_flat_workgroup_size: 256
    .name:           _ZN7rocprim17ROCPRIM_400000_NS6detail17trampoline_kernelINS0_14default_configENS1_21merge_config_selectorINS0_5tupleIJssEEENS0_10empty_typeEEEZNS1_10merge_implIS3_NS0_12zip_iteratorINS5_IJN6thrust23THRUST_200600_302600_NS6detail15normal_iteratorINSC_10device_ptrIKsEEEESI_EEEEESK_NSA_INS5_IJNSE_INSF_IsEEEESM_EEEEEPS7_SP_SP_NSC_11hip_rocprim7__merge17predicate_wrapperIssNSC_4lessIsEEEEEE10hipError_tPvRmT0_T1_T2_T3_T4_T5_mmT6_P12ihipStream_tbEUlT_E_NS1_11comp_targetILNS1_3genE4ELNS1_11target_archE910ELNS1_3gpuE8ELNS1_3repE0EEENS1_30default_config_static_selectorELNS0_4arch9wavefront6targetE0EEEvS10_
    .private_segment_fixed_size: 0
    .sgpr_count:     0
    .sgpr_spill_count: 0
    .symbol:         _ZN7rocprim17ROCPRIM_400000_NS6detail17trampoline_kernelINS0_14default_configENS1_21merge_config_selectorINS0_5tupleIJssEEENS0_10empty_typeEEEZNS1_10merge_implIS3_NS0_12zip_iteratorINS5_IJN6thrust23THRUST_200600_302600_NS6detail15normal_iteratorINSC_10device_ptrIKsEEEESI_EEEEESK_NSA_INS5_IJNSE_INSF_IsEEEESM_EEEEEPS7_SP_SP_NSC_11hip_rocprim7__merge17predicate_wrapperIssNSC_4lessIsEEEEEE10hipError_tPvRmT0_T1_T2_T3_T4_T5_mmT6_P12ihipStream_tbEUlT_E_NS1_11comp_targetILNS1_3genE4ELNS1_11target_archE910ELNS1_3gpuE8ELNS1_3repE0EEENS1_30default_config_static_selectorELNS0_4arch9wavefront6targetE0EEEvS10_.kd
    .uniform_work_group_size: 1
    .uses_dynamic_stack: false
    .vgpr_count:     0
    .vgpr_spill_count: 0
    .wavefront_size: 32
  - .args:
      - .offset:         0
        .size:           64
        .value_kind:     by_value
    .group_segment_fixed_size: 0
    .kernarg_segment_align: 8
    .kernarg_segment_size: 64
    .language:       OpenCL C
    .language_version:
      - 2
      - 0
    .max_flat_workgroup_size: 256
    .name:           _ZN7rocprim17ROCPRIM_400000_NS6detail17trampoline_kernelINS0_14default_configENS1_21merge_config_selectorINS0_5tupleIJssEEENS0_10empty_typeEEEZNS1_10merge_implIS3_NS0_12zip_iteratorINS5_IJN6thrust23THRUST_200600_302600_NS6detail15normal_iteratorINSC_10device_ptrIKsEEEESI_EEEEESK_NSA_INS5_IJNSE_INSF_IsEEEESM_EEEEEPS7_SP_SP_NSC_11hip_rocprim7__merge17predicate_wrapperIssNSC_4lessIsEEEEEE10hipError_tPvRmT0_T1_T2_T3_T4_T5_mmT6_P12ihipStream_tbEUlT_E_NS1_11comp_targetILNS1_3genE3ELNS1_11target_archE908ELNS1_3gpuE7ELNS1_3repE0EEENS1_30default_config_static_selectorELNS0_4arch9wavefront6targetE0EEEvS10_
    .private_segment_fixed_size: 0
    .sgpr_count:     0
    .sgpr_spill_count: 0
    .symbol:         _ZN7rocprim17ROCPRIM_400000_NS6detail17trampoline_kernelINS0_14default_configENS1_21merge_config_selectorINS0_5tupleIJssEEENS0_10empty_typeEEEZNS1_10merge_implIS3_NS0_12zip_iteratorINS5_IJN6thrust23THRUST_200600_302600_NS6detail15normal_iteratorINSC_10device_ptrIKsEEEESI_EEEEESK_NSA_INS5_IJNSE_INSF_IsEEEESM_EEEEEPS7_SP_SP_NSC_11hip_rocprim7__merge17predicate_wrapperIssNSC_4lessIsEEEEEE10hipError_tPvRmT0_T1_T2_T3_T4_T5_mmT6_P12ihipStream_tbEUlT_E_NS1_11comp_targetILNS1_3genE3ELNS1_11target_archE908ELNS1_3gpuE7ELNS1_3repE0EEENS1_30default_config_static_selectorELNS0_4arch9wavefront6targetE0EEEvS10_.kd
    .uniform_work_group_size: 1
    .uses_dynamic_stack: false
    .vgpr_count:     0
    .vgpr_spill_count: 0
    .wavefront_size: 32
  - .args:
      - .offset:         0
        .size:           64
        .value_kind:     by_value
    .group_segment_fixed_size: 0
    .kernarg_segment_align: 8
    .kernarg_segment_size: 64
    .language:       OpenCL C
    .language_version:
      - 2
      - 0
    .max_flat_workgroup_size: 256
    .name:           _ZN7rocprim17ROCPRIM_400000_NS6detail17trampoline_kernelINS0_14default_configENS1_21merge_config_selectorINS0_5tupleIJssEEENS0_10empty_typeEEEZNS1_10merge_implIS3_NS0_12zip_iteratorINS5_IJN6thrust23THRUST_200600_302600_NS6detail15normal_iteratorINSC_10device_ptrIKsEEEESI_EEEEESK_NSA_INS5_IJNSE_INSF_IsEEEESM_EEEEEPS7_SP_SP_NSC_11hip_rocprim7__merge17predicate_wrapperIssNSC_4lessIsEEEEEE10hipError_tPvRmT0_T1_T2_T3_T4_T5_mmT6_P12ihipStream_tbEUlT_E_NS1_11comp_targetILNS1_3genE2ELNS1_11target_archE906ELNS1_3gpuE6ELNS1_3repE0EEENS1_30default_config_static_selectorELNS0_4arch9wavefront6targetE0EEEvS10_
    .private_segment_fixed_size: 0
    .sgpr_count:     0
    .sgpr_spill_count: 0
    .symbol:         _ZN7rocprim17ROCPRIM_400000_NS6detail17trampoline_kernelINS0_14default_configENS1_21merge_config_selectorINS0_5tupleIJssEEENS0_10empty_typeEEEZNS1_10merge_implIS3_NS0_12zip_iteratorINS5_IJN6thrust23THRUST_200600_302600_NS6detail15normal_iteratorINSC_10device_ptrIKsEEEESI_EEEEESK_NSA_INS5_IJNSE_INSF_IsEEEESM_EEEEEPS7_SP_SP_NSC_11hip_rocprim7__merge17predicate_wrapperIssNSC_4lessIsEEEEEE10hipError_tPvRmT0_T1_T2_T3_T4_T5_mmT6_P12ihipStream_tbEUlT_E_NS1_11comp_targetILNS1_3genE2ELNS1_11target_archE906ELNS1_3gpuE6ELNS1_3repE0EEENS1_30default_config_static_selectorELNS0_4arch9wavefront6targetE0EEEvS10_.kd
    .uniform_work_group_size: 1
    .uses_dynamic_stack: false
    .vgpr_count:     0
    .vgpr_spill_count: 0
    .wavefront_size: 32
  - .args:
      - .offset:         0
        .size:           64
        .value_kind:     by_value
    .group_segment_fixed_size: 0
    .kernarg_segment_align: 8
    .kernarg_segment_size: 64
    .language:       OpenCL C
    .language_version:
      - 2
      - 0
    .max_flat_workgroup_size: 1024
    .name:           _ZN7rocprim17ROCPRIM_400000_NS6detail17trampoline_kernelINS0_14default_configENS1_21merge_config_selectorINS0_5tupleIJssEEENS0_10empty_typeEEEZNS1_10merge_implIS3_NS0_12zip_iteratorINS5_IJN6thrust23THRUST_200600_302600_NS6detail15normal_iteratorINSC_10device_ptrIKsEEEESI_EEEEESK_NSA_INS5_IJNSE_INSF_IsEEEESM_EEEEEPS7_SP_SP_NSC_11hip_rocprim7__merge17predicate_wrapperIssNSC_4lessIsEEEEEE10hipError_tPvRmT0_T1_T2_T3_T4_T5_mmT6_P12ihipStream_tbEUlT_E_NS1_11comp_targetILNS1_3genE10ELNS1_11target_archE1201ELNS1_3gpuE5ELNS1_3repE0EEENS1_30default_config_static_selectorELNS0_4arch9wavefront6targetE0EEEvS10_
    .private_segment_fixed_size: 0
    .sgpr_count:     0
    .sgpr_spill_count: 0
    .symbol:         _ZN7rocprim17ROCPRIM_400000_NS6detail17trampoline_kernelINS0_14default_configENS1_21merge_config_selectorINS0_5tupleIJssEEENS0_10empty_typeEEEZNS1_10merge_implIS3_NS0_12zip_iteratorINS5_IJN6thrust23THRUST_200600_302600_NS6detail15normal_iteratorINSC_10device_ptrIKsEEEESI_EEEEESK_NSA_INS5_IJNSE_INSF_IsEEEESM_EEEEEPS7_SP_SP_NSC_11hip_rocprim7__merge17predicate_wrapperIssNSC_4lessIsEEEEEE10hipError_tPvRmT0_T1_T2_T3_T4_T5_mmT6_P12ihipStream_tbEUlT_E_NS1_11comp_targetILNS1_3genE10ELNS1_11target_archE1201ELNS1_3gpuE5ELNS1_3repE0EEENS1_30default_config_static_selectorELNS0_4arch9wavefront6targetE0EEEvS10_.kd
    .uniform_work_group_size: 1
    .uses_dynamic_stack: false
    .vgpr_count:     0
    .vgpr_spill_count: 0
    .wavefront_size: 32
  - .args:
      - .offset:         0
        .size:           64
        .value_kind:     by_value
    .group_segment_fixed_size: 0
    .kernarg_segment_align: 8
    .kernarg_segment_size: 64
    .language:       OpenCL C
    .language_version:
      - 2
      - 0
    .max_flat_workgroup_size: 1024
    .name:           _ZN7rocprim17ROCPRIM_400000_NS6detail17trampoline_kernelINS0_14default_configENS1_21merge_config_selectorINS0_5tupleIJssEEENS0_10empty_typeEEEZNS1_10merge_implIS3_NS0_12zip_iteratorINS5_IJN6thrust23THRUST_200600_302600_NS6detail15normal_iteratorINSC_10device_ptrIKsEEEESI_EEEEESK_NSA_INS5_IJNSE_INSF_IsEEEESM_EEEEEPS7_SP_SP_NSC_11hip_rocprim7__merge17predicate_wrapperIssNSC_4lessIsEEEEEE10hipError_tPvRmT0_T1_T2_T3_T4_T5_mmT6_P12ihipStream_tbEUlT_E_NS1_11comp_targetILNS1_3genE10ELNS1_11target_archE1200ELNS1_3gpuE4ELNS1_3repE0EEENS1_30default_config_static_selectorELNS0_4arch9wavefront6targetE0EEEvS10_
    .private_segment_fixed_size: 0
    .sgpr_count:     0
    .sgpr_spill_count: 0
    .symbol:         _ZN7rocprim17ROCPRIM_400000_NS6detail17trampoline_kernelINS0_14default_configENS1_21merge_config_selectorINS0_5tupleIJssEEENS0_10empty_typeEEEZNS1_10merge_implIS3_NS0_12zip_iteratorINS5_IJN6thrust23THRUST_200600_302600_NS6detail15normal_iteratorINSC_10device_ptrIKsEEEESI_EEEEESK_NSA_INS5_IJNSE_INSF_IsEEEESM_EEEEEPS7_SP_SP_NSC_11hip_rocprim7__merge17predicate_wrapperIssNSC_4lessIsEEEEEE10hipError_tPvRmT0_T1_T2_T3_T4_T5_mmT6_P12ihipStream_tbEUlT_E_NS1_11comp_targetILNS1_3genE10ELNS1_11target_archE1200ELNS1_3gpuE4ELNS1_3repE0EEENS1_30default_config_static_selectorELNS0_4arch9wavefront6targetE0EEEvS10_.kd
    .uniform_work_group_size: 1
    .uses_dynamic_stack: false
    .vgpr_count:     0
    .vgpr_spill_count: 0
    .wavefront_size: 32
  - .args:
      - .offset:         0
        .size:           64
        .value_kind:     by_value
    .group_segment_fixed_size: 0
    .kernarg_segment_align: 8
    .kernarg_segment_size: 64
    .language:       OpenCL C
    .language_version:
      - 2
      - 0
    .max_flat_workgroup_size: 1024
    .name:           _ZN7rocprim17ROCPRIM_400000_NS6detail17trampoline_kernelINS0_14default_configENS1_21merge_config_selectorINS0_5tupleIJssEEENS0_10empty_typeEEEZNS1_10merge_implIS3_NS0_12zip_iteratorINS5_IJN6thrust23THRUST_200600_302600_NS6detail15normal_iteratorINSC_10device_ptrIKsEEEESI_EEEEESK_NSA_INS5_IJNSE_INSF_IsEEEESM_EEEEEPS7_SP_SP_NSC_11hip_rocprim7__merge17predicate_wrapperIssNSC_4lessIsEEEEEE10hipError_tPvRmT0_T1_T2_T3_T4_T5_mmT6_P12ihipStream_tbEUlT_E_NS1_11comp_targetILNS1_3genE9ELNS1_11target_archE1100ELNS1_3gpuE3ELNS1_3repE0EEENS1_30default_config_static_selectorELNS0_4arch9wavefront6targetE0EEEvS10_
    .private_segment_fixed_size: 0
    .sgpr_count:     0
    .sgpr_spill_count: 0
    .symbol:         _ZN7rocprim17ROCPRIM_400000_NS6detail17trampoline_kernelINS0_14default_configENS1_21merge_config_selectorINS0_5tupleIJssEEENS0_10empty_typeEEEZNS1_10merge_implIS3_NS0_12zip_iteratorINS5_IJN6thrust23THRUST_200600_302600_NS6detail15normal_iteratorINSC_10device_ptrIKsEEEESI_EEEEESK_NSA_INS5_IJNSE_INSF_IsEEEESM_EEEEEPS7_SP_SP_NSC_11hip_rocprim7__merge17predicate_wrapperIssNSC_4lessIsEEEEEE10hipError_tPvRmT0_T1_T2_T3_T4_T5_mmT6_P12ihipStream_tbEUlT_E_NS1_11comp_targetILNS1_3genE9ELNS1_11target_archE1100ELNS1_3gpuE3ELNS1_3repE0EEENS1_30default_config_static_selectorELNS0_4arch9wavefront6targetE0EEEvS10_.kd
    .uniform_work_group_size: 1
    .uses_dynamic_stack: false
    .vgpr_count:     0
    .vgpr_spill_count: 0
    .wavefront_size: 32
  - .args:
      - .offset:         0
        .size:           64
        .value_kind:     by_value
    .group_segment_fixed_size: 0
    .kernarg_segment_align: 8
    .kernarg_segment_size: 64
    .language:       OpenCL C
    .language_version:
      - 2
      - 0
    .max_flat_workgroup_size: 1024
    .name:           _ZN7rocprim17ROCPRIM_400000_NS6detail17trampoline_kernelINS0_14default_configENS1_21merge_config_selectorINS0_5tupleIJssEEENS0_10empty_typeEEEZNS1_10merge_implIS3_NS0_12zip_iteratorINS5_IJN6thrust23THRUST_200600_302600_NS6detail15normal_iteratorINSC_10device_ptrIKsEEEESI_EEEEESK_NSA_INS5_IJNSE_INSF_IsEEEESM_EEEEEPS7_SP_SP_NSC_11hip_rocprim7__merge17predicate_wrapperIssNSC_4lessIsEEEEEE10hipError_tPvRmT0_T1_T2_T3_T4_T5_mmT6_P12ihipStream_tbEUlT_E_NS1_11comp_targetILNS1_3genE8ELNS1_11target_archE1030ELNS1_3gpuE2ELNS1_3repE0EEENS1_30default_config_static_selectorELNS0_4arch9wavefront6targetE0EEEvS10_
    .private_segment_fixed_size: 0
    .sgpr_count:     0
    .sgpr_spill_count: 0
    .symbol:         _ZN7rocprim17ROCPRIM_400000_NS6detail17trampoline_kernelINS0_14default_configENS1_21merge_config_selectorINS0_5tupleIJssEEENS0_10empty_typeEEEZNS1_10merge_implIS3_NS0_12zip_iteratorINS5_IJN6thrust23THRUST_200600_302600_NS6detail15normal_iteratorINSC_10device_ptrIKsEEEESI_EEEEESK_NSA_INS5_IJNSE_INSF_IsEEEESM_EEEEEPS7_SP_SP_NSC_11hip_rocprim7__merge17predicate_wrapperIssNSC_4lessIsEEEEEE10hipError_tPvRmT0_T1_T2_T3_T4_T5_mmT6_P12ihipStream_tbEUlT_E_NS1_11comp_targetILNS1_3genE8ELNS1_11target_archE1030ELNS1_3gpuE2ELNS1_3repE0EEENS1_30default_config_static_selectorELNS0_4arch9wavefront6targetE0EEEvS10_.kd
    .uniform_work_group_size: 1
    .uses_dynamic_stack: false
    .vgpr_count:     0
    .vgpr_spill_count: 0
    .wavefront_size: 32
  - .args:
      - .offset:         0
        .size:           112
        .value_kind:     by_value
    .group_segment_fixed_size: 10256
    .kernarg_segment_align: 8
    .kernarg_segment_size: 112
    .language:       OpenCL C
    .language_version:
      - 2
      - 0
    .max_flat_workgroup_size: 256
    .name:           _ZN7rocprim17ROCPRIM_400000_NS6detail17trampoline_kernelINS0_14default_configENS1_21merge_config_selectorINS0_5tupleIJssEEENS0_10empty_typeEEEZNS1_10merge_implIS3_NS0_12zip_iteratorINS5_IJN6thrust23THRUST_200600_302600_NS6detail15normal_iteratorINSC_10device_ptrIKsEEEESI_EEEEESK_NSA_INS5_IJNSE_INSF_IsEEEESM_EEEEEPS7_SP_SP_NSC_11hip_rocprim7__merge17predicate_wrapperIssNSC_4lessIsEEEEEE10hipError_tPvRmT0_T1_T2_T3_T4_T5_mmT6_P12ihipStream_tbEUlT_E0_NS1_11comp_targetILNS1_3genE0ELNS1_11target_archE4294967295ELNS1_3gpuE0ELNS1_3repE0EEENS1_30default_config_static_selectorELNS0_4arch9wavefront6targetE0EEEvS10_
    .private_segment_fixed_size: 0
    .sgpr_count:     28
    .sgpr_spill_count: 0
    .symbol:         _ZN7rocprim17ROCPRIM_400000_NS6detail17trampoline_kernelINS0_14default_configENS1_21merge_config_selectorINS0_5tupleIJssEEENS0_10empty_typeEEEZNS1_10merge_implIS3_NS0_12zip_iteratorINS5_IJN6thrust23THRUST_200600_302600_NS6detail15normal_iteratorINSC_10device_ptrIKsEEEESI_EEEEESK_NSA_INS5_IJNSE_INSF_IsEEEESM_EEEEEPS7_SP_SP_NSC_11hip_rocprim7__merge17predicate_wrapperIssNSC_4lessIsEEEEEE10hipError_tPvRmT0_T1_T2_T3_T4_T5_mmT6_P12ihipStream_tbEUlT_E0_NS1_11comp_targetILNS1_3genE0ELNS1_11target_archE4294967295ELNS1_3gpuE0ELNS1_3repE0EEENS1_30default_config_static_selectorELNS0_4arch9wavefront6targetE0EEEvS10_.kd
    .uniform_work_group_size: 1
    .uses_dynamic_stack: false
    .vgpr_count:     43
    .vgpr_spill_count: 0
    .wavefront_size: 32
  - .args:
      - .offset:         0
        .size:           112
        .value_kind:     by_value
    .group_segment_fixed_size: 0
    .kernarg_segment_align: 8
    .kernarg_segment_size: 112
    .language:       OpenCL C
    .language_version:
      - 2
      - 0
    .max_flat_workgroup_size: 256
    .name:           _ZN7rocprim17ROCPRIM_400000_NS6detail17trampoline_kernelINS0_14default_configENS1_21merge_config_selectorINS0_5tupleIJssEEENS0_10empty_typeEEEZNS1_10merge_implIS3_NS0_12zip_iteratorINS5_IJN6thrust23THRUST_200600_302600_NS6detail15normal_iteratorINSC_10device_ptrIKsEEEESI_EEEEESK_NSA_INS5_IJNSE_INSF_IsEEEESM_EEEEEPS7_SP_SP_NSC_11hip_rocprim7__merge17predicate_wrapperIssNSC_4lessIsEEEEEE10hipError_tPvRmT0_T1_T2_T3_T4_T5_mmT6_P12ihipStream_tbEUlT_E0_NS1_11comp_targetILNS1_3genE5ELNS1_11target_archE942ELNS1_3gpuE9ELNS1_3repE0EEENS1_30default_config_static_selectorELNS0_4arch9wavefront6targetE0EEEvS10_
    .private_segment_fixed_size: 0
    .sgpr_count:     0
    .sgpr_spill_count: 0
    .symbol:         _ZN7rocprim17ROCPRIM_400000_NS6detail17trampoline_kernelINS0_14default_configENS1_21merge_config_selectorINS0_5tupleIJssEEENS0_10empty_typeEEEZNS1_10merge_implIS3_NS0_12zip_iteratorINS5_IJN6thrust23THRUST_200600_302600_NS6detail15normal_iteratorINSC_10device_ptrIKsEEEESI_EEEEESK_NSA_INS5_IJNSE_INSF_IsEEEESM_EEEEEPS7_SP_SP_NSC_11hip_rocprim7__merge17predicate_wrapperIssNSC_4lessIsEEEEEE10hipError_tPvRmT0_T1_T2_T3_T4_T5_mmT6_P12ihipStream_tbEUlT_E0_NS1_11comp_targetILNS1_3genE5ELNS1_11target_archE942ELNS1_3gpuE9ELNS1_3repE0EEENS1_30default_config_static_selectorELNS0_4arch9wavefront6targetE0EEEvS10_.kd
    .uniform_work_group_size: 1
    .uses_dynamic_stack: false
    .vgpr_count:     0
    .vgpr_spill_count: 0
    .wavefront_size: 32
  - .args:
      - .offset:         0
        .size:           112
        .value_kind:     by_value
    .group_segment_fixed_size: 0
    .kernarg_segment_align: 8
    .kernarg_segment_size: 112
    .language:       OpenCL C
    .language_version:
      - 2
      - 0
    .max_flat_workgroup_size: 256
    .name:           _ZN7rocprim17ROCPRIM_400000_NS6detail17trampoline_kernelINS0_14default_configENS1_21merge_config_selectorINS0_5tupleIJssEEENS0_10empty_typeEEEZNS1_10merge_implIS3_NS0_12zip_iteratorINS5_IJN6thrust23THRUST_200600_302600_NS6detail15normal_iteratorINSC_10device_ptrIKsEEEESI_EEEEESK_NSA_INS5_IJNSE_INSF_IsEEEESM_EEEEEPS7_SP_SP_NSC_11hip_rocprim7__merge17predicate_wrapperIssNSC_4lessIsEEEEEE10hipError_tPvRmT0_T1_T2_T3_T4_T5_mmT6_P12ihipStream_tbEUlT_E0_NS1_11comp_targetILNS1_3genE4ELNS1_11target_archE910ELNS1_3gpuE8ELNS1_3repE0EEENS1_30default_config_static_selectorELNS0_4arch9wavefront6targetE0EEEvS10_
    .private_segment_fixed_size: 0
    .sgpr_count:     0
    .sgpr_spill_count: 0
    .symbol:         _ZN7rocprim17ROCPRIM_400000_NS6detail17trampoline_kernelINS0_14default_configENS1_21merge_config_selectorINS0_5tupleIJssEEENS0_10empty_typeEEEZNS1_10merge_implIS3_NS0_12zip_iteratorINS5_IJN6thrust23THRUST_200600_302600_NS6detail15normal_iteratorINSC_10device_ptrIKsEEEESI_EEEEESK_NSA_INS5_IJNSE_INSF_IsEEEESM_EEEEEPS7_SP_SP_NSC_11hip_rocprim7__merge17predicate_wrapperIssNSC_4lessIsEEEEEE10hipError_tPvRmT0_T1_T2_T3_T4_T5_mmT6_P12ihipStream_tbEUlT_E0_NS1_11comp_targetILNS1_3genE4ELNS1_11target_archE910ELNS1_3gpuE8ELNS1_3repE0EEENS1_30default_config_static_selectorELNS0_4arch9wavefront6targetE0EEEvS10_.kd
    .uniform_work_group_size: 1
    .uses_dynamic_stack: false
    .vgpr_count:     0
    .vgpr_spill_count: 0
    .wavefront_size: 32
  - .args:
      - .offset:         0
        .size:           112
        .value_kind:     by_value
    .group_segment_fixed_size: 0
    .kernarg_segment_align: 8
    .kernarg_segment_size: 112
    .language:       OpenCL C
    .language_version:
      - 2
      - 0
    .max_flat_workgroup_size: 256
    .name:           _ZN7rocprim17ROCPRIM_400000_NS6detail17trampoline_kernelINS0_14default_configENS1_21merge_config_selectorINS0_5tupleIJssEEENS0_10empty_typeEEEZNS1_10merge_implIS3_NS0_12zip_iteratorINS5_IJN6thrust23THRUST_200600_302600_NS6detail15normal_iteratorINSC_10device_ptrIKsEEEESI_EEEEESK_NSA_INS5_IJNSE_INSF_IsEEEESM_EEEEEPS7_SP_SP_NSC_11hip_rocprim7__merge17predicate_wrapperIssNSC_4lessIsEEEEEE10hipError_tPvRmT0_T1_T2_T3_T4_T5_mmT6_P12ihipStream_tbEUlT_E0_NS1_11comp_targetILNS1_3genE3ELNS1_11target_archE908ELNS1_3gpuE7ELNS1_3repE0EEENS1_30default_config_static_selectorELNS0_4arch9wavefront6targetE0EEEvS10_
    .private_segment_fixed_size: 0
    .sgpr_count:     0
    .sgpr_spill_count: 0
    .symbol:         _ZN7rocprim17ROCPRIM_400000_NS6detail17trampoline_kernelINS0_14default_configENS1_21merge_config_selectorINS0_5tupleIJssEEENS0_10empty_typeEEEZNS1_10merge_implIS3_NS0_12zip_iteratorINS5_IJN6thrust23THRUST_200600_302600_NS6detail15normal_iteratorINSC_10device_ptrIKsEEEESI_EEEEESK_NSA_INS5_IJNSE_INSF_IsEEEESM_EEEEEPS7_SP_SP_NSC_11hip_rocprim7__merge17predicate_wrapperIssNSC_4lessIsEEEEEE10hipError_tPvRmT0_T1_T2_T3_T4_T5_mmT6_P12ihipStream_tbEUlT_E0_NS1_11comp_targetILNS1_3genE3ELNS1_11target_archE908ELNS1_3gpuE7ELNS1_3repE0EEENS1_30default_config_static_selectorELNS0_4arch9wavefront6targetE0EEEvS10_.kd
    .uniform_work_group_size: 1
    .uses_dynamic_stack: false
    .vgpr_count:     0
    .vgpr_spill_count: 0
    .wavefront_size: 32
  - .args:
      - .offset:         0
        .size:           112
        .value_kind:     by_value
    .group_segment_fixed_size: 0
    .kernarg_segment_align: 8
    .kernarg_segment_size: 112
    .language:       OpenCL C
    .language_version:
      - 2
      - 0
    .max_flat_workgroup_size: 256
    .name:           _ZN7rocprim17ROCPRIM_400000_NS6detail17trampoline_kernelINS0_14default_configENS1_21merge_config_selectorINS0_5tupleIJssEEENS0_10empty_typeEEEZNS1_10merge_implIS3_NS0_12zip_iteratorINS5_IJN6thrust23THRUST_200600_302600_NS6detail15normal_iteratorINSC_10device_ptrIKsEEEESI_EEEEESK_NSA_INS5_IJNSE_INSF_IsEEEESM_EEEEEPS7_SP_SP_NSC_11hip_rocprim7__merge17predicate_wrapperIssNSC_4lessIsEEEEEE10hipError_tPvRmT0_T1_T2_T3_T4_T5_mmT6_P12ihipStream_tbEUlT_E0_NS1_11comp_targetILNS1_3genE2ELNS1_11target_archE906ELNS1_3gpuE6ELNS1_3repE0EEENS1_30default_config_static_selectorELNS0_4arch9wavefront6targetE0EEEvS10_
    .private_segment_fixed_size: 0
    .sgpr_count:     0
    .sgpr_spill_count: 0
    .symbol:         _ZN7rocprim17ROCPRIM_400000_NS6detail17trampoline_kernelINS0_14default_configENS1_21merge_config_selectorINS0_5tupleIJssEEENS0_10empty_typeEEEZNS1_10merge_implIS3_NS0_12zip_iteratorINS5_IJN6thrust23THRUST_200600_302600_NS6detail15normal_iteratorINSC_10device_ptrIKsEEEESI_EEEEESK_NSA_INS5_IJNSE_INSF_IsEEEESM_EEEEEPS7_SP_SP_NSC_11hip_rocprim7__merge17predicate_wrapperIssNSC_4lessIsEEEEEE10hipError_tPvRmT0_T1_T2_T3_T4_T5_mmT6_P12ihipStream_tbEUlT_E0_NS1_11comp_targetILNS1_3genE2ELNS1_11target_archE906ELNS1_3gpuE6ELNS1_3repE0EEENS1_30default_config_static_selectorELNS0_4arch9wavefront6targetE0EEEvS10_.kd
    .uniform_work_group_size: 1
    .uses_dynamic_stack: false
    .vgpr_count:     0
    .vgpr_spill_count: 0
    .wavefront_size: 32
  - .args:
      - .offset:         0
        .size:           112
        .value_kind:     by_value
    .group_segment_fixed_size: 0
    .kernarg_segment_align: 8
    .kernarg_segment_size: 112
    .language:       OpenCL C
    .language_version:
      - 2
      - 0
    .max_flat_workgroup_size: 1024
    .name:           _ZN7rocprim17ROCPRIM_400000_NS6detail17trampoline_kernelINS0_14default_configENS1_21merge_config_selectorINS0_5tupleIJssEEENS0_10empty_typeEEEZNS1_10merge_implIS3_NS0_12zip_iteratorINS5_IJN6thrust23THRUST_200600_302600_NS6detail15normal_iteratorINSC_10device_ptrIKsEEEESI_EEEEESK_NSA_INS5_IJNSE_INSF_IsEEEESM_EEEEEPS7_SP_SP_NSC_11hip_rocprim7__merge17predicate_wrapperIssNSC_4lessIsEEEEEE10hipError_tPvRmT0_T1_T2_T3_T4_T5_mmT6_P12ihipStream_tbEUlT_E0_NS1_11comp_targetILNS1_3genE10ELNS1_11target_archE1201ELNS1_3gpuE5ELNS1_3repE0EEENS1_30default_config_static_selectorELNS0_4arch9wavefront6targetE0EEEvS10_
    .private_segment_fixed_size: 0
    .sgpr_count:     0
    .sgpr_spill_count: 0
    .symbol:         _ZN7rocprim17ROCPRIM_400000_NS6detail17trampoline_kernelINS0_14default_configENS1_21merge_config_selectorINS0_5tupleIJssEEENS0_10empty_typeEEEZNS1_10merge_implIS3_NS0_12zip_iteratorINS5_IJN6thrust23THRUST_200600_302600_NS6detail15normal_iteratorINSC_10device_ptrIKsEEEESI_EEEEESK_NSA_INS5_IJNSE_INSF_IsEEEESM_EEEEEPS7_SP_SP_NSC_11hip_rocprim7__merge17predicate_wrapperIssNSC_4lessIsEEEEEE10hipError_tPvRmT0_T1_T2_T3_T4_T5_mmT6_P12ihipStream_tbEUlT_E0_NS1_11comp_targetILNS1_3genE10ELNS1_11target_archE1201ELNS1_3gpuE5ELNS1_3repE0EEENS1_30default_config_static_selectorELNS0_4arch9wavefront6targetE0EEEvS10_.kd
    .uniform_work_group_size: 1
    .uses_dynamic_stack: false
    .vgpr_count:     0
    .vgpr_spill_count: 0
    .wavefront_size: 32
  - .args:
      - .offset:         0
        .size:           112
        .value_kind:     by_value
    .group_segment_fixed_size: 0
    .kernarg_segment_align: 8
    .kernarg_segment_size: 112
    .language:       OpenCL C
    .language_version:
      - 2
      - 0
    .max_flat_workgroup_size: 1024
    .name:           _ZN7rocprim17ROCPRIM_400000_NS6detail17trampoline_kernelINS0_14default_configENS1_21merge_config_selectorINS0_5tupleIJssEEENS0_10empty_typeEEEZNS1_10merge_implIS3_NS0_12zip_iteratorINS5_IJN6thrust23THRUST_200600_302600_NS6detail15normal_iteratorINSC_10device_ptrIKsEEEESI_EEEEESK_NSA_INS5_IJNSE_INSF_IsEEEESM_EEEEEPS7_SP_SP_NSC_11hip_rocprim7__merge17predicate_wrapperIssNSC_4lessIsEEEEEE10hipError_tPvRmT0_T1_T2_T3_T4_T5_mmT6_P12ihipStream_tbEUlT_E0_NS1_11comp_targetILNS1_3genE10ELNS1_11target_archE1200ELNS1_3gpuE4ELNS1_3repE0EEENS1_30default_config_static_selectorELNS0_4arch9wavefront6targetE0EEEvS10_
    .private_segment_fixed_size: 0
    .sgpr_count:     0
    .sgpr_spill_count: 0
    .symbol:         _ZN7rocprim17ROCPRIM_400000_NS6detail17trampoline_kernelINS0_14default_configENS1_21merge_config_selectorINS0_5tupleIJssEEENS0_10empty_typeEEEZNS1_10merge_implIS3_NS0_12zip_iteratorINS5_IJN6thrust23THRUST_200600_302600_NS6detail15normal_iteratorINSC_10device_ptrIKsEEEESI_EEEEESK_NSA_INS5_IJNSE_INSF_IsEEEESM_EEEEEPS7_SP_SP_NSC_11hip_rocprim7__merge17predicate_wrapperIssNSC_4lessIsEEEEEE10hipError_tPvRmT0_T1_T2_T3_T4_T5_mmT6_P12ihipStream_tbEUlT_E0_NS1_11comp_targetILNS1_3genE10ELNS1_11target_archE1200ELNS1_3gpuE4ELNS1_3repE0EEENS1_30default_config_static_selectorELNS0_4arch9wavefront6targetE0EEEvS10_.kd
    .uniform_work_group_size: 1
    .uses_dynamic_stack: false
    .vgpr_count:     0
    .vgpr_spill_count: 0
    .wavefront_size: 32
  - .args:
      - .offset:         0
        .size:           112
        .value_kind:     by_value
    .group_segment_fixed_size: 0
    .kernarg_segment_align: 8
    .kernarg_segment_size: 112
    .language:       OpenCL C
    .language_version:
      - 2
      - 0
    .max_flat_workgroup_size: 1024
    .name:           _ZN7rocprim17ROCPRIM_400000_NS6detail17trampoline_kernelINS0_14default_configENS1_21merge_config_selectorINS0_5tupleIJssEEENS0_10empty_typeEEEZNS1_10merge_implIS3_NS0_12zip_iteratorINS5_IJN6thrust23THRUST_200600_302600_NS6detail15normal_iteratorINSC_10device_ptrIKsEEEESI_EEEEESK_NSA_INS5_IJNSE_INSF_IsEEEESM_EEEEEPS7_SP_SP_NSC_11hip_rocprim7__merge17predicate_wrapperIssNSC_4lessIsEEEEEE10hipError_tPvRmT0_T1_T2_T3_T4_T5_mmT6_P12ihipStream_tbEUlT_E0_NS1_11comp_targetILNS1_3genE9ELNS1_11target_archE1100ELNS1_3gpuE3ELNS1_3repE0EEENS1_30default_config_static_selectorELNS0_4arch9wavefront6targetE0EEEvS10_
    .private_segment_fixed_size: 0
    .sgpr_count:     0
    .sgpr_spill_count: 0
    .symbol:         _ZN7rocprim17ROCPRIM_400000_NS6detail17trampoline_kernelINS0_14default_configENS1_21merge_config_selectorINS0_5tupleIJssEEENS0_10empty_typeEEEZNS1_10merge_implIS3_NS0_12zip_iteratorINS5_IJN6thrust23THRUST_200600_302600_NS6detail15normal_iteratorINSC_10device_ptrIKsEEEESI_EEEEESK_NSA_INS5_IJNSE_INSF_IsEEEESM_EEEEEPS7_SP_SP_NSC_11hip_rocprim7__merge17predicate_wrapperIssNSC_4lessIsEEEEEE10hipError_tPvRmT0_T1_T2_T3_T4_T5_mmT6_P12ihipStream_tbEUlT_E0_NS1_11comp_targetILNS1_3genE9ELNS1_11target_archE1100ELNS1_3gpuE3ELNS1_3repE0EEENS1_30default_config_static_selectorELNS0_4arch9wavefront6targetE0EEEvS10_.kd
    .uniform_work_group_size: 1
    .uses_dynamic_stack: false
    .vgpr_count:     0
    .vgpr_spill_count: 0
    .wavefront_size: 32
  - .args:
      - .offset:         0
        .size:           112
        .value_kind:     by_value
    .group_segment_fixed_size: 0
    .kernarg_segment_align: 8
    .kernarg_segment_size: 112
    .language:       OpenCL C
    .language_version:
      - 2
      - 0
    .max_flat_workgroup_size: 1024
    .name:           _ZN7rocprim17ROCPRIM_400000_NS6detail17trampoline_kernelINS0_14default_configENS1_21merge_config_selectorINS0_5tupleIJssEEENS0_10empty_typeEEEZNS1_10merge_implIS3_NS0_12zip_iteratorINS5_IJN6thrust23THRUST_200600_302600_NS6detail15normal_iteratorINSC_10device_ptrIKsEEEESI_EEEEESK_NSA_INS5_IJNSE_INSF_IsEEEESM_EEEEEPS7_SP_SP_NSC_11hip_rocprim7__merge17predicate_wrapperIssNSC_4lessIsEEEEEE10hipError_tPvRmT0_T1_T2_T3_T4_T5_mmT6_P12ihipStream_tbEUlT_E0_NS1_11comp_targetILNS1_3genE8ELNS1_11target_archE1030ELNS1_3gpuE2ELNS1_3repE0EEENS1_30default_config_static_selectorELNS0_4arch9wavefront6targetE0EEEvS10_
    .private_segment_fixed_size: 0
    .sgpr_count:     0
    .sgpr_spill_count: 0
    .symbol:         _ZN7rocprim17ROCPRIM_400000_NS6detail17trampoline_kernelINS0_14default_configENS1_21merge_config_selectorINS0_5tupleIJssEEENS0_10empty_typeEEEZNS1_10merge_implIS3_NS0_12zip_iteratorINS5_IJN6thrust23THRUST_200600_302600_NS6detail15normal_iteratorINSC_10device_ptrIKsEEEESI_EEEEESK_NSA_INS5_IJNSE_INSF_IsEEEESM_EEEEEPS7_SP_SP_NSC_11hip_rocprim7__merge17predicate_wrapperIssNSC_4lessIsEEEEEE10hipError_tPvRmT0_T1_T2_T3_T4_T5_mmT6_P12ihipStream_tbEUlT_E0_NS1_11comp_targetILNS1_3genE8ELNS1_11target_archE1030ELNS1_3gpuE2ELNS1_3repE0EEENS1_30default_config_static_selectorELNS0_4arch9wavefront6targetE0EEEvS10_.kd
    .uniform_work_group_size: 1
    .uses_dynamic_stack: false
    .vgpr_count:     0
    .vgpr_spill_count: 0
    .wavefront_size: 32
  - .args:
      - .offset:         0
        .size:           104
        .value_kind:     by_value
    .group_segment_fixed_size: 128
    .kernarg_segment_align: 8
    .kernarg_segment_size: 104
    .language:       OpenCL C
    .language_version:
      - 2
      - 0
    .max_flat_workgroup_size: 128
    .name:           _ZN7rocprim17ROCPRIM_400000_NS6detail17trampoline_kernelINS0_14default_configENS1_22reduce_config_selectorIN6thrust23THRUST_200600_302600_NS5tupleIblNS6_9null_typeES8_S8_S8_S8_S8_S8_S8_EEEEZNS1_11reduce_implILb1ES3_NS6_12zip_iteratorINS7_INS6_11hip_rocprim26transform_input_iterator_tIbNSD_35transform_pair_of_input_iterators_tIbNS6_6detail15normal_iteratorINS6_10device_ptrIKsEEEESL_NS6_8equal_toIsEEEENSG_9not_fun_tINSD_8identityEEEEENSD_19counting_iterator_tIlEES8_S8_S8_S8_S8_S8_S8_S8_EEEEPS9_S9_NSD_9__find_if7functorIS9_EEEE10hipError_tPvRmT1_T2_T3_mT4_P12ihipStream_tbEUlT_E0_NS1_11comp_targetILNS1_3genE0ELNS1_11target_archE4294967295ELNS1_3gpuE0ELNS1_3repE0EEENS1_30default_config_static_selectorELNS0_4arch9wavefront6targetE0EEEvS14_
    .private_segment_fixed_size: 0
    .sgpr_count:     30
    .sgpr_spill_count: 0
    .symbol:         _ZN7rocprim17ROCPRIM_400000_NS6detail17trampoline_kernelINS0_14default_configENS1_22reduce_config_selectorIN6thrust23THRUST_200600_302600_NS5tupleIblNS6_9null_typeES8_S8_S8_S8_S8_S8_S8_EEEEZNS1_11reduce_implILb1ES3_NS6_12zip_iteratorINS7_INS6_11hip_rocprim26transform_input_iterator_tIbNSD_35transform_pair_of_input_iterators_tIbNS6_6detail15normal_iteratorINS6_10device_ptrIKsEEEESL_NS6_8equal_toIsEEEENSG_9not_fun_tINSD_8identityEEEEENSD_19counting_iterator_tIlEES8_S8_S8_S8_S8_S8_S8_S8_EEEEPS9_S9_NSD_9__find_if7functorIS9_EEEE10hipError_tPvRmT1_T2_T3_mT4_P12ihipStream_tbEUlT_E0_NS1_11comp_targetILNS1_3genE0ELNS1_11target_archE4294967295ELNS1_3gpuE0ELNS1_3repE0EEENS1_30default_config_static_selectorELNS0_4arch9wavefront6targetE0EEEvS14_.kd
    .uniform_work_group_size: 1
    .uses_dynamic_stack: false
    .vgpr_count:     14
    .vgpr_spill_count: 0
    .wavefront_size: 32
  - .args:
      - .offset:         0
        .size:           104
        .value_kind:     by_value
    .group_segment_fixed_size: 0
    .kernarg_segment_align: 8
    .kernarg_segment_size: 104
    .language:       OpenCL C
    .language_version:
      - 2
      - 0
    .max_flat_workgroup_size: 256
    .name:           _ZN7rocprim17ROCPRIM_400000_NS6detail17trampoline_kernelINS0_14default_configENS1_22reduce_config_selectorIN6thrust23THRUST_200600_302600_NS5tupleIblNS6_9null_typeES8_S8_S8_S8_S8_S8_S8_EEEEZNS1_11reduce_implILb1ES3_NS6_12zip_iteratorINS7_INS6_11hip_rocprim26transform_input_iterator_tIbNSD_35transform_pair_of_input_iterators_tIbNS6_6detail15normal_iteratorINS6_10device_ptrIKsEEEESL_NS6_8equal_toIsEEEENSG_9not_fun_tINSD_8identityEEEEENSD_19counting_iterator_tIlEES8_S8_S8_S8_S8_S8_S8_S8_EEEEPS9_S9_NSD_9__find_if7functorIS9_EEEE10hipError_tPvRmT1_T2_T3_mT4_P12ihipStream_tbEUlT_E0_NS1_11comp_targetILNS1_3genE5ELNS1_11target_archE942ELNS1_3gpuE9ELNS1_3repE0EEENS1_30default_config_static_selectorELNS0_4arch9wavefront6targetE0EEEvS14_
    .private_segment_fixed_size: 0
    .sgpr_count:     0
    .sgpr_spill_count: 0
    .symbol:         _ZN7rocprim17ROCPRIM_400000_NS6detail17trampoline_kernelINS0_14default_configENS1_22reduce_config_selectorIN6thrust23THRUST_200600_302600_NS5tupleIblNS6_9null_typeES8_S8_S8_S8_S8_S8_S8_EEEEZNS1_11reduce_implILb1ES3_NS6_12zip_iteratorINS7_INS6_11hip_rocprim26transform_input_iterator_tIbNSD_35transform_pair_of_input_iterators_tIbNS6_6detail15normal_iteratorINS6_10device_ptrIKsEEEESL_NS6_8equal_toIsEEEENSG_9not_fun_tINSD_8identityEEEEENSD_19counting_iterator_tIlEES8_S8_S8_S8_S8_S8_S8_S8_EEEEPS9_S9_NSD_9__find_if7functorIS9_EEEE10hipError_tPvRmT1_T2_T3_mT4_P12ihipStream_tbEUlT_E0_NS1_11comp_targetILNS1_3genE5ELNS1_11target_archE942ELNS1_3gpuE9ELNS1_3repE0EEENS1_30default_config_static_selectorELNS0_4arch9wavefront6targetE0EEEvS14_.kd
    .uniform_work_group_size: 1
    .uses_dynamic_stack: false
    .vgpr_count:     0
    .vgpr_spill_count: 0
    .wavefront_size: 32
  - .args:
      - .offset:         0
        .size:           104
        .value_kind:     by_value
    .group_segment_fixed_size: 0
    .kernarg_segment_align: 8
    .kernarg_segment_size: 104
    .language:       OpenCL C
    .language_version:
      - 2
      - 0
    .max_flat_workgroup_size: 256
    .name:           _ZN7rocprim17ROCPRIM_400000_NS6detail17trampoline_kernelINS0_14default_configENS1_22reduce_config_selectorIN6thrust23THRUST_200600_302600_NS5tupleIblNS6_9null_typeES8_S8_S8_S8_S8_S8_S8_EEEEZNS1_11reduce_implILb1ES3_NS6_12zip_iteratorINS7_INS6_11hip_rocprim26transform_input_iterator_tIbNSD_35transform_pair_of_input_iterators_tIbNS6_6detail15normal_iteratorINS6_10device_ptrIKsEEEESL_NS6_8equal_toIsEEEENSG_9not_fun_tINSD_8identityEEEEENSD_19counting_iterator_tIlEES8_S8_S8_S8_S8_S8_S8_S8_EEEEPS9_S9_NSD_9__find_if7functorIS9_EEEE10hipError_tPvRmT1_T2_T3_mT4_P12ihipStream_tbEUlT_E0_NS1_11comp_targetILNS1_3genE4ELNS1_11target_archE910ELNS1_3gpuE8ELNS1_3repE0EEENS1_30default_config_static_selectorELNS0_4arch9wavefront6targetE0EEEvS14_
    .private_segment_fixed_size: 0
    .sgpr_count:     0
    .sgpr_spill_count: 0
    .symbol:         _ZN7rocprim17ROCPRIM_400000_NS6detail17trampoline_kernelINS0_14default_configENS1_22reduce_config_selectorIN6thrust23THRUST_200600_302600_NS5tupleIblNS6_9null_typeES8_S8_S8_S8_S8_S8_S8_EEEEZNS1_11reduce_implILb1ES3_NS6_12zip_iteratorINS7_INS6_11hip_rocprim26transform_input_iterator_tIbNSD_35transform_pair_of_input_iterators_tIbNS6_6detail15normal_iteratorINS6_10device_ptrIKsEEEESL_NS6_8equal_toIsEEEENSG_9not_fun_tINSD_8identityEEEEENSD_19counting_iterator_tIlEES8_S8_S8_S8_S8_S8_S8_S8_EEEEPS9_S9_NSD_9__find_if7functorIS9_EEEE10hipError_tPvRmT1_T2_T3_mT4_P12ihipStream_tbEUlT_E0_NS1_11comp_targetILNS1_3genE4ELNS1_11target_archE910ELNS1_3gpuE8ELNS1_3repE0EEENS1_30default_config_static_selectorELNS0_4arch9wavefront6targetE0EEEvS14_.kd
    .uniform_work_group_size: 1
    .uses_dynamic_stack: false
    .vgpr_count:     0
    .vgpr_spill_count: 0
    .wavefront_size: 32
  - .args:
      - .offset:         0
        .size:           104
        .value_kind:     by_value
    .group_segment_fixed_size: 0
    .kernarg_segment_align: 8
    .kernarg_segment_size: 104
    .language:       OpenCL C
    .language_version:
      - 2
      - 0
    .max_flat_workgroup_size: 128
    .name:           _ZN7rocprim17ROCPRIM_400000_NS6detail17trampoline_kernelINS0_14default_configENS1_22reduce_config_selectorIN6thrust23THRUST_200600_302600_NS5tupleIblNS6_9null_typeES8_S8_S8_S8_S8_S8_S8_EEEEZNS1_11reduce_implILb1ES3_NS6_12zip_iteratorINS7_INS6_11hip_rocprim26transform_input_iterator_tIbNSD_35transform_pair_of_input_iterators_tIbNS6_6detail15normal_iteratorINS6_10device_ptrIKsEEEESL_NS6_8equal_toIsEEEENSG_9not_fun_tINSD_8identityEEEEENSD_19counting_iterator_tIlEES8_S8_S8_S8_S8_S8_S8_S8_EEEEPS9_S9_NSD_9__find_if7functorIS9_EEEE10hipError_tPvRmT1_T2_T3_mT4_P12ihipStream_tbEUlT_E0_NS1_11comp_targetILNS1_3genE3ELNS1_11target_archE908ELNS1_3gpuE7ELNS1_3repE0EEENS1_30default_config_static_selectorELNS0_4arch9wavefront6targetE0EEEvS14_
    .private_segment_fixed_size: 0
    .sgpr_count:     0
    .sgpr_spill_count: 0
    .symbol:         _ZN7rocprim17ROCPRIM_400000_NS6detail17trampoline_kernelINS0_14default_configENS1_22reduce_config_selectorIN6thrust23THRUST_200600_302600_NS5tupleIblNS6_9null_typeES8_S8_S8_S8_S8_S8_S8_EEEEZNS1_11reduce_implILb1ES3_NS6_12zip_iteratorINS7_INS6_11hip_rocprim26transform_input_iterator_tIbNSD_35transform_pair_of_input_iterators_tIbNS6_6detail15normal_iteratorINS6_10device_ptrIKsEEEESL_NS6_8equal_toIsEEEENSG_9not_fun_tINSD_8identityEEEEENSD_19counting_iterator_tIlEES8_S8_S8_S8_S8_S8_S8_S8_EEEEPS9_S9_NSD_9__find_if7functorIS9_EEEE10hipError_tPvRmT1_T2_T3_mT4_P12ihipStream_tbEUlT_E0_NS1_11comp_targetILNS1_3genE3ELNS1_11target_archE908ELNS1_3gpuE7ELNS1_3repE0EEENS1_30default_config_static_selectorELNS0_4arch9wavefront6targetE0EEEvS14_.kd
    .uniform_work_group_size: 1
    .uses_dynamic_stack: false
    .vgpr_count:     0
    .vgpr_spill_count: 0
    .wavefront_size: 32
  - .args:
      - .offset:         0
        .size:           104
        .value_kind:     by_value
    .group_segment_fixed_size: 0
    .kernarg_segment_align: 8
    .kernarg_segment_size: 104
    .language:       OpenCL C
    .language_version:
      - 2
      - 0
    .max_flat_workgroup_size: 128
    .name:           _ZN7rocprim17ROCPRIM_400000_NS6detail17trampoline_kernelINS0_14default_configENS1_22reduce_config_selectorIN6thrust23THRUST_200600_302600_NS5tupleIblNS6_9null_typeES8_S8_S8_S8_S8_S8_S8_EEEEZNS1_11reduce_implILb1ES3_NS6_12zip_iteratorINS7_INS6_11hip_rocprim26transform_input_iterator_tIbNSD_35transform_pair_of_input_iterators_tIbNS6_6detail15normal_iteratorINS6_10device_ptrIKsEEEESL_NS6_8equal_toIsEEEENSG_9not_fun_tINSD_8identityEEEEENSD_19counting_iterator_tIlEES8_S8_S8_S8_S8_S8_S8_S8_EEEEPS9_S9_NSD_9__find_if7functorIS9_EEEE10hipError_tPvRmT1_T2_T3_mT4_P12ihipStream_tbEUlT_E0_NS1_11comp_targetILNS1_3genE2ELNS1_11target_archE906ELNS1_3gpuE6ELNS1_3repE0EEENS1_30default_config_static_selectorELNS0_4arch9wavefront6targetE0EEEvS14_
    .private_segment_fixed_size: 0
    .sgpr_count:     0
    .sgpr_spill_count: 0
    .symbol:         _ZN7rocprim17ROCPRIM_400000_NS6detail17trampoline_kernelINS0_14default_configENS1_22reduce_config_selectorIN6thrust23THRUST_200600_302600_NS5tupleIblNS6_9null_typeES8_S8_S8_S8_S8_S8_S8_EEEEZNS1_11reduce_implILb1ES3_NS6_12zip_iteratorINS7_INS6_11hip_rocprim26transform_input_iterator_tIbNSD_35transform_pair_of_input_iterators_tIbNS6_6detail15normal_iteratorINS6_10device_ptrIKsEEEESL_NS6_8equal_toIsEEEENSG_9not_fun_tINSD_8identityEEEEENSD_19counting_iterator_tIlEES8_S8_S8_S8_S8_S8_S8_S8_EEEEPS9_S9_NSD_9__find_if7functorIS9_EEEE10hipError_tPvRmT1_T2_T3_mT4_P12ihipStream_tbEUlT_E0_NS1_11comp_targetILNS1_3genE2ELNS1_11target_archE906ELNS1_3gpuE6ELNS1_3repE0EEENS1_30default_config_static_selectorELNS0_4arch9wavefront6targetE0EEEvS14_.kd
    .uniform_work_group_size: 1
    .uses_dynamic_stack: false
    .vgpr_count:     0
    .vgpr_spill_count: 0
    .wavefront_size: 32
  - .args:
      - .offset:         0
        .size:           104
        .value_kind:     by_value
    .group_segment_fixed_size: 0
    .kernarg_segment_align: 8
    .kernarg_segment_size: 104
    .language:       OpenCL C
    .language_version:
      - 2
      - 0
    .max_flat_workgroup_size: 256
    .name:           _ZN7rocprim17ROCPRIM_400000_NS6detail17trampoline_kernelINS0_14default_configENS1_22reduce_config_selectorIN6thrust23THRUST_200600_302600_NS5tupleIblNS6_9null_typeES8_S8_S8_S8_S8_S8_S8_EEEEZNS1_11reduce_implILb1ES3_NS6_12zip_iteratorINS7_INS6_11hip_rocprim26transform_input_iterator_tIbNSD_35transform_pair_of_input_iterators_tIbNS6_6detail15normal_iteratorINS6_10device_ptrIKsEEEESL_NS6_8equal_toIsEEEENSG_9not_fun_tINSD_8identityEEEEENSD_19counting_iterator_tIlEES8_S8_S8_S8_S8_S8_S8_S8_EEEEPS9_S9_NSD_9__find_if7functorIS9_EEEE10hipError_tPvRmT1_T2_T3_mT4_P12ihipStream_tbEUlT_E0_NS1_11comp_targetILNS1_3genE10ELNS1_11target_archE1201ELNS1_3gpuE5ELNS1_3repE0EEENS1_30default_config_static_selectorELNS0_4arch9wavefront6targetE0EEEvS14_
    .private_segment_fixed_size: 0
    .sgpr_count:     0
    .sgpr_spill_count: 0
    .symbol:         _ZN7rocprim17ROCPRIM_400000_NS6detail17trampoline_kernelINS0_14default_configENS1_22reduce_config_selectorIN6thrust23THRUST_200600_302600_NS5tupleIblNS6_9null_typeES8_S8_S8_S8_S8_S8_S8_EEEEZNS1_11reduce_implILb1ES3_NS6_12zip_iteratorINS7_INS6_11hip_rocprim26transform_input_iterator_tIbNSD_35transform_pair_of_input_iterators_tIbNS6_6detail15normal_iteratorINS6_10device_ptrIKsEEEESL_NS6_8equal_toIsEEEENSG_9not_fun_tINSD_8identityEEEEENSD_19counting_iterator_tIlEES8_S8_S8_S8_S8_S8_S8_S8_EEEEPS9_S9_NSD_9__find_if7functorIS9_EEEE10hipError_tPvRmT1_T2_T3_mT4_P12ihipStream_tbEUlT_E0_NS1_11comp_targetILNS1_3genE10ELNS1_11target_archE1201ELNS1_3gpuE5ELNS1_3repE0EEENS1_30default_config_static_selectorELNS0_4arch9wavefront6targetE0EEEvS14_.kd
    .uniform_work_group_size: 1
    .uses_dynamic_stack: false
    .vgpr_count:     0
    .vgpr_spill_count: 0
    .wavefront_size: 32
  - .args:
      - .offset:         0
        .size:           104
        .value_kind:     by_value
    .group_segment_fixed_size: 0
    .kernarg_segment_align: 8
    .kernarg_segment_size: 104
    .language:       OpenCL C
    .language_version:
      - 2
      - 0
    .max_flat_workgroup_size: 256
    .name:           _ZN7rocprim17ROCPRIM_400000_NS6detail17trampoline_kernelINS0_14default_configENS1_22reduce_config_selectorIN6thrust23THRUST_200600_302600_NS5tupleIblNS6_9null_typeES8_S8_S8_S8_S8_S8_S8_EEEEZNS1_11reduce_implILb1ES3_NS6_12zip_iteratorINS7_INS6_11hip_rocprim26transform_input_iterator_tIbNSD_35transform_pair_of_input_iterators_tIbNS6_6detail15normal_iteratorINS6_10device_ptrIKsEEEESL_NS6_8equal_toIsEEEENSG_9not_fun_tINSD_8identityEEEEENSD_19counting_iterator_tIlEES8_S8_S8_S8_S8_S8_S8_S8_EEEEPS9_S9_NSD_9__find_if7functorIS9_EEEE10hipError_tPvRmT1_T2_T3_mT4_P12ihipStream_tbEUlT_E0_NS1_11comp_targetILNS1_3genE10ELNS1_11target_archE1200ELNS1_3gpuE4ELNS1_3repE0EEENS1_30default_config_static_selectorELNS0_4arch9wavefront6targetE0EEEvS14_
    .private_segment_fixed_size: 0
    .sgpr_count:     0
    .sgpr_spill_count: 0
    .symbol:         _ZN7rocprim17ROCPRIM_400000_NS6detail17trampoline_kernelINS0_14default_configENS1_22reduce_config_selectorIN6thrust23THRUST_200600_302600_NS5tupleIblNS6_9null_typeES8_S8_S8_S8_S8_S8_S8_EEEEZNS1_11reduce_implILb1ES3_NS6_12zip_iteratorINS7_INS6_11hip_rocprim26transform_input_iterator_tIbNSD_35transform_pair_of_input_iterators_tIbNS6_6detail15normal_iteratorINS6_10device_ptrIKsEEEESL_NS6_8equal_toIsEEEENSG_9not_fun_tINSD_8identityEEEEENSD_19counting_iterator_tIlEES8_S8_S8_S8_S8_S8_S8_S8_EEEEPS9_S9_NSD_9__find_if7functorIS9_EEEE10hipError_tPvRmT1_T2_T3_mT4_P12ihipStream_tbEUlT_E0_NS1_11comp_targetILNS1_3genE10ELNS1_11target_archE1200ELNS1_3gpuE4ELNS1_3repE0EEENS1_30default_config_static_selectorELNS0_4arch9wavefront6targetE0EEEvS14_.kd
    .uniform_work_group_size: 1
    .uses_dynamic_stack: false
    .vgpr_count:     0
    .vgpr_spill_count: 0
    .wavefront_size: 32
  - .args:
      - .offset:         0
        .size:           104
        .value_kind:     by_value
    .group_segment_fixed_size: 0
    .kernarg_segment_align: 8
    .kernarg_segment_size: 104
    .language:       OpenCL C
    .language_version:
      - 2
      - 0
    .max_flat_workgroup_size: 256
    .name:           _ZN7rocprim17ROCPRIM_400000_NS6detail17trampoline_kernelINS0_14default_configENS1_22reduce_config_selectorIN6thrust23THRUST_200600_302600_NS5tupleIblNS6_9null_typeES8_S8_S8_S8_S8_S8_S8_EEEEZNS1_11reduce_implILb1ES3_NS6_12zip_iteratorINS7_INS6_11hip_rocprim26transform_input_iterator_tIbNSD_35transform_pair_of_input_iterators_tIbNS6_6detail15normal_iteratorINS6_10device_ptrIKsEEEESL_NS6_8equal_toIsEEEENSG_9not_fun_tINSD_8identityEEEEENSD_19counting_iterator_tIlEES8_S8_S8_S8_S8_S8_S8_S8_EEEEPS9_S9_NSD_9__find_if7functorIS9_EEEE10hipError_tPvRmT1_T2_T3_mT4_P12ihipStream_tbEUlT_E0_NS1_11comp_targetILNS1_3genE9ELNS1_11target_archE1100ELNS1_3gpuE3ELNS1_3repE0EEENS1_30default_config_static_selectorELNS0_4arch9wavefront6targetE0EEEvS14_
    .private_segment_fixed_size: 0
    .sgpr_count:     0
    .sgpr_spill_count: 0
    .symbol:         _ZN7rocprim17ROCPRIM_400000_NS6detail17trampoline_kernelINS0_14default_configENS1_22reduce_config_selectorIN6thrust23THRUST_200600_302600_NS5tupleIblNS6_9null_typeES8_S8_S8_S8_S8_S8_S8_EEEEZNS1_11reduce_implILb1ES3_NS6_12zip_iteratorINS7_INS6_11hip_rocprim26transform_input_iterator_tIbNSD_35transform_pair_of_input_iterators_tIbNS6_6detail15normal_iteratorINS6_10device_ptrIKsEEEESL_NS6_8equal_toIsEEEENSG_9not_fun_tINSD_8identityEEEEENSD_19counting_iterator_tIlEES8_S8_S8_S8_S8_S8_S8_S8_EEEEPS9_S9_NSD_9__find_if7functorIS9_EEEE10hipError_tPvRmT1_T2_T3_mT4_P12ihipStream_tbEUlT_E0_NS1_11comp_targetILNS1_3genE9ELNS1_11target_archE1100ELNS1_3gpuE3ELNS1_3repE0EEENS1_30default_config_static_selectorELNS0_4arch9wavefront6targetE0EEEvS14_.kd
    .uniform_work_group_size: 1
    .uses_dynamic_stack: false
    .vgpr_count:     0
    .vgpr_spill_count: 0
    .wavefront_size: 32
  - .args:
      - .offset:         0
        .size:           104
        .value_kind:     by_value
    .group_segment_fixed_size: 0
    .kernarg_segment_align: 8
    .kernarg_segment_size: 104
    .language:       OpenCL C
    .language_version:
      - 2
      - 0
    .max_flat_workgroup_size: 256
    .name:           _ZN7rocprim17ROCPRIM_400000_NS6detail17trampoline_kernelINS0_14default_configENS1_22reduce_config_selectorIN6thrust23THRUST_200600_302600_NS5tupleIblNS6_9null_typeES8_S8_S8_S8_S8_S8_S8_EEEEZNS1_11reduce_implILb1ES3_NS6_12zip_iteratorINS7_INS6_11hip_rocprim26transform_input_iterator_tIbNSD_35transform_pair_of_input_iterators_tIbNS6_6detail15normal_iteratorINS6_10device_ptrIKsEEEESL_NS6_8equal_toIsEEEENSG_9not_fun_tINSD_8identityEEEEENSD_19counting_iterator_tIlEES8_S8_S8_S8_S8_S8_S8_S8_EEEEPS9_S9_NSD_9__find_if7functorIS9_EEEE10hipError_tPvRmT1_T2_T3_mT4_P12ihipStream_tbEUlT_E0_NS1_11comp_targetILNS1_3genE8ELNS1_11target_archE1030ELNS1_3gpuE2ELNS1_3repE0EEENS1_30default_config_static_selectorELNS0_4arch9wavefront6targetE0EEEvS14_
    .private_segment_fixed_size: 0
    .sgpr_count:     0
    .sgpr_spill_count: 0
    .symbol:         _ZN7rocprim17ROCPRIM_400000_NS6detail17trampoline_kernelINS0_14default_configENS1_22reduce_config_selectorIN6thrust23THRUST_200600_302600_NS5tupleIblNS6_9null_typeES8_S8_S8_S8_S8_S8_S8_EEEEZNS1_11reduce_implILb1ES3_NS6_12zip_iteratorINS7_INS6_11hip_rocprim26transform_input_iterator_tIbNSD_35transform_pair_of_input_iterators_tIbNS6_6detail15normal_iteratorINS6_10device_ptrIKsEEEESL_NS6_8equal_toIsEEEENSG_9not_fun_tINSD_8identityEEEEENSD_19counting_iterator_tIlEES8_S8_S8_S8_S8_S8_S8_S8_EEEEPS9_S9_NSD_9__find_if7functorIS9_EEEE10hipError_tPvRmT1_T2_T3_mT4_P12ihipStream_tbEUlT_E0_NS1_11comp_targetILNS1_3genE8ELNS1_11target_archE1030ELNS1_3gpuE2ELNS1_3repE0EEENS1_30default_config_static_selectorELNS0_4arch9wavefront6targetE0EEEvS14_.kd
    .uniform_work_group_size: 1
    .uses_dynamic_stack: false
    .vgpr_count:     0
    .vgpr_spill_count: 0
    .wavefront_size: 32
  - .args:
      - .offset:         0
        .size:           88
        .value_kind:     by_value
    .group_segment_fixed_size: 320
    .kernarg_segment_align: 8
    .kernarg_segment_size: 88
    .language:       OpenCL C
    .language_version:
      - 2
      - 0
    .max_flat_workgroup_size: 128
    .name:           _ZN7rocprim17ROCPRIM_400000_NS6detail17trampoline_kernelINS0_14default_configENS1_22reduce_config_selectorIN6thrust23THRUST_200600_302600_NS5tupleIblNS6_9null_typeES8_S8_S8_S8_S8_S8_S8_EEEEZNS1_11reduce_implILb1ES3_NS6_12zip_iteratorINS7_INS6_11hip_rocprim26transform_input_iterator_tIbNSD_35transform_pair_of_input_iterators_tIbNS6_6detail15normal_iteratorINS6_10device_ptrIKsEEEESL_NS6_8equal_toIsEEEENSG_9not_fun_tINSD_8identityEEEEENSD_19counting_iterator_tIlEES8_S8_S8_S8_S8_S8_S8_S8_EEEEPS9_S9_NSD_9__find_if7functorIS9_EEEE10hipError_tPvRmT1_T2_T3_mT4_P12ihipStream_tbEUlT_E1_NS1_11comp_targetILNS1_3genE0ELNS1_11target_archE4294967295ELNS1_3gpuE0ELNS1_3repE0EEENS1_30default_config_static_selectorELNS0_4arch9wavefront6targetE0EEEvS14_
    .private_segment_fixed_size: 0
    .sgpr_count:     30
    .sgpr_spill_count: 0
    .symbol:         _ZN7rocprim17ROCPRIM_400000_NS6detail17trampoline_kernelINS0_14default_configENS1_22reduce_config_selectorIN6thrust23THRUST_200600_302600_NS5tupleIblNS6_9null_typeES8_S8_S8_S8_S8_S8_S8_EEEEZNS1_11reduce_implILb1ES3_NS6_12zip_iteratorINS7_INS6_11hip_rocprim26transform_input_iterator_tIbNSD_35transform_pair_of_input_iterators_tIbNS6_6detail15normal_iteratorINS6_10device_ptrIKsEEEESL_NS6_8equal_toIsEEEENSG_9not_fun_tINSD_8identityEEEEENSD_19counting_iterator_tIlEES8_S8_S8_S8_S8_S8_S8_S8_EEEEPS9_S9_NSD_9__find_if7functorIS9_EEEE10hipError_tPvRmT1_T2_T3_mT4_P12ihipStream_tbEUlT_E1_NS1_11comp_targetILNS1_3genE0ELNS1_11target_archE4294967295ELNS1_3gpuE0ELNS1_3repE0EEENS1_30default_config_static_selectorELNS0_4arch9wavefront6targetE0EEEvS14_.kd
    .uniform_work_group_size: 1
    .uses_dynamic_stack: false
    .vgpr_count:     28
    .vgpr_spill_count: 0
    .wavefront_size: 32
  - .args:
      - .offset:         0
        .size:           88
        .value_kind:     by_value
    .group_segment_fixed_size: 0
    .kernarg_segment_align: 8
    .kernarg_segment_size: 88
    .language:       OpenCL C
    .language_version:
      - 2
      - 0
    .max_flat_workgroup_size: 256
    .name:           _ZN7rocprim17ROCPRIM_400000_NS6detail17trampoline_kernelINS0_14default_configENS1_22reduce_config_selectorIN6thrust23THRUST_200600_302600_NS5tupleIblNS6_9null_typeES8_S8_S8_S8_S8_S8_S8_EEEEZNS1_11reduce_implILb1ES3_NS6_12zip_iteratorINS7_INS6_11hip_rocprim26transform_input_iterator_tIbNSD_35transform_pair_of_input_iterators_tIbNS6_6detail15normal_iteratorINS6_10device_ptrIKsEEEESL_NS6_8equal_toIsEEEENSG_9not_fun_tINSD_8identityEEEEENSD_19counting_iterator_tIlEES8_S8_S8_S8_S8_S8_S8_S8_EEEEPS9_S9_NSD_9__find_if7functorIS9_EEEE10hipError_tPvRmT1_T2_T3_mT4_P12ihipStream_tbEUlT_E1_NS1_11comp_targetILNS1_3genE5ELNS1_11target_archE942ELNS1_3gpuE9ELNS1_3repE0EEENS1_30default_config_static_selectorELNS0_4arch9wavefront6targetE0EEEvS14_
    .private_segment_fixed_size: 0
    .sgpr_count:     0
    .sgpr_spill_count: 0
    .symbol:         _ZN7rocprim17ROCPRIM_400000_NS6detail17trampoline_kernelINS0_14default_configENS1_22reduce_config_selectorIN6thrust23THRUST_200600_302600_NS5tupleIblNS6_9null_typeES8_S8_S8_S8_S8_S8_S8_EEEEZNS1_11reduce_implILb1ES3_NS6_12zip_iteratorINS7_INS6_11hip_rocprim26transform_input_iterator_tIbNSD_35transform_pair_of_input_iterators_tIbNS6_6detail15normal_iteratorINS6_10device_ptrIKsEEEESL_NS6_8equal_toIsEEEENSG_9not_fun_tINSD_8identityEEEEENSD_19counting_iterator_tIlEES8_S8_S8_S8_S8_S8_S8_S8_EEEEPS9_S9_NSD_9__find_if7functorIS9_EEEE10hipError_tPvRmT1_T2_T3_mT4_P12ihipStream_tbEUlT_E1_NS1_11comp_targetILNS1_3genE5ELNS1_11target_archE942ELNS1_3gpuE9ELNS1_3repE0EEENS1_30default_config_static_selectorELNS0_4arch9wavefront6targetE0EEEvS14_.kd
    .uniform_work_group_size: 1
    .uses_dynamic_stack: false
    .vgpr_count:     0
    .vgpr_spill_count: 0
    .wavefront_size: 32
  - .args:
      - .offset:         0
        .size:           88
        .value_kind:     by_value
    .group_segment_fixed_size: 0
    .kernarg_segment_align: 8
    .kernarg_segment_size: 88
    .language:       OpenCL C
    .language_version:
      - 2
      - 0
    .max_flat_workgroup_size: 256
    .name:           _ZN7rocprim17ROCPRIM_400000_NS6detail17trampoline_kernelINS0_14default_configENS1_22reduce_config_selectorIN6thrust23THRUST_200600_302600_NS5tupleIblNS6_9null_typeES8_S8_S8_S8_S8_S8_S8_EEEEZNS1_11reduce_implILb1ES3_NS6_12zip_iteratorINS7_INS6_11hip_rocprim26transform_input_iterator_tIbNSD_35transform_pair_of_input_iterators_tIbNS6_6detail15normal_iteratorINS6_10device_ptrIKsEEEESL_NS6_8equal_toIsEEEENSG_9not_fun_tINSD_8identityEEEEENSD_19counting_iterator_tIlEES8_S8_S8_S8_S8_S8_S8_S8_EEEEPS9_S9_NSD_9__find_if7functorIS9_EEEE10hipError_tPvRmT1_T2_T3_mT4_P12ihipStream_tbEUlT_E1_NS1_11comp_targetILNS1_3genE4ELNS1_11target_archE910ELNS1_3gpuE8ELNS1_3repE0EEENS1_30default_config_static_selectorELNS0_4arch9wavefront6targetE0EEEvS14_
    .private_segment_fixed_size: 0
    .sgpr_count:     0
    .sgpr_spill_count: 0
    .symbol:         _ZN7rocprim17ROCPRIM_400000_NS6detail17trampoline_kernelINS0_14default_configENS1_22reduce_config_selectorIN6thrust23THRUST_200600_302600_NS5tupleIblNS6_9null_typeES8_S8_S8_S8_S8_S8_S8_EEEEZNS1_11reduce_implILb1ES3_NS6_12zip_iteratorINS7_INS6_11hip_rocprim26transform_input_iterator_tIbNSD_35transform_pair_of_input_iterators_tIbNS6_6detail15normal_iteratorINS6_10device_ptrIKsEEEESL_NS6_8equal_toIsEEEENSG_9not_fun_tINSD_8identityEEEEENSD_19counting_iterator_tIlEES8_S8_S8_S8_S8_S8_S8_S8_EEEEPS9_S9_NSD_9__find_if7functorIS9_EEEE10hipError_tPvRmT1_T2_T3_mT4_P12ihipStream_tbEUlT_E1_NS1_11comp_targetILNS1_3genE4ELNS1_11target_archE910ELNS1_3gpuE8ELNS1_3repE0EEENS1_30default_config_static_selectorELNS0_4arch9wavefront6targetE0EEEvS14_.kd
    .uniform_work_group_size: 1
    .uses_dynamic_stack: false
    .vgpr_count:     0
    .vgpr_spill_count: 0
    .wavefront_size: 32
  - .args:
      - .offset:         0
        .size:           88
        .value_kind:     by_value
    .group_segment_fixed_size: 0
    .kernarg_segment_align: 8
    .kernarg_segment_size: 88
    .language:       OpenCL C
    .language_version:
      - 2
      - 0
    .max_flat_workgroup_size: 128
    .name:           _ZN7rocprim17ROCPRIM_400000_NS6detail17trampoline_kernelINS0_14default_configENS1_22reduce_config_selectorIN6thrust23THRUST_200600_302600_NS5tupleIblNS6_9null_typeES8_S8_S8_S8_S8_S8_S8_EEEEZNS1_11reduce_implILb1ES3_NS6_12zip_iteratorINS7_INS6_11hip_rocprim26transform_input_iterator_tIbNSD_35transform_pair_of_input_iterators_tIbNS6_6detail15normal_iteratorINS6_10device_ptrIKsEEEESL_NS6_8equal_toIsEEEENSG_9not_fun_tINSD_8identityEEEEENSD_19counting_iterator_tIlEES8_S8_S8_S8_S8_S8_S8_S8_EEEEPS9_S9_NSD_9__find_if7functorIS9_EEEE10hipError_tPvRmT1_T2_T3_mT4_P12ihipStream_tbEUlT_E1_NS1_11comp_targetILNS1_3genE3ELNS1_11target_archE908ELNS1_3gpuE7ELNS1_3repE0EEENS1_30default_config_static_selectorELNS0_4arch9wavefront6targetE0EEEvS14_
    .private_segment_fixed_size: 0
    .sgpr_count:     0
    .sgpr_spill_count: 0
    .symbol:         _ZN7rocprim17ROCPRIM_400000_NS6detail17trampoline_kernelINS0_14default_configENS1_22reduce_config_selectorIN6thrust23THRUST_200600_302600_NS5tupleIblNS6_9null_typeES8_S8_S8_S8_S8_S8_S8_EEEEZNS1_11reduce_implILb1ES3_NS6_12zip_iteratorINS7_INS6_11hip_rocprim26transform_input_iterator_tIbNSD_35transform_pair_of_input_iterators_tIbNS6_6detail15normal_iteratorINS6_10device_ptrIKsEEEESL_NS6_8equal_toIsEEEENSG_9not_fun_tINSD_8identityEEEEENSD_19counting_iterator_tIlEES8_S8_S8_S8_S8_S8_S8_S8_EEEEPS9_S9_NSD_9__find_if7functorIS9_EEEE10hipError_tPvRmT1_T2_T3_mT4_P12ihipStream_tbEUlT_E1_NS1_11comp_targetILNS1_3genE3ELNS1_11target_archE908ELNS1_3gpuE7ELNS1_3repE0EEENS1_30default_config_static_selectorELNS0_4arch9wavefront6targetE0EEEvS14_.kd
    .uniform_work_group_size: 1
    .uses_dynamic_stack: false
    .vgpr_count:     0
    .vgpr_spill_count: 0
    .wavefront_size: 32
  - .args:
      - .offset:         0
        .size:           88
        .value_kind:     by_value
    .group_segment_fixed_size: 0
    .kernarg_segment_align: 8
    .kernarg_segment_size: 88
    .language:       OpenCL C
    .language_version:
      - 2
      - 0
    .max_flat_workgroup_size: 128
    .name:           _ZN7rocprim17ROCPRIM_400000_NS6detail17trampoline_kernelINS0_14default_configENS1_22reduce_config_selectorIN6thrust23THRUST_200600_302600_NS5tupleIblNS6_9null_typeES8_S8_S8_S8_S8_S8_S8_EEEEZNS1_11reduce_implILb1ES3_NS6_12zip_iteratorINS7_INS6_11hip_rocprim26transform_input_iterator_tIbNSD_35transform_pair_of_input_iterators_tIbNS6_6detail15normal_iteratorINS6_10device_ptrIKsEEEESL_NS6_8equal_toIsEEEENSG_9not_fun_tINSD_8identityEEEEENSD_19counting_iterator_tIlEES8_S8_S8_S8_S8_S8_S8_S8_EEEEPS9_S9_NSD_9__find_if7functorIS9_EEEE10hipError_tPvRmT1_T2_T3_mT4_P12ihipStream_tbEUlT_E1_NS1_11comp_targetILNS1_3genE2ELNS1_11target_archE906ELNS1_3gpuE6ELNS1_3repE0EEENS1_30default_config_static_selectorELNS0_4arch9wavefront6targetE0EEEvS14_
    .private_segment_fixed_size: 0
    .sgpr_count:     0
    .sgpr_spill_count: 0
    .symbol:         _ZN7rocprim17ROCPRIM_400000_NS6detail17trampoline_kernelINS0_14default_configENS1_22reduce_config_selectorIN6thrust23THRUST_200600_302600_NS5tupleIblNS6_9null_typeES8_S8_S8_S8_S8_S8_S8_EEEEZNS1_11reduce_implILb1ES3_NS6_12zip_iteratorINS7_INS6_11hip_rocprim26transform_input_iterator_tIbNSD_35transform_pair_of_input_iterators_tIbNS6_6detail15normal_iteratorINS6_10device_ptrIKsEEEESL_NS6_8equal_toIsEEEENSG_9not_fun_tINSD_8identityEEEEENSD_19counting_iterator_tIlEES8_S8_S8_S8_S8_S8_S8_S8_EEEEPS9_S9_NSD_9__find_if7functorIS9_EEEE10hipError_tPvRmT1_T2_T3_mT4_P12ihipStream_tbEUlT_E1_NS1_11comp_targetILNS1_3genE2ELNS1_11target_archE906ELNS1_3gpuE6ELNS1_3repE0EEENS1_30default_config_static_selectorELNS0_4arch9wavefront6targetE0EEEvS14_.kd
    .uniform_work_group_size: 1
    .uses_dynamic_stack: false
    .vgpr_count:     0
    .vgpr_spill_count: 0
    .wavefront_size: 32
  - .args:
      - .offset:         0
        .size:           88
        .value_kind:     by_value
    .group_segment_fixed_size: 0
    .kernarg_segment_align: 8
    .kernarg_segment_size: 88
    .language:       OpenCL C
    .language_version:
      - 2
      - 0
    .max_flat_workgroup_size: 256
    .name:           _ZN7rocprim17ROCPRIM_400000_NS6detail17trampoline_kernelINS0_14default_configENS1_22reduce_config_selectorIN6thrust23THRUST_200600_302600_NS5tupleIblNS6_9null_typeES8_S8_S8_S8_S8_S8_S8_EEEEZNS1_11reduce_implILb1ES3_NS6_12zip_iteratorINS7_INS6_11hip_rocprim26transform_input_iterator_tIbNSD_35transform_pair_of_input_iterators_tIbNS6_6detail15normal_iteratorINS6_10device_ptrIKsEEEESL_NS6_8equal_toIsEEEENSG_9not_fun_tINSD_8identityEEEEENSD_19counting_iterator_tIlEES8_S8_S8_S8_S8_S8_S8_S8_EEEEPS9_S9_NSD_9__find_if7functorIS9_EEEE10hipError_tPvRmT1_T2_T3_mT4_P12ihipStream_tbEUlT_E1_NS1_11comp_targetILNS1_3genE10ELNS1_11target_archE1201ELNS1_3gpuE5ELNS1_3repE0EEENS1_30default_config_static_selectorELNS0_4arch9wavefront6targetE0EEEvS14_
    .private_segment_fixed_size: 0
    .sgpr_count:     0
    .sgpr_spill_count: 0
    .symbol:         _ZN7rocprim17ROCPRIM_400000_NS6detail17trampoline_kernelINS0_14default_configENS1_22reduce_config_selectorIN6thrust23THRUST_200600_302600_NS5tupleIblNS6_9null_typeES8_S8_S8_S8_S8_S8_S8_EEEEZNS1_11reduce_implILb1ES3_NS6_12zip_iteratorINS7_INS6_11hip_rocprim26transform_input_iterator_tIbNSD_35transform_pair_of_input_iterators_tIbNS6_6detail15normal_iteratorINS6_10device_ptrIKsEEEESL_NS6_8equal_toIsEEEENSG_9not_fun_tINSD_8identityEEEEENSD_19counting_iterator_tIlEES8_S8_S8_S8_S8_S8_S8_S8_EEEEPS9_S9_NSD_9__find_if7functorIS9_EEEE10hipError_tPvRmT1_T2_T3_mT4_P12ihipStream_tbEUlT_E1_NS1_11comp_targetILNS1_3genE10ELNS1_11target_archE1201ELNS1_3gpuE5ELNS1_3repE0EEENS1_30default_config_static_selectorELNS0_4arch9wavefront6targetE0EEEvS14_.kd
    .uniform_work_group_size: 1
    .uses_dynamic_stack: false
    .vgpr_count:     0
    .vgpr_spill_count: 0
    .wavefront_size: 32
  - .args:
      - .offset:         0
        .size:           88
        .value_kind:     by_value
    .group_segment_fixed_size: 0
    .kernarg_segment_align: 8
    .kernarg_segment_size: 88
    .language:       OpenCL C
    .language_version:
      - 2
      - 0
    .max_flat_workgroup_size: 256
    .name:           _ZN7rocprim17ROCPRIM_400000_NS6detail17trampoline_kernelINS0_14default_configENS1_22reduce_config_selectorIN6thrust23THRUST_200600_302600_NS5tupleIblNS6_9null_typeES8_S8_S8_S8_S8_S8_S8_EEEEZNS1_11reduce_implILb1ES3_NS6_12zip_iteratorINS7_INS6_11hip_rocprim26transform_input_iterator_tIbNSD_35transform_pair_of_input_iterators_tIbNS6_6detail15normal_iteratorINS6_10device_ptrIKsEEEESL_NS6_8equal_toIsEEEENSG_9not_fun_tINSD_8identityEEEEENSD_19counting_iterator_tIlEES8_S8_S8_S8_S8_S8_S8_S8_EEEEPS9_S9_NSD_9__find_if7functorIS9_EEEE10hipError_tPvRmT1_T2_T3_mT4_P12ihipStream_tbEUlT_E1_NS1_11comp_targetILNS1_3genE10ELNS1_11target_archE1200ELNS1_3gpuE4ELNS1_3repE0EEENS1_30default_config_static_selectorELNS0_4arch9wavefront6targetE0EEEvS14_
    .private_segment_fixed_size: 0
    .sgpr_count:     0
    .sgpr_spill_count: 0
    .symbol:         _ZN7rocprim17ROCPRIM_400000_NS6detail17trampoline_kernelINS0_14default_configENS1_22reduce_config_selectorIN6thrust23THRUST_200600_302600_NS5tupleIblNS6_9null_typeES8_S8_S8_S8_S8_S8_S8_EEEEZNS1_11reduce_implILb1ES3_NS6_12zip_iteratorINS7_INS6_11hip_rocprim26transform_input_iterator_tIbNSD_35transform_pair_of_input_iterators_tIbNS6_6detail15normal_iteratorINS6_10device_ptrIKsEEEESL_NS6_8equal_toIsEEEENSG_9not_fun_tINSD_8identityEEEEENSD_19counting_iterator_tIlEES8_S8_S8_S8_S8_S8_S8_S8_EEEEPS9_S9_NSD_9__find_if7functorIS9_EEEE10hipError_tPvRmT1_T2_T3_mT4_P12ihipStream_tbEUlT_E1_NS1_11comp_targetILNS1_3genE10ELNS1_11target_archE1200ELNS1_3gpuE4ELNS1_3repE0EEENS1_30default_config_static_selectorELNS0_4arch9wavefront6targetE0EEEvS14_.kd
    .uniform_work_group_size: 1
    .uses_dynamic_stack: false
    .vgpr_count:     0
    .vgpr_spill_count: 0
    .wavefront_size: 32
  - .args:
      - .offset:         0
        .size:           88
        .value_kind:     by_value
    .group_segment_fixed_size: 0
    .kernarg_segment_align: 8
    .kernarg_segment_size: 88
    .language:       OpenCL C
    .language_version:
      - 2
      - 0
    .max_flat_workgroup_size: 256
    .name:           _ZN7rocprim17ROCPRIM_400000_NS6detail17trampoline_kernelINS0_14default_configENS1_22reduce_config_selectorIN6thrust23THRUST_200600_302600_NS5tupleIblNS6_9null_typeES8_S8_S8_S8_S8_S8_S8_EEEEZNS1_11reduce_implILb1ES3_NS6_12zip_iteratorINS7_INS6_11hip_rocprim26transform_input_iterator_tIbNSD_35transform_pair_of_input_iterators_tIbNS6_6detail15normal_iteratorINS6_10device_ptrIKsEEEESL_NS6_8equal_toIsEEEENSG_9not_fun_tINSD_8identityEEEEENSD_19counting_iterator_tIlEES8_S8_S8_S8_S8_S8_S8_S8_EEEEPS9_S9_NSD_9__find_if7functorIS9_EEEE10hipError_tPvRmT1_T2_T3_mT4_P12ihipStream_tbEUlT_E1_NS1_11comp_targetILNS1_3genE9ELNS1_11target_archE1100ELNS1_3gpuE3ELNS1_3repE0EEENS1_30default_config_static_selectorELNS0_4arch9wavefront6targetE0EEEvS14_
    .private_segment_fixed_size: 0
    .sgpr_count:     0
    .sgpr_spill_count: 0
    .symbol:         _ZN7rocprim17ROCPRIM_400000_NS6detail17trampoline_kernelINS0_14default_configENS1_22reduce_config_selectorIN6thrust23THRUST_200600_302600_NS5tupleIblNS6_9null_typeES8_S8_S8_S8_S8_S8_S8_EEEEZNS1_11reduce_implILb1ES3_NS6_12zip_iteratorINS7_INS6_11hip_rocprim26transform_input_iterator_tIbNSD_35transform_pair_of_input_iterators_tIbNS6_6detail15normal_iteratorINS6_10device_ptrIKsEEEESL_NS6_8equal_toIsEEEENSG_9not_fun_tINSD_8identityEEEEENSD_19counting_iterator_tIlEES8_S8_S8_S8_S8_S8_S8_S8_EEEEPS9_S9_NSD_9__find_if7functorIS9_EEEE10hipError_tPvRmT1_T2_T3_mT4_P12ihipStream_tbEUlT_E1_NS1_11comp_targetILNS1_3genE9ELNS1_11target_archE1100ELNS1_3gpuE3ELNS1_3repE0EEENS1_30default_config_static_selectorELNS0_4arch9wavefront6targetE0EEEvS14_.kd
    .uniform_work_group_size: 1
    .uses_dynamic_stack: false
    .vgpr_count:     0
    .vgpr_spill_count: 0
    .wavefront_size: 32
  - .args:
      - .offset:         0
        .size:           88
        .value_kind:     by_value
    .group_segment_fixed_size: 0
    .kernarg_segment_align: 8
    .kernarg_segment_size: 88
    .language:       OpenCL C
    .language_version:
      - 2
      - 0
    .max_flat_workgroup_size: 256
    .name:           _ZN7rocprim17ROCPRIM_400000_NS6detail17trampoline_kernelINS0_14default_configENS1_22reduce_config_selectorIN6thrust23THRUST_200600_302600_NS5tupleIblNS6_9null_typeES8_S8_S8_S8_S8_S8_S8_EEEEZNS1_11reduce_implILb1ES3_NS6_12zip_iteratorINS7_INS6_11hip_rocprim26transform_input_iterator_tIbNSD_35transform_pair_of_input_iterators_tIbNS6_6detail15normal_iteratorINS6_10device_ptrIKsEEEESL_NS6_8equal_toIsEEEENSG_9not_fun_tINSD_8identityEEEEENSD_19counting_iterator_tIlEES8_S8_S8_S8_S8_S8_S8_S8_EEEEPS9_S9_NSD_9__find_if7functorIS9_EEEE10hipError_tPvRmT1_T2_T3_mT4_P12ihipStream_tbEUlT_E1_NS1_11comp_targetILNS1_3genE8ELNS1_11target_archE1030ELNS1_3gpuE2ELNS1_3repE0EEENS1_30default_config_static_selectorELNS0_4arch9wavefront6targetE0EEEvS14_
    .private_segment_fixed_size: 0
    .sgpr_count:     0
    .sgpr_spill_count: 0
    .symbol:         _ZN7rocprim17ROCPRIM_400000_NS6detail17trampoline_kernelINS0_14default_configENS1_22reduce_config_selectorIN6thrust23THRUST_200600_302600_NS5tupleIblNS6_9null_typeES8_S8_S8_S8_S8_S8_S8_EEEEZNS1_11reduce_implILb1ES3_NS6_12zip_iteratorINS7_INS6_11hip_rocprim26transform_input_iterator_tIbNSD_35transform_pair_of_input_iterators_tIbNS6_6detail15normal_iteratorINS6_10device_ptrIKsEEEESL_NS6_8equal_toIsEEEENSG_9not_fun_tINSD_8identityEEEEENSD_19counting_iterator_tIlEES8_S8_S8_S8_S8_S8_S8_S8_EEEEPS9_S9_NSD_9__find_if7functorIS9_EEEE10hipError_tPvRmT1_T2_T3_mT4_P12ihipStream_tbEUlT_E1_NS1_11comp_targetILNS1_3genE8ELNS1_11target_archE1030ELNS1_3gpuE2ELNS1_3repE0EEENS1_30default_config_static_selectorELNS0_4arch9wavefront6targetE0EEEvS14_.kd
    .uniform_work_group_size: 1
    .uses_dynamic_stack: false
    .vgpr_count:     0
    .vgpr_spill_count: 0
    .wavefront_size: 32
  - .args:
      - .offset:         0
        .size:           16
        .value_kind:     by_value
      - .offset:         16
        .size:           8
        .value_kind:     by_value
      - .offset:         24
        .size:           8
        .value_kind:     by_value
    .group_segment_fixed_size: 0
    .kernarg_segment_align: 8
    .kernarg_segment_size: 32
    .language:       OpenCL C
    .language_version:
      - 2
      - 0
    .max_flat_workgroup_size: 256
    .name:           _ZN6thrust23THRUST_200600_302600_NS11hip_rocprim14__parallel_for6kernelILj256ENS1_20__uninitialized_fill7functorINS0_10device_ptrIiEEiEEmLj1EEEvT0_T1_SA_
    .private_segment_fixed_size: 0
    .sgpr_count:     14
    .sgpr_spill_count: 0
    .symbol:         _ZN6thrust23THRUST_200600_302600_NS11hip_rocprim14__parallel_for6kernelILj256ENS1_20__uninitialized_fill7functorINS0_10device_ptrIiEEiEEmLj1EEEvT0_T1_SA_.kd
    .uniform_work_group_size: 1
    .uses_dynamic_stack: false
    .vgpr_count:     2
    .vgpr_spill_count: 0
    .wavefront_size: 32
  - .args:
      - .offset:         0
        .size:           64
        .value_kind:     by_value
      - .offset:         64
        .size:           4
        .value_kind:     hidden_block_count_x
      - .offset:         68
        .size:           4
        .value_kind:     hidden_block_count_y
      - .offset:         72
        .size:           4
        .value_kind:     hidden_block_count_z
      - .offset:         76
        .size:           2
        .value_kind:     hidden_group_size_x
      - .offset:         78
        .size:           2
        .value_kind:     hidden_group_size_y
      - .offset:         80
        .size:           2
        .value_kind:     hidden_group_size_z
      - .offset:         82
        .size:           2
        .value_kind:     hidden_remainder_x
      - .offset:         84
        .size:           2
        .value_kind:     hidden_remainder_y
      - .offset:         86
        .size:           2
        .value_kind:     hidden_remainder_z
      - .offset:         104
        .size:           8
        .value_kind:     hidden_global_offset_x
      - .offset:         112
        .size:           8
        .value_kind:     hidden_global_offset_y
      - .offset:         120
        .size:           8
        .value_kind:     hidden_global_offset_z
      - .offset:         128
        .size:           2
        .value_kind:     hidden_grid_dims
    .group_segment_fixed_size: 0
    .kernarg_segment_align: 8
    .kernarg_segment_size: 320
    .language:       OpenCL C
    .language_version:
      - 2
      - 0
    .max_flat_workgroup_size: 512
    .name:           _ZN7rocprim17ROCPRIM_400000_NS6detail17trampoline_kernelINS0_14default_configENS1_21merge_config_selectorINS0_5tupleIJddEEENS0_10empty_typeEEEZNS1_10merge_implIS3_NS0_12zip_iteratorINS5_IJN6thrust23THRUST_200600_302600_NS6detail15normal_iteratorINSC_10device_ptrIKdEEEESI_EEEEESK_NSA_INS5_IJNSE_INSF_IdEEEESM_EEEEEPS7_SP_SP_NSC_11hip_rocprim7__merge17predicate_wrapperIddNSC_7greaterIdEEEEEE10hipError_tPvRmT0_T1_T2_T3_T4_T5_mmT6_P12ihipStream_tbEUlT_E_NS1_11comp_targetILNS1_3genE0ELNS1_11target_archE4294967295ELNS1_3gpuE0ELNS1_3repE0EEENS1_30default_config_static_selectorELNS0_4arch9wavefront6targetE0EEEvS10_
    .private_segment_fixed_size: 0
    .sgpr_count:     16
    .sgpr_spill_count: 0
    .symbol:         _ZN7rocprim17ROCPRIM_400000_NS6detail17trampoline_kernelINS0_14default_configENS1_21merge_config_selectorINS0_5tupleIJddEEENS0_10empty_typeEEEZNS1_10merge_implIS3_NS0_12zip_iteratorINS5_IJN6thrust23THRUST_200600_302600_NS6detail15normal_iteratorINSC_10device_ptrIKdEEEESI_EEEEESK_NSA_INS5_IJNSE_INSF_IdEEEESM_EEEEEPS7_SP_SP_NSC_11hip_rocprim7__merge17predicate_wrapperIddNSC_7greaterIdEEEEEE10hipError_tPvRmT0_T1_T2_T3_T4_T5_mmT6_P12ihipStream_tbEUlT_E_NS1_11comp_targetILNS1_3genE0ELNS1_11target_archE4294967295ELNS1_3gpuE0ELNS1_3repE0EEENS1_30default_config_static_selectorELNS0_4arch9wavefront6targetE0EEEvS10_.kd
    .uniform_work_group_size: 1
    .uses_dynamic_stack: false
    .vgpr_count:     18
    .vgpr_spill_count: 0
    .wavefront_size: 32
  - .args:
      - .offset:         0
        .size:           64
        .value_kind:     by_value
    .group_segment_fixed_size: 0
    .kernarg_segment_align: 8
    .kernarg_segment_size: 64
    .language:       OpenCL C
    .language_version:
      - 2
      - 0
    .max_flat_workgroup_size: 256
    .name:           _ZN7rocprim17ROCPRIM_400000_NS6detail17trampoline_kernelINS0_14default_configENS1_21merge_config_selectorINS0_5tupleIJddEEENS0_10empty_typeEEEZNS1_10merge_implIS3_NS0_12zip_iteratorINS5_IJN6thrust23THRUST_200600_302600_NS6detail15normal_iteratorINSC_10device_ptrIKdEEEESI_EEEEESK_NSA_INS5_IJNSE_INSF_IdEEEESM_EEEEEPS7_SP_SP_NSC_11hip_rocprim7__merge17predicate_wrapperIddNSC_7greaterIdEEEEEE10hipError_tPvRmT0_T1_T2_T3_T4_T5_mmT6_P12ihipStream_tbEUlT_E_NS1_11comp_targetILNS1_3genE5ELNS1_11target_archE942ELNS1_3gpuE9ELNS1_3repE0EEENS1_30default_config_static_selectorELNS0_4arch9wavefront6targetE0EEEvS10_
    .private_segment_fixed_size: 0
    .sgpr_count:     0
    .sgpr_spill_count: 0
    .symbol:         _ZN7rocprim17ROCPRIM_400000_NS6detail17trampoline_kernelINS0_14default_configENS1_21merge_config_selectorINS0_5tupleIJddEEENS0_10empty_typeEEEZNS1_10merge_implIS3_NS0_12zip_iteratorINS5_IJN6thrust23THRUST_200600_302600_NS6detail15normal_iteratorINSC_10device_ptrIKdEEEESI_EEEEESK_NSA_INS5_IJNSE_INSF_IdEEEESM_EEEEEPS7_SP_SP_NSC_11hip_rocprim7__merge17predicate_wrapperIddNSC_7greaterIdEEEEEE10hipError_tPvRmT0_T1_T2_T3_T4_T5_mmT6_P12ihipStream_tbEUlT_E_NS1_11comp_targetILNS1_3genE5ELNS1_11target_archE942ELNS1_3gpuE9ELNS1_3repE0EEENS1_30default_config_static_selectorELNS0_4arch9wavefront6targetE0EEEvS10_.kd
    .uniform_work_group_size: 1
    .uses_dynamic_stack: false
    .vgpr_count:     0
    .vgpr_spill_count: 0
    .wavefront_size: 32
  - .args:
      - .offset:         0
        .size:           64
        .value_kind:     by_value
    .group_segment_fixed_size: 0
    .kernarg_segment_align: 8
    .kernarg_segment_size: 64
    .language:       OpenCL C
    .language_version:
      - 2
      - 0
    .max_flat_workgroup_size: 512
    .name:           _ZN7rocprim17ROCPRIM_400000_NS6detail17trampoline_kernelINS0_14default_configENS1_21merge_config_selectorINS0_5tupleIJddEEENS0_10empty_typeEEEZNS1_10merge_implIS3_NS0_12zip_iteratorINS5_IJN6thrust23THRUST_200600_302600_NS6detail15normal_iteratorINSC_10device_ptrIKdEEEESI_EEEEESK_NSA_INS5_IJNSE_INSF_IdEEEESM_EEEEEPS7_SP_SP_NSC_11hip_rocprim7__merge17predicate_wrapperIddNSC_7greaterIdEEEEEE10hipError_tPvRmT0_T1_T2_T3_T4_T5_mmT6_P12ihipStream_tbEUlT_E_NS1_11comp_targetILNS1_3genE4ELNS1_11target_archE910ELNS1_3gpuE8ELNS1_3repE0EEENS1_30default_config_static_selectorELNS0_4arch9wavefront6targetE0EEEvS10_
    .private_segment_fixed_size: 0
    .sgpr_count:     0
    .sgpr_spill_count: 0
    .symbol:         _ZN7rocprim17ROCPRIM_400000_NS6detail17trampoline_kernelINS0_14default_configENS1_21merge_config_selectorINS0_5tupleIJddEEENS0_10empty_typeEEEZNS1_10merge_implIS3_NS0_12zip_iteratorINS5_IJN6thrust23THRUST_200600_302600_NS6detail15normal_iteratorINSC_10device_ptrIKdEEEESI_EEEEESK_NSA_INS5_IJNSE_INSF_IdEEEESM_EEEEEPS7_SP_SP_NSC_11hip_rocprim7__merge17predicate_wrapperIddNSC_7greaterIdEEEEEE10hipError_tPvRmT0_T1_T2_T3_T4_T5_mmT6_P12ihipStream_tbEUlT_E_NS1_11comp_targetILNS1_3genE4ELNS1_11target_archE910ELNS1_3gpuE8ELNS1_3repE0EEENS1_30default_config_static_selectorELNS0_4arch9wavefront6targetE0EEEvS10_.kd
    .uniform_work_group_size: 1
    .uses_dynamic_stack: false
    .vgpr_count:     0
    .vgpr_spill_count: 0
    .wavefront_size: 32
  - .args:
      - .offset:         0
        .size:           64
        .value_kind:     by_value
    .group_segment_fixed_size: 0
    .kernarg_segment_align: 8
    .kernarg_segment_size: 64
    .language:       OpenCL C
    .language_version:
      - 2
      - 0
    .max_flat_workgroup_size: 512
    .name:           _ZN7rocprim17ROCPRIM_400000_NS6detail17trampoline_kernelINS0_14default_configENS1_21merge_config_selectorINS0_5tupleIJddEEENS0_10empty_typeEEEZNS1_10merge_implIS3_NS0_12zip_iteratorINS5_IJN6thrust23THRUST_200600_302600_NS6detail15normal_iteratorINSC_10device_ptrIKdEEEESI_EEEEESK_NSA_INS5_IJNSE_INSF_IdEEEESM_EEEEEPS7_SP_SP_NSC_11hip_rocprim7__merge17predicate_wrapperIddNSC_7greaterIdEEEEEE10hipError_tPvRmT0_T1_T2_T3_T4_T5_mmT6_P12ihipStream_tbEUlT_E_NS1_11comp_targetILNS1_3genE3ELNS1_11target_archE908ELNS1_3gpuE7ELNS1_3repE0EEENS1_30default_config_static_selectorELNS0_4arch9wavefront6targetE0EEEvS10_
    .private_segment_fixed_size: 0
    .sgpr_count:     0
    .sgpr_spill_count: 0
    .symbol:         _ZN7rocprim17ROCPRIM_400000_NS6detail17trampoline_kernelINS0_14default_configENS1_21merge_config_selectorINS0_5tupleIJddEEENS0_10empty_typeEEEZNS1_10merge_implIS3_NS0_12zip_iteratorINS5_IJN6thrust23THRUST_200600_302600_NS6detail15normal_iteratorINSC_10device_ptrIKdEEEESI_EEEEESK_NSA_INS5_IJNSE_INSF_IdEEEESM_EEEEEPS7_SP_SP_NSC_11hip_rocprim7__merge17predicate_wrapperIddNSC_7greaterIdEEEEEE10hipError_tPvRmT0_T1_T2_T3_T4_T5_mmT6_P12ihipStream_tbEUlT_E_NS1_11comp_targetILNS1_3genE3ELNS1_11target_archE908ELNS1_3gpuE7ELNS1_3repE0EEENS1_30default_config_static_selectorELNS0_4arch9wavefront6targetE0EEEvS10_.kd
    .uniform_work_group_size: 1
    .uses_dynamic_stack: false
    .vgpr_count:     0
    .vgpr_spill_count: 0
    .wavefront_size: 32
  - .args:
      - .offset:         0
        .size:           64
        .value_kind:     by_value
    .group_segment_fixed_size: 0
    .kernarg_segment_align: 8
    .kernarg_segment_size: 64
    .language:       OpenCL C
    .language_version:
      - 2
      - 0
    .max_flat_workgroup_size: 512
    .name:           _ZN7rocprim17ROCPRIM_400000_NS6detail17trampoline_kernelINS0_14default_configENS1_21merge_config_selectorINS0_5tupleIJddEEENS0_10empty_typeEEEZNS1_10merge_implIS3_NS0_12zip_iteratorINS5_IJN6thrust23THRUST_200600_302600_NS6detail15normal_iteratorINSC_10device_ptrIKdEEEESI_EEEEESK_NSA_INS5_IJNSE_INSF_IdEEEESM_EEEEEPS7_SP_SP_NSC_11hip_rocprim7__merge17predicate_wrapperIddNSC_7greaterIdEEEEEE10hipError_tPvRmT0_T1_T2_T3_T4_T5_mmT6_P12ihipStream_tbEUlT_E_NS1_11comp_targetILNS1_3genE2ELNS1_11target_archE906ELNS1_3gpuE6ELNS1_3repE0EEENS1_30default_config_static_selectorELNS0_4arch9wavefront6targetE0EEEvS10_
    .private_segment_fixed_size: 0
    .sgpr_count:     0
    .sgpr_spill_count: 0
    .symbol:         _ZN7rocprim17ROCPRIM_400000_NS6detail17trampoline_kernelINS0_14default_configENS1_21merge_config_selectorINS0_5tupleIJddEEENS0_10empty_typeEEEZNS1_10merge_implIS3_NS0_12zip_iteratorINS5_IJN6thrust23THRUST_200600_302600_NS6detail15normal_iteratorINSC_10device_ptrIKdEEEESI_EEEEESK_NSA_INS5_IJNSE_INSF_IdEEEESM_EEEEEPS7_SP_SP_NSC_11hip_rocprim7__merge17predicate_wrapperIddNSC_7greaterIdEEEEEE10hipError_tPvRmT0_T1_T2_T3_T4_T5_mmT6_P12ihipStream_tbEUlT_E_NS1_11comp_targetILNS1_3genE2ELNS1_11target_archE906ELNS1_3gpuE6ELNS1_3repE0EEENS1_30default_config_static_selectorELNS0_4arch9wavefront6targetE0EEEvS10_.kd
    .uniform_work_group_size: 1
    .uses_dynamic_stack: false
    .vgpr_count:     0
    .vgpr_spill_count: 0
    .wavefront_size: 32
  - .args:
      - .offset:         0
        .size:           64
        .value_kind:     by_value
    .group_segment_fixed_size: 0
    .kernarg_segment_align: 8
    .kernarg_segment_size: 64
    .language:       OpenCL C
    .language_version:
      - 2
      - 0
    .max_flat_workgroup_size: 512
    .name:           _ZN7rocprim17ROCPRIM_400000_NS6detail17trampoline_kernelINS0_14default_configENS1_21merge_config_selectorINS0_5tupleIJddEEENS0_10empty_typeEEEZNS1_10merge_implIS3_NS0_12zip_iteratorINS5_IJN6thrust23THRUST_200600_302600_NS6detail15normal_iteratorINSC_10device_ptrIKdEEEESI_EEEEESK_NSA_INS5_IJNSE_INSF_IdEEEESM_EEEEEPS7_SP_SP_NSC_11hip_rocprim7__merge17predicate_wrapperIddNSC_7greaterIdEEEEEE10hipError_tPvRmT0_T1_T2_T3_T4_T5_mmT6_P12ihipStream_tbEUlT_E_NS1_11comp_targetILNS1_3genE10ELNS1_11target_archE1201ELNS1_3gpuE5ELNS1_3repE0EEENS1_30default_config_static_selectorELNS0_4arch9wavefront6targetE0EEEvS10_
    .private_segment_fixed_size: 0
    .sgpr_count:     0
    .sgpr_spill_count: 0
    .symbol:         _ZN7rocprim17ROCPRIM_400000_NS6detail17trampoline_kernelINS0_14default_configENS1_21merge_config_selectorINS0_5tupleIJddEEENS0_10empty_typeEEEZNS1_10merge_implIS3_NS0_12zip_iteratorINS5_IJN6thrust23THRUST_200600_302600_NS6detail15normal_iteratorINSC_10device_ptrIKdEEEESI_EEEEESK_NSA_INS5_IJNSE_INSF_IdEEEESM_EEEEEPS7_SP_SP_NSC_11hip_rocprim7__merge17predicate_wrapperIddNSC_7greaterIdEEEEEE10hipError_tPvRmT0_T1_T2_T3_T4_T5_mmT6_P12ihipStream_tbEUlT_E_NS1_11comp_targetILNS1_3genE10ELNS1_11target_archE1201ELNS1_3gpuE5ELNS1_3repE0EEENS1_30default_config_static_selectorELNS0_4arch9wavefront6targetE0EEEvS10_.kd
    .uniform_work_group_size: 1
    .uses_dynamic_stack: false
    .vgpr_count:     0
    .vgpr_spill_count: 0
    .wavefront_size: 32
  - .args:
      - .offset:         0
        .size:           64
        .value_kind:     by_value
    .group_segment_fixed_size: 0
    .kernarg_segment_align: 8
    .kernarg_segment_size: 64
    .language:       OpenCL C
    .language_version:
      - 2
      - 0
    .max_flat_workgroup_size: 256
    .name:           _ZN7rocprim17ROCPRIM_400000_NS6detail17trampoline_kernelINS0_14default_configENS1_21merge_config_selectorINS0_5tupleIJddEEENS0_10empty_typeEEEZNS1_10merge_implIS3_NS0_12zip_iteratorINS5_IJN6thrust23THRUST_200600_302600_NS6detail15normal_iteratorINSC_10device_ptrIKdEEEESI_EEEEESK_NSA_INS5_IJNSE_INSF_IdEEEESM_EEEEEPS7_SP_SP_NSC_11hip_rocprim7__merge17predicate_wrapperIddNSC_7greaterIdEEEEEE10hipError_tPvRmT0_T1_T2_T3_T4_T5_mmT6_P12ihipStream_tbEUlT_E_NS1_11comp_targetILNS1_3genE10ELNS1_11target_archE1200ELNS1_3gpuE4ELNS1_3repE0EEENS1_30default_config_static_selectorELNS0_4arch9wavefront6targetE0EEEvS10_
    .private_segment_fixed_size: 0
    .sgpr_count:     0
    .sgpr_spill_count: 0
    .symbol:         _ZN7rocprim17ROCPRIM_400000_NS6detail17trampoline_kernelINS0_14default_configENS1_21merge_config_selectorINS0_5tupleIJddEEENS0_10empty_typeEEEZNS1_10merge_implIS3_NS0_12zip_iteratorINS5_IJN6thrust23THRUST_200600_302600_NS6detail15normal_iteratorINSC_10device_ptrIKdEEEESI_EEEEESK_NSA_INS5_IJNSE_INSF_IdEEEESM_EEEEEPS7_SP_SP_NSC_11hip_rocprim7__merge17predicate_wrapperIddNSC_7greaterIdEEEEEE10hipError_tPvRmT0_T1_T2_T3_T4_T5_mmT6_P12ihipStream_tbEUlT_E_NS1_11comp_targetILNS1_3genE10ELNS1_11target_archE1200ELNS1_3gpuE4ELNS1_3repE0EEENS1_30default_config_static_selectorELNS0_4arch9wavefront6targetE0EEEvS10_.kd
    .uniform_work_group_size: 1
    .uses_dynamic_stack: false
    .vgpr_count:     0
    .vgpr_spill_count: 0
    .wavefront_size: 32
  - .args:
      - .offset:         0
        .size:           64
        .value_kind:     by_value
    .group_segment_fixed_size: 0
    .kernarg_segment_align: 8
    .kernarg_segment_size: 64
    .language:       OpenCL C
    .language_version:
      - 2
      - 0
    .max_flat_workgroup_size: 1024
    .name:           _ZN7rocprim17ROCPRIM_400000_NS6detail17trampoline_kernelINS0_14default_configENS1_21merge_config_selectorINS0_5tupleIJddEEENS0_10empty_typeEEEZNS1_10merge_implIS3_NS0_12zip_iteratorINS5_IJN6thrust23THRUST_200600_302600_NS6detail15normal_iteratorINSC_10device_ptrIKdEEEESI_EEEEESK_NSA_INS5_IJNSE_INSF_IdEEEESM_EEEEEPS7_SP_SP_NSC_11hip_rocprim7__merge17predicate_wrapperIddNSC_7greaterIdEEEEEE10hipError_tPvRmT0_T1_T2_T3_T4_T5_mmT6_P12ihipStream_tbEUlT_E_NS1_11comp_targetILNS1_3genE9ELNS1_11target_archE1100ELNS1_3gpuE3ELNS1_3repE0EEENS1_30default_config_static_selectorELNS0_4arch9wavefront6targetE0EEEvS10_
    .private_segment_fixed_size: 0
    .sgpr_count:     0
    .sgpr_spill_count: 0
    .symbol:         _ZN7rocprim17ROCPRIM_400000_NS6detail17trampoline_kernelINS0_14default_configENS1_21merge_config_selectorINS0_5tupleIJddEEENS0_10empty_typeEEEZNS1_10merge_implIS3_NS0_12zip_iteratorINS5_IJN6thrust23THRUST_200600_302600_NS6detail15normal_iteratorINSC_10device_ptrIKdEEEESI_EEEEESK_NSA_INS5_IJNSE_INSF_IdEEEESM_EEEEEPS7_SP_SP_NSC_11hip_rocprim7__merge17predicate_wrapperIddNSC_7greaterIdEEEEEE10hipError_tPvRmT0_T1_T2_T3_T4_T5_mmT6_P12ihipStream_tbEUlT_E_NS1_11comp_targetILNS1_3genE9ELNS1_11target_archE1100ELNS1_3gpuE3ELNS1_3repE0EEENS1_30default_config_static_selectorELNS0_4arch9wavefront6targetE0EEEvS10_.kd
    .uniform_work_group_size: 1
    .uses_dynamic_stack: false
    .vgpr_count:     0
    .vgpr_spill_count: 0
    .wavefront_size: 32
  - .args:
      - .offset:         0
        .size:           64
        .value_kind:     by_value
    .group_segment_fixed_size: 0
    .kernarg_segment_align: 8
    .kernarg_segment_size: 64
    .language:       OpenCL C
    .language_version:
      - 2
      - 0
    .max_flat_workgroup_size: 256
    .name:           _ZN7rocprim17ROCPRIM_400000_NS6detail17trampoline_kernelINS0_14default_configENS1_21merge_config_selectorINS0_5tupleIJddEEENS0_10empty_typeEEEZNS1_10merge_implIS3_NS0_12zip_iteratorINS5_IJN6thrust23THRUST_200600_302600_NS6detail15normal_iteratorINSC_10device_ptrIKdEEEESI_EEEEESK_NSA_INS5_IJNSE_INSF_IdEEEESM_EEEEEPS7_SP_SP_NSC_11hip_rocprim7__merge17predicate_wrapperIddNSC_7greaterIdEEEEEE10hipError_tPvRmT0_T1_T2_T3_T4_T5_mmT6_P12ihipStream_tbEUlT_E_NS1_11comp_targetILNS1_3genE8ELNS1_11target_archE1030ELNS1_3gpuE2ELNS1_3repE0EEENS1_30default_config_static_selectorELNS0_4arch9wavefront6targetE0EEEvS10_
    .private_segment_fixed_size: 0
    .sgpr_count:     0
    .sgpr_spill_count: 0
    .symbol:         _ZN7rocprim17ROCPRIM_400000_NS6detail17trampoline_kernelINS0_14default_configENS1_21merge_config_selectorINS0_5tupleIJddEEENS0_10empty_typeEEEZNS1_10merge_implIS3_NS0_12zip_iteratorINS5_IJN6thrust23THRUST_200600_302600_NS6detail15normal_iteratorINSC_10device_ptrIKdEEEESI_EEEEESK_NSA_INS5_IJNSE_INSF_IdEEEESM_EEEEEPS7_SP_SP_NSC_11hip_rocprim7__merge17predicate_wrapperIddNSC_7greaterIdEEEEEE10hipError_tPvRmT0_T1_T2_T3_T4_T5_mmT6_P12ihipStream_tbEUlT_E_NS1_11comp_targetILNS1_3genE8ELNS1_11target_archE1030ELNS1_3gpuE2ELNS1_3repE0EEENS1_30default_config_static_selectorELNS0_4arch9wavefront6targetE0EEEvS10_.kd
    .uniform_work_group_size: 1
    .uses_dynamic_stack: false
    .vgpr_count:     0
    .vgpr_spill_count: 0
    .wavefront_size: 32
  - .args:
      - .offset:         0
        .size:           112
        .value_kind:     by_value
    .group_segment_fixed_size: 16896
    .kernarg_segment_align: 8
    .kernarg_segment_size: 112
    .language:       OpenCL C
    .language_version:
      - 2
      - 0
    .max_flat_workgroup_size: 512
    .name:           _ZN7rocprim17ROCPRIM_400000_NS6detail17trampoline_kernelINS0_14default_configENS1_21merge_config_selectorINS0_5tupleIJddEEENS0_10empty_typeEEEZNS1_10merge_implIS3_NS0_12zip_iteratorINS5_IJN6thrust23THRUST_200600_302600_NS6detail15normal_iteratorINSC_10device_ptrIKdEEEESI_EEEEESK_NSA_INS5_IJNSE_INSF_IdEEEESM_EEEEEPS7_SP_SP_NSC_11hip_rocprim7__merge17predicate_wrapperIddNSC_7greaterIdEEEEEE10hipError_tPvRmT0_T1_T2_T3_T4_T5_mmT6_P12ihipStream_tbEUlT_E0_NS1_11comp_targetILNS1_3genE0ELNS1_11target_archE4294967295ELNS1_3gpuE0ELNS1_3repE0EEENS1_30default_config_static_selectorELNS0_4arch9wavefront6targetE0EEEvS10_
    .private_segment_fixed_size: 0
    .sgpr_count:     27
    .sgpr_spill_count: 0
    .symbol:         _ZN7rocprim17ROCPRIM_400000_NS6detail17trampoline_kernelINS0_14default_configENS1_21merge_config_selectorINS0_5tupleIJddEEENS0_10empty_typeEEEZNS1_10merge_implIS3_NS0_12zip_iteratorINS5_IJN6thrust23THRUST_200600_302600_NS6detail15normal_iteratorINSC_10device_ptrIKdEEEESI_EEEEESK_NSA_INS5_IJNSE_INSF_IdEEEESM_EEEEEPS7_SP_SP_NSC_11hip_rocprim7__merge17predicate_wrapperIddNSC_7greaterIdEEEEEE10hipError_tPvRmT0_T1_T2_T3_T4_T5_mmT6_P12ihipStream_tbEUlT_E0_NS1_11comp_targetILNS1_3genE0ELNS1_11target_archE4294967295ELNS1_3gpuE0ELNS1_3repE0EEENS1_30default_config_static_selectorELNS0_4arch9wavefront6targetE0EEEvS10_.kd
    .uniform_work_group_size: 1
    .uses_dynamic_stack: false
    .vgpr_count:     24
    .vgpr_spill_count: 0
    .wavefront_size: 32
  - .args:
      - .offset:         0
        .size:           112
        .value_kind:     by_value
    .group_segment_fixed_size: 0
    .kernarg_segment_align: 8
    .kernarg_segment_size: 112
    .language:       OpenCL C
    .language_version:
      - 2
      - 0
    .max_flat_workgroup_size: 256
    .name:           _ZN7rocprim17ROCPRIM_400000_NS6detail17trampoline_kernelINS0_14default_configENS1_21merge_config_selectorINS0_5tupleIJddEEENS0_10empty_typeEEEZNS1_10merge_implIS3_NS0_12zip_iteratorINS5_IJN6thrust23THRUST_200600_302600_NS6detail15normal_iteratorINSC_10device_ptrIKdEEEESI_EEEEESK_NSA_INS5_IJNSE_INSF_IdEEEESM_EEEEEPS7_SP_SP_NSC_11hip_rocprim7__merge17predicate_wrapperIddNSC_7greaterIdEEEEEE10hipError_tPvRmT0_T1_T2_T3_T4_T5_mmT6_P12ihipStream_tbEUlT_E0_NS1_11comp_targetILNS1_3genE5ELNS1_11target_archE942ELNS1_3gpuE9ELNS1_3repE0EEENS1_30default_config_static_selectorELNS0_4arch9wavefront6targetE0EEEvS10_
    .private_segment_fixed_size: 0
    .sgpr_count:     0
    .sgpr_spill_count: 0
    .symbol:         _ZN7rocprim17ROCPRIM_400000_NS6detail17trampoline_kernelINS0_14default_configENS1_21merge_config_selectorINS0_5tupleIJddEEENS0_10empty_typeEEEZNS1_10merge_implIS3_NS0_12zip_iteratorINS5_IJN6thrust23THRUST_200600_302600_NS6detail15normal_iteratorINSC_10device_ptrIKdEEEESI_EEEEESK_NSA_INS5_IJNSE_INSF_IdEEEESM_EEEEEPS7_SP_SP_NSC_11hip_rocprim7__merge17predicate_wrapperIddNSC_7greaterIdEEEEEE10hipError_tPvRmT0_T1_T2_T3_T4_T5_mmT6_P12ihipStream_tbEUlT_E0_NS1_11comp_targetILNS1_3genE5ELNS1_11target_archE942ELNS1_3gpuE9ELNS1_3repE0EEENS1_30default_config_static_selectorELNS0_4arch9wavefront6targetE0EEEvS10_.kd
    .uniform_work_group_size: 1
    .uses_dynamic_stack: false
    .vgpr_count:     0
    .vgpr_spill_count: 0
    .wavefront_size: 32
  - .args:
      - .offset:         0
        .size:           112
        .value_kind:     by_value
    .group_segment_fixed_size: 0
    .kernarg_segment_align: 8
    .kernarg_segment_size: 112
    .language:       OpenCL C
    .language_version:
      - 2
      - 0
    .max_flat_workgroup_size: 512
    .name:           _ZN7rocprim17ROCPRIM_400000_NS6detail17trampoline_kernelINS0_14default_configENS1_21merge_config_selectorINS0_5tupleIJddEEENS0_10empty_typeEEEZNS1_10merge_implIS3_NS0_12zip_iteratorINS5_IJN6thrust23THRUST_200600_302600_NS6detail15normal_iteratorINSC_10device_ptrIKdEEEESI_EEEEESK_NSA_INS5_IJNSE_INSF_IdEEEESM_EEEEEPS7_SP_SP_NSC_11hip_rocprim7__merge17predicate_wrapperIddNSC_7greaterIdEEEEEE10hipError_tPvRmT0_T1_T2_T3_T4_T5_mmT6_P12ihipStream_tbEUlT_E0_NS1_11comp_targetILNS1_3genE4ELNS1_11target_archE910ELNS1_3gpuE8ELNS1_3repE0EEENS1_30default_config_static_selectorELNS0_4arch9wavefront6targetE0EEEvS10_
    .private_segment_fixed_size: 0
    .sgpr_count:     0
    .sgpr_spill_count: 0
    .symbol:         _ZN7rocprim17ROCPRIM_400000_NS6detail17trampoline_kernelINS0_14default_configENS1_21merge_config_selectorINS0_5tupleIJddEEENS0_10empty_typeEEEZNS1_10merge_implIS3_NS0_12zip_iteratorINS5_IJN6thrust23THRUST_200600_302600_NS6detail15normal_iteratorINSC_10device_ptrIKdEEEESI_EEEEESK_NSA_INS5_IJNSE_INSF_IdEEEESM_EEEEEPS7_SP_SP_NSC_11hip_rocprim7__merge17predicate_wrapperIddNSC_7greaterIdEEEEEE10hipError_tPvRmT0_T1_T2_T3_T4_T5_mmT6_P12ihipStream_tbEUlT_E0_NS1_11comp_targetILNS1_3genE4ELNS1_11target_archE910ELNS1_3gpuE8ELNS1_3repE0EEENS1_30default_config_static_selectorELNS0_4arch9wavefront6targetE0EEEvS10_.kd
    .uniform_work_group_size: 1
    .uses_dynamic_stack: false
    .vgpr_count:     0
    .vgpr_spill_count: 0
    .wavefront_size: 32
  - .args:
      - .offset:         0
        .size:           112
        .value_kind:     by_value
    .group_segment_fixed_size: 0
    .kernarg_segment_align: 8
    .kernarg_segment_size: 112
    .language:       OpenCL C
    .language_version:
      - 2
      - 0
    .max_flat_workgroup_size: 512
    .name:           _ZN7rocprim17ROCPRIM_400000_NS6detail17trampoline_kernelINS0_14default_configENS1_21merge_config_selectorINS0_5tupleIJddEEENS0_10empty_typeEEEZNS1_10merge_implIS3_NS0_12zip_iteratorINS5_IJN6thrust23THRUST_200600_302600_NS6detail15normal_iteratorINSC_10device_ptrIKdEEEESI_EEEEESK_NSA_INS5_IJNSE_INSF_IdEEEESM_EEEEEPS7_SP_SP_NSC_11hip_rocprim7__merge17predicate_wrapperIddNSC_7greaterIdEEEEEE10hipError_tPvRmT0_T1_T2_T3_T4_T5_mmT6_P12ihipStream_tbEUlT_E0_NS1_11comp_targetILNS1_3genE3ELNS1_11target_archE908ELNS1_3gpuE7ELNS1_3repE0EEENS1_30default_config_static_selectorELNS0_4arch9wavefront6targetE0EEEvS10_
    .private_segment_fixed_size: 0
    .sgpr_count:     0
    .sgpr_spill_count: 0
    .symbol:         _ZN7rocprim17ROCPRIM_400000_NS6detail17trampoline_kernelINS0_14default_configENS1_21merge_config_selectorINS0_5tupleIJddEEENS0_10empty_typeEEEZNS1_10merge_implIS3_NS0_12zip_iteratorINS5_IJN6thrust23THRUST_200600_302600_NS6detail15normal_iteratorINSC_10device_ptrIKdEEEESI_EEEEESK_NSA_INS5_IJNSE_INSF_IdEEEESM_EEEEEPS7_SP_SP_NSC_11hip_rocprim7__merge17predicate_wrapperIddNSC_7greaterIdEEEEEE10hipError_tPvRmT0_T1_T2_T3_T4_T5_mmT6_P12ihipStream_tbEUlT_E0_NS1_11comp_targetILNS1_3genE3ELNS1_11target_archE908ELNS1_3gpuE7ELNS1_3repE0EEENS1_30default_config_static_selectorELNS0_4arch9wavefront6targetE0EEEvS10_.kd
    .uniform_work_group_size: 1
    .uses_dynamic_stack: false
    .vgpr_count:     0
    .vgpr_spill_count: 0
    .wavefront_size: 32
  - .args:
      - .offset:         0
        .size:           112
        .value_kind:     by_value
    .group_segment_fixed_size: 0
    .kernarg_segment_align: 8
    .kernarg_segment_size: 112
    .language:       OpenCL C
    .language_version:
      - 2
      - 0
    .max_flat_workgroup_size: 512
    .name:           _ZN7rocprim17ROCPRIM_400000_NS6detail17trampoline_kernelINS0_14default_configENS1_21merge_config_selectorINS0_5tupleIJddEEENS0_10empty_typeEEEZNS1_10merge_implIS3_NS0_12zip_iteratorINS5_IJN6thrust23THRUST_200600_302600_NS6detail15normal_iteratorINSC_10device_ptrIKdEEEESI_EEEEESK_NSA_INS5_IJNSE_INSF_IdEEEESM_EEEEEPS7_SP_SP_NSC_11hip_rocprim7__merge17predicate_wrapperIddNSC_7greaterIdEEEEEE10hipError_tPvRmT0_T1_T2_T3_T4_T5_mmT6_P12ihipStream_tbEUlT_E0_NS1_11comp_targetILNS1_3genE2ELNS1_11target_archE906ELNS1_3gpuE6ELNS1_3repE0EEENS1_30default_config_static_selectorELNS0_4arch9wavefront6targetE0EEEvS10_
    .private_segment_fixed_size: 0
    .sgpr_count:     0
    .sgpr_spill_count: 0
    .symbol:         _ZN7rocprim17ROCPRIM_400000_NS6detail17trampoline_kernelINS0_14default_configENS1_21merge_config_selectorINS0_5tupleIJddEEENS0_10empty_typeEEEZNS1_10merge_implIS3_NS0_12zip_iteratorINS5_IJN6thrust23THRUST_200600_302600_NS6detail15normal_iteratorINSC_10device_ptrIKdEEEESI_EEEEESK_NSA_INS5_IJNSE_INSF_IdEEEESM_EEEEEPS7_SP_SP_NSC_11hip_rocprim7__merge17predicate_wrapperIddNSC_7greaterIdEEEEEE10hipError_tPvRmT0_T1_T2_T3_T4_T5_mmT6_P12ihipStream_tbEUlT_E0_NS1_11comp_targetILNS1_3genE2ELNS1_11target_archE906ELNS1_3gpuE6ELNS1_3repE0EEENS1_30default_config_static_selectorELNS0_4arch9wavefront6targetE0EEEvS10_.kd
    .uniform_work_group_size: 1
    .uses_dynamic_stack: false
    .vgpr_count:     0
    .vgpr_spill_count: 0
    .wavefront_size: 32
  - .args:
      - .offset:         0
        .size:           112
        .value_kind:     by_value
    .group_segment_fixed_size: 0
    .kernarg_segment_align: 8
    .kernarg_segment_size: 112
    .language:       OpenCL C
    .language_version:
      - 2
      - 0
    .max_flat_workgroup_size: 512
    .name:           _ZN7rocprim17ROCPRIM_400000_NS6detail17trampoline_kernelINS0_14default_configENS1_21merge_config_selectorINS0_5tupleIJddEEENS0_10empty_typeEEEZNS1_10merge_implIS3_NS0_12zip_iteratorINS5_IJN6thrust23THRUST_200600_302600_NS6detail15normal_iteratorINSC_10device_ptrIKdEEEESI_EEEEESK_NSA_INS5_IJNSE_INSF_IdEEEESM_EEEEEPS7_SP_SP_NSC_11hip_rocprim7__merge17predicate_wrapperIddNSC_7greaterIdEEEEEE10hipError_tPvRmT0_T1_T2_T3_T4_T5_mmT6_P12ihipStream_tbEUlT_E0_NS1_11comp_targetILNS1_3genE10ELNS1_11target_archE1201ELNS1_3gpuE5ELNS1_3repE0EEENS1_30default_config_static_selectorELNS0_4arch9wavefront6targetE0EEEvS10_
    .private_segment_fixed_size: 0
    .sgpr_count:     0
    .sgpr_spill_count: 0
    .symbol:         _ZN7rocprim17ROCPRIM_400000_NS6detail17trampoline_kernelINS0_14default_configENS1_21merge_config_selectorINS0_5tupleIJddEEENS0_10empty_typeEEEZNS1_10merge_implIS3_NS0_12zip_iteratorINS5_IJN6thrust23THRUST_200600_302600_NS6detail15normal_iteratorINSC_10device_ptrIKdEEEESI_EEEEESK_NSA_INS5_IJNSE_INSF_IdEEEESM_EEEEEPS7_SP_SP_NSC_11hip_rocprim7__merge17predicate_wrapperIddNSC_7greaterIdEEEEEE10hipError_tPvRmT0_T1_T2_T3_T4_T5_mmT6_P12ihipStream_tbEUlT_E0_NS1_11comp_targetILNS1_3genE10ELNS1_11target_archE1201ELNS1_3gpuE5ELNS1_3repE0EEENS1_30default_config_static_selectorELNS0_4arch9wavefront6targetE0EEEvS10_.kd
    .uniform_work_group_size: 1
    .uses_dynamic_stack: false
    .vgpr_count:     0
    .vgpr_spill_count: 0
    .wavefront_size: 32
  - .args:
      - .offset:         0
        .size:           112
        .value_kind:     by_value
    .group_segment_fixed_size: 0
    .kernarg_segment_align: 8
    .kernarg_segment_size: 112
    .language:       OpenCL C
    .language_version:
      - 2
      - 0
    .max_flat_workgroup_size: 256
    .name:           _ZN7rocprim17ROCPRIM_400000_NS6detail17trampoline_kernelINS0_14default_configENS1_21merge_config_selectorINS0_5tupleIJddEEENS0_10empty_typeEEEZNS1_10merge_implIS3_NS0_12zip_iteratorINS5_IJN6thrust23THRUST_200600_302600_NS6detail15normal_iteratorINSC_10device_ptrIKdEEEESI_EEEEESK_NSA_INS5_IJNSE_INSF_IdEEEESM_EEEEEPS7_SP_SP_NSC_11hip_rocprim7__merge17predicate_wrapperIddNSC_7greaterIdEEEEEE10hipError_tPvRmT0_T1_T2_T3_T4_T5_mmT6_P12ihipStream_tbEUlT_E0_NS1_11comp_targetILNS1_3genE10ELNS1_11target_archE1200ELNS1_3gpuE4ELNS1_3repE0EEENS1_30default_config_static_selectorELNS0_4arch9wavefront6targetE0EEEvS10_
    .private_segment_fixed_size: 0
    .sgpr_count:     0
    .sgpr_spill_count: 0
    .symbol:         _ZN7rocprim17ROCPRIM_400000_NS6detail17trampoline_kernelINS0_14default_configENS1_21merge_config_selectorINS0_5tupleIJddEEENS0_10empty_typeEEEZNS1_10merge_implIS3_NS0_12zip_iteratorINS5_IJN6thrust23THRUST_200600_302600_NS6detail15normal_iteratorINSC_10device_ptrIKdEEEESI_EEEEESK_NSA_INS5_IJNSE_INSF_IdEEEESM_EEEEEPS7_SP_SP_NSC_11hip_rocprim7__merge17predicate_wrapperIddNSC_7greaterIdEEEEEE10hipError_tPvRmT0_T1_T2_T3_T4_T5_mmT6_P12ihipStream_tbEUlT_E0_NS1_11comp_targetILNS1_3genE10ELNS1_11target_archE1200ELNS1_3gpuE4ELNS1_3repE0EEENS1_30default_config_static_selectorELNS0_4arch9wavefront6targetE0EEEvS10_.kd
    .uniform_work_group_size: 1
    .uses_dynamic_stack: false
    .vgpr_count:     0
    .vgpr_spill_count: 0
    .wavefront_size: 32
  - .args:
      - .offset:         0
        .size:           112
        .value_kind:     by_value
    .group_segment_fixed_size: 0
    .kernarg_segment_align: 8
    .kernarg_segment_size: 112
    .language:       OpenCL C
    .language_version:
      - 2
      - 0
    .max_flat_workgroup_size: 1024
    .name:           _ZN7rocprim17ROCPRIM_400000_NS6detail17trampoline_kernelINS0_14default_configENS1_21merge_config_selectorINS0_5tupleIJddEEENS0_10empty_typeEEEZNS1_10merge_implIS3_NS0_12zip_iteratorINS5_IJN6thrust23THRUST_200600_302600_NS6detail15normal_iteratorINSC_10device_ptrIKdEEEESI_EEEEESK_NSA_INS5_IJNSE_INSF_IdEEEESM_EEEEEPS7_SP_SP_NSC_11hip_rocprim7__merge17predicate_wrapperIddNSC_7greaterIdEEEEEE10hipError_tPvRmT0_T1_T2_T3_T4_T5_mmT6_P12ihipStream_tbEUlT_E0_NS1_11comp_targetILNS1_3genE9ELNS1_11target_archE1100ELNS1_3gpuE3ELNS1_3repE0EEENS1_30default_config_static_selectorELNS0_4arch9wavefront6targetE0EEEvS10_
    .private_segment_fixed_size: 0
    .sgpr_count:     0
    .sgpr_spill_count: 0
    .symbol:         _ZN7rocprim17ROCPRIM_400000_NS6detail17trampoline_kernelINS0_14default_configENS1_21merge_config_selectorINS0_5tupleIJddEEENS0_10empty_typeEEEZNS1_10merge_implIS3_NS0_12zip_iteratorINS5_IJN6thrust23THRUST_200600_302600_NS6detail15normal_iteratorINSC_10device_ptrIKdEEEESI_EEEEESK_NSA_INS5_IJNSE_INSF_IdEEEESM_EEEEEPS7_SP_SP_NSC_11hip_rocprim7__merge17predicate_wrapperIddNSC_7greaterIdEEEEEE10hipError_tPvRmT0_T1_T2_T3_T4_T5_mmT6_P12ihipStream_tbEUlT_E0_NS1_11comp_targetILNS1_3genE9ELNS1_11target_archE1100ELNS1_3gpuE3ELNS1_3repE0EEENS1_30default_config_static_selectorELNS0_4arch9wavefront6targetE0EEEvS10_.kd
    .uniform_work_group_size: 1
    .uses_dynamic_stack: false
    .vgpr_count:     0
    .vgpr_spill_count: 0
    .wavefront_size: 32
  - .args:
      - .offset:         0
        .size:           112
        .value_kind:     by_value
    .group_segment_fixed_size: 0
    .kernarg_segment_align: 8
    .kernarg_segment_size: 112
    .language:       OpenCL C
    .language_version:
      - 2
      - 0
    .max_flat_workgroup_size: 256
    .name:           _ZN7rocprim17ROCPRIM_400000_NS6detail17trampoline_kernelINS0_14default_configENS1_21merge_config_selectorINS0_5tupleIJddEEENS0_10empty_typeEEEZNS1_10merge_implIS3_NS0_12zip_iteratorINS5_IJN6thrust23THRUST_200600_302600_NS6detail15normal_iteratorINSC_10device_ptrIKdEEEESI_EEEEESK_NSA_INS5_IJNSE_INSF_IdEEEESM_EEEEEPS7_SP_SP_NSC_11hip_rocprim7__merge17predicate_wrapperIddNSC_7greaterIdEEEEEE10hipError_tPvRmT0_T1_T2_T3_T4_T5_mmT6_P12ihipStream_tbEUlT_E0_NS1_11comp_targetILNS1_3genE8ELNS1_11target_archE1030ELNS1_3gpuE2ELNS1_3repE0EEENS1_30default_config_static_selectorELNS0_4arch9wavefront6targetE0EEEvS10_
    .private_segment_fixed_size: 0
    .sgpr_count:     0
    .sgpr_spill_count: 0
    .symbol:         _ZN7rocprim17ROCPRIM_400000_NS6detail17trampoline_kernelINS0_14default_configENS1_21merge_config_selectorINS0_5tupleIJddEEENS0_10empty_typeEEEZNS1_10merge_implIS3_NS0_12zip_iteratorINS5_IJN6thrust23THRUST_200600_302600_NS6detail15normal_iteratorINSC_10device_ptrIKdEEEESI_EEEEESK_NSA_INS5_IJNSE_INSF_IdEEEESM_EEEEEPS7_SP_SP_NSC_11hip_rocprim7__merge17predicate_wrapperIddNSC_7greaterIdEEEEEE10hipError_tPvRmT0_T1_T2_T3_T4_T5_mmT6_P12ihipStream_tbEUlT_E0_NS1_11comp_targetILNS1_3genE8ELNS1_11target_archE1030ELNS1_3gpuE2ELNS1_3repE0EEENS1_30default_config_static_selectorELNS0_4arch9wavefront6targetE0EEEvS10_.kd
    .uniform_work_group_size: 1
    .uses_dynamic_stack: false
    .vgpr_count:     0
    .vgpr_spill_count: 0
    .wavefront_size: 32
  - .args:
      - .offset:         0
        .size:           64
        .value_kind:     by_value
      - .offset:         64
        .size:           4
        .value_kind:     hidden_block_count_x
      - .offset:         68
        .size:           4
        .value_kind:     hidden_block_count_y
      - .offset:         72
        .size:           4
        .value_kind:     hidden_block_count_z
      - .offset:         76
        .size:           2
        .value_kind:     hidden_group_size_x
      - .offset:         78
        .size:           2
        .value_kind:     hidden_group_size_y
      - .offset:         80
        .size:           2
        .value_kind:     hidden_group_size_z
      - .offset:         82
        .size:           2
        .value_kind:     hidden_remainder_x
      - .offset:         84
        .size:           2
        .value_kind:     hidden_remainder_y
      - .offset:         86
        .size:           2
        .value_kind:     hidden_remainder_z
      - .offset:         104
        .size:           8
        .value_kind:     hidden_global_offset_x
      - .offset:         112
        .size:           8
        .value_kind:     hidden_global_offset_y
      - .offset:         120
        .size:           8
        .value_kind:     hidden_global_offset_z
      - .offset:         128
        .size:           2
        .value_kind:     hidden_grid_dims
    .group_segment_fixed_size: 0
    .kernarg_segment_align: 8
    .kernarg_segment_size: 320
    .language:       OpenCL C
    .language_version:
      - 2
      - 0
    .max_flat_workgroup_size: 256
    .name:           _ZN7rocprim17ROCPRIM_400000_NS6detail17trampoline_kernelINS0_14default_configENS1_21merge_config_selectorINS0_5tupleIJffEEENS0_10empty_typeEEEZNS1_10merge_implIS3_NS0_12zip_iteratorINS5_IJN6thrust23THRUST_200600_302600_NS6detail15normal_iteratorINSC_10device_ptrIKfEEEESI_EEEEESK_NSA_INS5_IJNSE_INSF_IfEEEESM_EEEEEPS7_SP_SP_NSC_11hip_rocprim7__merge17predicate_wrapperIffNSC_7greaterIfEEEEEE10hipError_tPvRmT0_T1_T2_T3_T4_T5_mmT6_P12ihipStream_tbEUlT_E_NS1_11comp_targetILNS1_3genE0ELNS1_11target_archE4294967295ELNS1_3gpuE0ELNS1_3repE0EEENS1_30default_config_static_selectorELNS0_4arch9wavefront6targetE0EEEvS10_
    .private_segment_fixed_size: 0
    .sgpr_count:     16
    .sgpr_spill_count: 0
    .symbol:         _ZN7rocprim17ROCPRIM_400000_NS6detail17trampoline_kernelINS0_14default_configENS1_21merge_config_selectorINS0_5tupleIJffEEENS0_10empty_typeEEEZNS1_10merge_implIS3_NS0_12zip_iteratorINS5_IJN6thrust23THRUST_200600_302600_NS6detail15normal_iteratorINSC_10device_ptrIKfEEEESI_EEEEESK_NSA_INS5_IJNSE_INSF_IfEEEESM_EEEEEPS7_SP_SP_NSC_11hip_rocprim7__merge17predicate_wrapperIffNSC_7greaterIfEEEEEE10hipError_tPvRmT0_T1_T2_T3_T4_T5_mmT6_P12ihipStream_tbEUlT_E_NS1_11comp_targetILNS1_3genE0ELNS1_11target_archE4294967295ELNS1_3gpuE0ELNS1_3repE0EEENS1_30default_config_static_selectorELNS0_4arch9wavefront6targetE0EEEvS10_.kd
    .uniform_work_group_size: 1
    .uses_dynamic_stack: false
    .vgpr_count:     15
    .vgpr_spill_count: 0
    .wavefront_size: 32
  - .args:
      - .offset:         0
        .size:           64
        .value_kind:     by_value
    .group_segment_fixed_size: 0
    .kernarg_segment_align: 8
    .kernarg_segment_size: 64
    .language:       OpenCL C
    .language_version:
      - 2
      - 0
    .max_flat_workgroup_size: 256
    .name:           _ZN7rocprim17ROCPRIM_400000_NS6detail17trampoline_kernelINS0_14default_configENS1_21merge_config_selectorINS0_5tupleIJffEEENS0_10empty_typeEEEZNS1_10merge_implIS3_NS0_12zip_iteratorINS5_IJN6thrust23THRUST_200600_302600_NS6detail15normal_iteratorINSC_10device_ptrIKfEEEESI_EEEEESK_NSA_INS5_IJNSE_INSF_IfEEEESM_EEEEEPS7_SP_SP_NSC_11hip_rocprim7__merge17predicate_wrapperIffNSC_7greaterIfEEEEEE10hipError_tPvRmT0_T1_T2_T3_T4_T5_mmT6_P12ihipStream_tbEUlT_E_NS1_11comp_targetILNS1_3genE5ELNS1_11target_archE942ELNS1_3gpuE9ELNS1_3repE0EEENS1_30default_config_static_selectorELNS0_4arch9wavefront6targetE0EEEvS10_
    .private_segment_fixed_size: 0
    .sgpr_count:     0
    .sgpr_spill_count: 0
    .symbol:         _ZN7rocprim17ROCPRIM_400000_NS6detail17trampoline_kernelINS0_14default_configENS1_21merge_config_selectorINS0_5tupleIJffEEENS0_10empty_typeEEEZNS1_10merge_implIS3_NS0_12zip_iteratorINS5_IJN6thrust23THRUST_200600_302600_NS6detail15normal_iteratorINSC_10device_ptrIKfEEEESI_EEEEESK_NSA_INS5_IJNSE_INSF_IfEEEESM_EEEEEPS7_SP_SP_NSC_11hip_rocprim7__merge17predicate_wrapperIffNSC_7greaterIfEEEEEE10hipError_tPvRmT0_T1_T2_T3_T4_T5_mmT6_P12ihipStream_tbEUlT_E_NS1_11comp_targetILNS1_3genE5ELNS1_11target_archE942ELNS1_3gpuE9ELNS1_3repE0EEENS1_30default_config_static_selectorELNS0_4arch9wavefront6targetE0EEEvS10_.kd
    .uniform_work_group_size: 1
    .uses_dynamic_stack: false
    .vgpr_count:     0
    .vgpr_spill_count: 0
    .wavefront_size: 32
  - .args:
      - .offset:         0
        .size:           64
        .value_kind:     by_value
    .group_segment_fixed_size: 0
    .kernarg_segment_align: 8
    .kernarg_segment_size: 64
    .language:       OpenCL C
    .language_version:
      - 2
      - 0
    .max_flat_workgroup_size: 256
    .name:           _ZN7rocprim17ROCPRIM_400000_NS6detail17trampoline_kernelINS0_14default_configENS1_21merge_config_selectorINS0_5tupleIJffEEENS0_10empty_typeEEEZNS1_10merge_implIS3_NS0_12zip_iteratorINS5_IJN6thrust23THRUST_200600_302600_NS6detail15normal_iteratorINSC_10device_ptrIKfEEEESI_EEEEESK_NSA_INS5_IJNSE_INSF_IfEEEESM_EEEEEPS7_SP_SP_NSC_11hip_rocprim7__merge17predicate_wrapperIffNSC_7greaterIfEEEEEE10hipError_tPvRmT0_T1_T2_T3_T4_T5_mmT6_P12ihipStream_tbEUlT_E_NS1_11comp_targetILNS1_3genE4ELNS1_11target_archE910ELNS1_3gpuE8ELNS1_3repE0EEENS1_30default_config_static_selectorELNS0_4arch9wavefront6targetE0EEEvS10_
    .private_segment_fixed_size: 0
    .sgpr_count:     0
    .sgpr_spill_count: 0
    .symbol:         _ZN7rocprim17ROCPRIM_400000_NS6detail17trampoline_kernelINS0_14default_configENS1_21merge_config_selectorINS0_5tupleIJffEEENS0_10empty_typeEEEZNS1_10merge_implIS3_NS0_12zip_iteratorINS5_IJN6thrust23THRUST_200600_302600_NS6detail15normal_iteratorINSC_10device_ptrIKfEEEESI_EEEEESK_NSA_INS5_IJNSE_INSF_IfEEEESM_EEEEEPS7_SP_SP_NSC_11hip_rocprim7__merge17predicate_wrapperIffNSC_7greaterIfEEEEEE10hipError_tPvRmT0_T1_T2_T3_T4_T5_mmT6_P12ihipStream_tbEUlT_E_NS1_11comp_targetILNS1_3genE4ELNS1_11target_archE910ELNS1_3gpuE8ELNS1_3repE0EEENS1_30default_config_static_selectorELNS0_4arch9wavefront6targetE0EEEvS10_.kd
    .uniform_work_group_size: 1
    .uses_dynamic_stack: false
    .vgpr_count:     0
    .vgpr_spill_count: 0
    .wavefront_size: 32
  - .args:
      - .offset:         0
        .size:           64
        .value_kind:     by_value
    .group_segment_fixed_size: 0
    .kernarg_segment_align: 8
    .kernarg_segment_size: 64
    .language:       OpenCL C
    .language_version:
      - 2
      - 0
    .max_flat_workgroup_size: 256
    .name:           _ZN7rocprim17ROCPRIM_400000_NS6detail17trampoline_kernelINS0_14default_configENS1_21merge_config_selectorINS0_5tupleIJffEEENS0_10empty_typeEEEZNS1_10merge_implIS3_NS0_12zip_iteratorINS5_IJN6thrust23THRUST_200600_302600_NS6detail15normal_iteratorINSC_10device_ptrIKfEEEESI_EEEEESK_NSA_INS5_IJNSE_INSF_IfEEEESM_EEEEEPS7_SP_SP_NSC_11hip_rocprim7__merge17predicate_wrapperIffNSC_7greaterIfEEEEEE10hipError_tPvRmT0_T1_T2_T3_T4_T5_mmT6_P12ihipStream_tbEUlT_E_NS1_11comp_targetILNS1_3genE3ELNS1_11target_archE908ELNS1_3gpuE7ELNS1_3repE0EEENS1_30default_config_static_selectorELNS0_4arch9wavefront6targetE0EEEvS10_
    .private_segment_fixed_size: 0
    .sgpr_count:     0
    .sgpr_spill_count: 0
    .symbol:         _ZN7rocprim17ROCPRIM_400000_NS6detail17trampoline_kernelINS0_14default_configENS1_21merge_config_selectorINS0_5tupleIJffEEENS0_10empty_typeEEEZNS1_10merge_implIS3_NS0_12zip_iteratorINS5_IJN6thrust23THRUST_200600_302600_NS6detail15normal_iteratorINSC_10device_ptrIKfEEEESI_EEEEESK_NSA_INS5_IJNSE_INSF_IfEEEESM_EEEEEPS7_SP_SP_NSC_11hip_rocprim7__merge17predicate_wrapperIffNSC_7greaterIfEEEEEE10hipError_tPvRmT0_T1_T2_T3_T4_T5_mmT6_P12ihipStream_tbEUlT_E_NS1_11comp_targetILNS1_3genE3ELNS1_11target_archE908ELNS1_3gpuE7ELNS1_3repE0EEENS1_30default_config_static_selectorELNS0_4arch9wavefront6targetE0EEEvS10_.kd
    .uniform_work_group_size: 1
    .uses_dynamic_stack: false
    .vgpr_count:     0
    .vgpr_spill_count: 0
    .wavefront_size: 32
  - .args:
      - .offset:         0
        .size:           64
        .value_kind:     by_value
    .group_segment_fixed_size: 0
    .kernarg_segment_align: 8
    .kernarg_segment_size: 64
    .language:       OpenCL C
    .language_version:
      - 2
      - 0
    .max_flat_workgroup_size: 256
    .name:           _ZN7rocprim17ROCPRIM_400000_NS6detail17trampoline_kernelINS0_14default_configENS1_21merge_config_selectorINS0_5tupleIJffEEENS0_10empty_typeEEEZNS1_10merge_implIS3_NS0_12zip_iteratorINS5_IJN6thrust23THRUST_200600_302600_NS6detail15normal_iteratorINSC_10device_ptrIKfEEEESI_EEEEESK_NSA_INS5_IJNSE_INSF_IfEEEESM_EEEEEPS7_SP_SP_NSC_11hip_rocprim7__merge17predicate_wrapperIffNSC_7greaterIfEEEEEE10hipError_tPvRmT0_T1_T2_T3_T4_T5_mmT6_P12ihipStream_tbEUlT_E_NS1_11comp_targetILNS1_3genE2ELNS1_11target_archE906ELNS1_3gpuE6ELNS1_3repE0EEENS1_30default_config_static_selectorELNS0_4arch9wavefront6targetE0EEEvS10_
    .private_segment_fixed_size: 0
    .sgpr_count:     0
    .sgpr_spill_count: 0
    .symbol:         _ZN7rocprim17ROCPRIM_400000_NS6detail17trampoline_kernelINS0_14default_configENS1_21merge_config_selectorINS0_5tupleIJffEEENS0_10empty_typeEEEZNS1_10merge_implIS3_NS0_12zip_iteratorINS5_IJN6thrust23THRUST_200600_302600_NS6detail15normal_iteratorINSC_10device_ptrIKfEEEESI_EEEEESK_NSA_INS5_IJNSE_INSF_IfEEEESM_EEEEEPS7_SP_SP_NSC_11hip_rocprim7__merge17predicate_wrapperIffNSC_7greaterIfEEEEEE10hipError_tPvRmT0_T1_T2_T3_T4_T5_mmT6_P12ihipStream_tbEUlT_E_NS1_11comp_targetILNS1_3genE2ELNS1_11target_archE906ELNS1_3gpuE6ELNS1_3repE0EEENS1_30default_config_static_selectorELNS0_4arch9wavefront6targetE0EEEvS10_.kd
    .uniform_work_group_size: 1
    .uses_dynamic_stack: false
    .vgpr_count:     0
    .vgpr_spill_count: 0
    .wavefront_size: 32
  - .args:
      - .offset:         0
        .size:           64
        .value_kind:     by_value
    .group_segment_fixed_size: 0
    .kernarg_segment_align: 8
    .kernarg_segment_size: 64
    .language:       OpenCL C
    .language_version:
      - 2
      - 0
    .max_flat_workgroup_size: 512
    .name:           _ZN7rocprim17ROCPRIM_400000_NS6detail17trampoline_kernelINS0_14default_configENS1_21merge_config_selectorINS0_5tupleIJffEEENS0_10empty_typeEEEZNS1_10merge_implIS3_NS0_12zip_iteratorINS5_IJN6thrust23THRUST_200600_302600_NS6detail15normal_iteratorINSC_10device_ptrIKfEEEESI_EEEEESK_NSA_INS5_IJNSE_INSF_IfEEEESM_EEEEEPS7_SP_SP_NSC_11hip_rocprim7__merge17predicate_wrapperIffNSC_7greaterIfEEEEEE10hipError_tPvRmT0_T1_T2_T3_T4_T5_mmT6_P12ihipStream_tbEUlT_E_NS1_11comp_targetILNS1_3genE10ELNS1_11target_archE1201ELNS1_3gpuE5ELNS1_3repE0EEENS1_30default_config_static_selectorELNS0_4arch9wavefront6targetE0EEEvS10_
    .private_segment_fixed_size: 0
    .sgpr_count:     0
    .sgpr_spill_count: 0
    .symbol:         _ZN7rocprim17ROCPRIM_400000_NS6detail17trampoline_kernelINS0_14default_configENS1_21merge_config_selectorINS0_5tupleIJffEEENS0_10empty_typeEEEZNS1_10merge_implIS3_NS0_12zip_iteratorINS5_IJN6thrust23THRUST_200600_302600_NS6detail15normal_iteratorINSC_10device_ptrIKfEEEESI_EEEEESK_NSA_INS5_IJNSE_INSF_IfEEEESM_EEEEEPS7_SP_SP_NSC_11hip_rocprim7__merge17predicate_wrapperIffNSC_7greaterIfEEEEEE10hipError_tPvRmT0_T1_T2_T3_T4_T5_mmT6_P12ihipStream_tbEUlT_E_NS1_11comp_targetILNS1_3genE10ELNS1_11target_archE1201ELNS1_3gpuE5ELNS1_3repE0EEENS1_30default_config_static_selectorELNS0_4arch9wavefront6targetE0EEEvS10_.kd
    .uniform_work_group_size: 1
    .uses_dynamic_stack: false
    .vgpr_count:     0
    .vgpr_spill_count: 0
    .wavefront_size: 32
  - .args:
      - .offset:         0
        .size:           64
        .value_kind:     by_value
    .group_segment_fixed_size: 0
    .kernarg_segment_align: 8
    .kernarg_segment_size: 64
    .language:       OpenCL C
    .language_version:
      - 2
      - 0
    .max_flat_workgroup_size: 1024
    .name:           _ZN7rocprim17ROCPRIM_400000_NS6detail17trampoline_kernelINS0_14default_configENS1_21merge_config_selectorINS0_5tupleIJffEEENS0_10empty_typeEEEZNS1_10merge_implIS3_NS0_12zip_iteratorINS5_IJN6thrust23THRUST_200600_302600_NS6detail15normal_iteratorINSC_10device_ptrIKfEEEESI_EEEEESK_NSA_INS5_IJNSE_INSF_IfEEEESM_EEEEEPS7_SP_SP_NSC_11hip_rocprim7__merge17predicate_wrapperIffNSC_7greaterIfEEEEEE10hipError_tPvRmT0_T1_T2_T3_T4_T5_mmT6_P12ihipStream_tbEUlT_E_NS1_11comp_targetILNS1_3genE10ELNS1_11target_archE1200ELNS1_3gpuE4ELNS1_3repE0EEENS1_30default_config_static_selectorELNS0_4arch9wavefront6targetE0EEEvS10_
    .private_segment_fixed_size: 0
    .sgpr_count:     0
    .sgpr_spill_count: 0
    .symbol:         _ZN7rocprim17ROCPRIM_400000_NS6detail17trampoline_kernelINS0_14default_configENS1_21merge_config_selectorINS0_5tupleIJffEEENS0_10empty_typeEEEZNS1_10merge_implIS3_NS0_12zip_iteratorINS5_IJN6thrust23THRUST_200600_302600_NS6detail15normal_iteratorINSC_10device_ptrIKfEEEESI_EEEEESK_NSA_INS5_IJNSE_INSF_IfEEEESM_EEEEEPS7_SP_SP_NSC_11hip_rocprim7__merge17predicate_wrapperIffNSC_7greaterIfEEEEEE10hipError_tPvRmT0_T1_T2_T3_T4_T5_mmT6_P12ihipStream_tbEUlT_E_NS1_11comp_targetILNS1_3genE10ELNS1_11target_archE1200ELNS1_3gpuE4ELNS1_3repE0EEENS1_30default_config_static_selectorELNS0_4arch9wavefront6targetE0EEEvS10_.kd
    .uniform_work_group_size: 1
    .uses_dynamic_stack: false
    .vgpr_count:     0
    .vgpr_spill_count: 0
    .wavefront_size: 32
  - .args:
      - .offset:         0
        .size:           64
        .value_kind:     by_value
    .group_segment_fixed_size: 0
    .kernarg_segment_align: 8
    .kernarg_segment_size: 64
    .language:       OpenCL C
    .language_version:
      - 2
      - 0
    .max_flat_workgroup_size: 1024
    .name:           _ZN7rocprim17ROCPRIM_400000_NS6detail17trampoline_kernelINS0_14default_configENS1_21merge_config_selectorINS0_5tupleIJffEEENS0_10empty_typeEEEZNS1_10merge_implIS3_NS0_12zip_iteratorINS5_IJN6thrust23THRUST_200600_302600_NS6detail15normal_iteratorINSC_10device_ptrIKfEEEESI_EEEEESK_NSA_INS5_IJNSE_INSF_IfEEEESM_EEEEEPS7_SP_SP_NSC_11hip_rocprim7__merge17predicate_wrapperIffNSC_7greaterIfEEEEEE10hipError_tPvRmT0_T1_T2_T3_T4_T5_mmT6_P12ihipStream_tbEUlT_E_NS1_11comp_targetILNS1_3genE9ELNS1_11target_archE1100ELNS1_3gpuE3ELNS1_3repE0EEENS1_30default_config_static_selectorELNS0_4arch9wavefront6targetE0EEEvS10_
    .private_segment_fixed_size: 0
    .sgpr_count:     0
    .sgpr_spill_count: 0
    .symbol:         _ZN7rocprim17ROCPRIM_400000_NS6detail17trampoline_kernelINS0_14default_configENS1_21merge_config_selectorINS0_5tupleIJffEEENS0_10empty_typeEEEZNS1_10merge_implIS3_NS0_12zip_iteratorINS5_IJN6thrust23THRUST_200600_302600_NS6detail15normal_iteratorINSC_10device_ptrIKfEEEESI_EEEEESK_NSA_INS5_IJNSE_INSF_IfEEEESM_EEEEEPS7_SP_SP_NSC_11hip_rocprim7__merge17predicate_wrapperIffNSC_7greaterIfEEEEEE10hipError_tPvRmT0_T1_T2_T3_T4_T5_mmT6_P12ihipStream_tbEUlT_E_NS1_11comp_targetILNS1_3genE9ELNS1_11target_archE1100ELNS1_3gpuE3ELNS1_3repE0EEENS1_30default_config_static_selectorELNS0_4arch9wavefront6targetE0EEEvS10_.kd
    .uniform_work_group_size: 1
    .uses_dynamic_stack: false
    .vgpr_count:     0
    .vgpr_spill_count: 0
    .wavefront_size: 32
  - .args:
      - .offset:         0
        .size:           64
        .value_kind:     by_value
    .group_segment_fixed_size: 0
    .kernarg_segment_align: 8
    .kernarg_segment_size: 64
    .language:       OpenCL C
    .language_version:
      - 2
      - 0
    .max_flat_workgroup_size: 256
    .name:           _ZN7rocprim17ROCPRIM_400000_NS6detail17trampoline_kernelINS0_14default_configENS1_21merge_config_selectorINS0_5tupleIJffEEENS0_10empty_typeEEEZNS1_10merge_implIS3_NS0_12zip_iteratorINS5_IJN6thrust23THRUST_200600_302600_NS6detail15normal_iteratorINSC_10device_ptrIKfEEEESI_EEEEESK_NSA_INS5_IJNSE_INSF_IfEEEESM_EEEEEPS7_SP_SP_NSC_11hip_rocprim7__merge17predicate_wrapperIffNSC_7greaterIfEEEEEE10hipError_tPvRmT0_T1_T2_T3_T4_T5_mmT6_P12ihipStream_tbEUlT_E_NS1_11comp_targetILNS1_3genE8ELNS1_11target_archE1030ELNS1_3gpuE2ELNS1_3repE0EEENS1_30default_config_static_selectorELNS0_4arch9wavefront6targetE0EEEvS10_
    .private_segment_fixed_size: 0
    .sgpr_count:     0
    .sgpr_spill_count: 0
    .symbol:         _ZN7rocprim17ROCPRIM_400000_NS6detail17trampoline_kernelINS0_14default_configENS1_21merge_config_selectorINS0_5tupleIJffEEENS0_10empty_typeEEEZNS1_10merge_implIS3_NS0_12zip_iteratorINS5_IJN6thrust23THRUST_200600_302600_NS6detail15normal_iteratorINSC_10device_ptrIKfEEEESI_EEEEESK_NSA_INS5_IJNSE_INSF_IfEEEESM_EEEEEPS7_SP_SP_NSC_11hip_rocprim7__merge17predicate_wrapperIffNSC_7greaterIfEEEEEE10hipError_tPvRmT0_T1_T2_T3_T4_T5_mmT6_P12ihipStream_tbEUlT_E_NS1_11comp_targetILNS1_3genE8ELNS1_11target_archE1030ELNS1_3gpuE2ELNS1_3repE0EEENS1_30default_config_static_selectorELNS0_4arch9wavefront6targetE0EEEvS10_.kd
    .uniform_work_group_size: 1
    .uses_dynamic_stack: false
    .vgpr_count:     0
    .vgpr_spill_count: 0
    .wavefront_size: 32
  - .args:
      - .offset:         0
        .size:           112
        .value_kind:     by_value
    .group_segment_fixed_size: 14352
    .kernarg_segment_align: 8
    .kernarg_segment_size: 112
    .language:       OpenCL C
    .language_version:
      - 2
      - 0
    .max_flat_workgroup_size: 256
    .name:           _ZN7rocprim17ROCPRIM_400000_NS6detail17trampoline_kernelINS0_14default_configENS1_21merge_config_selectorINS0_5tupleIJffEEENS0_10empty_typeEEEZNS1_10merge_implIS3_NS0_12zip_iteratorINS5_IJN6thrust23THRUST_200600_302600_NS6detail15normal_iteratorINSC_10device_ptrIKfEEEESI_EEEEESK_NSA_INS5_IJNSE_INSF_IfEEEESM_EEEEEPS7_SP_SP_NSC_11hip_rocprim7__merge17predicate_wrapperIffNSC_7greaterIfEEEEEE10hipError_tPvRmT0_T1_T2_T3_T4_T5_mmT6_P12ihipStream_tbEUlT_E0_NS1_11comp_targetILNS1_3genE0ELNS1_11target_archE4294967295ELNS1_3gpuE0ELNS1_3repE0EEENS1_30default_config_static_selectorELNS0_4arch9wavefront6targetE0EEEvS10_
    .private_segment_fixed_size: 0
    .sgpr_count:     28
    .sgpr_spill_count: 0
    .symbol:         _ZN7rocprim17ROCPRIM_400000_NS6detail17trampoline_kernelINS0_14default_configENS1_21merge_config_selectorINS0_5tupleIJffEEENS0_10empty_typeEEEZNS1_10merge_implIS3_NS0_12zip_iteratorINS5_IJN6thrust23THRUST_200600_302600_NS6detail15normal_iteratorINSC_10device_ptrIKfEEEESI_EEEEESK_NSA_INS5_IJNSE_INSF_IfEEEESM_EEEEEPS7_SP_SP_NSC_11hip_rocprim7__merge17predicate_wrapperIffNSC_7greaterIfEEEEEE10hipError_tPvRmT0_T1_T2_T3_T4_T5_mmT6_P12ihipStream_tbEUlT_E0_NS1_11comp_targetILNS1_3genE0ELNS1_11target_archE4294967295ELNS1_3gpuE0ELNS1_3repE0EEENS1_30default_config_static_selectorELNS0_4arch9wavefront6targetE0EEEvS10_.kd
    .uniform_work_group_size: 1
    .uses_dynamic_stack: false
    .vgpr_count:     36
    .vgpr_spill_count: 0
    .wavefront_size: 32
  - .args:
      - .offset:         0
        .size:           112
        .value_kind:     by_value
    .group_segment_fixed_size: 0
    .kernarg_segment_align: 8
    .kernarg_segment_size: 112
    .language:       OpenCL C
    .language_version:
      - 2
      - 0
    .max_flat_workgroup_size: 256
    .name:           _ZN7rocprim17ROCPRIM_400000_NS6detail17trampoline_kernelINS0_14default_configENS1_21merge_config_selectorINS0_5tupleIJffEEENS0_10empty_typeEEEZNS1_10merge_implIS3_NS0_12zip_iteratorINS5_IJN6thrust23THRUST_200600_302600_NS6detail15normal_iteratorINSC_10device_ptrIKfEEEESI_EEEEESK_NSA_INS5_IJNSE_INSF_IfEEEESM_EEEEEPS7_SP_SP_NSC_11hip_rocprim7__merge17predicate_wrapperIffNSC_7greaterIfEEEEEE10hipError_tPvRmT0_T1_T2_T3_T4_T5_mmT6_P12ihipStream_tbEUlT_E0_NS1_11comp_targetILNS1_3genE5ELNS1_11target_archE942ELNS1_3gpuE9ELNS1_3repE0EEENS1_30default_config_static_selectorELNS0_4arch9wavefront6targetE0EEEvS10_
    .private_segment_fixed_size: 0
    .sgpr_count:     0
    .sgpr_spill_count: 0
    .symbol:         _ZN7rocprim17ROCPRIM_400000_NS6detail17trampoline_kernelINS0_14default_configENS1_21merge_config_selectorINS0_5tupleIJffEEENS0_10empty_typeEEEZNS1_10merge_implIS3_NS0_12zip_iteratorINS5_IJN6thrust23THRUST_200600_302600_NS6detail15normal_iteratorINSC_10device_ptrIKfEEEESI_EEEEESK_NSA_INS5_IJNSE_INSF_IfEEEESM_EEEEEPS7_SP_SP_NSC_11hip_rocprim7__merge17predicate_wrapperIffNSC_7greaterIfEEEEEE10hipError_tPvRmT0_T1_T2_T3_T4_T5_mmT6_P12ihipStream_tbEUlT_E0_NS1_11comp_targetILNS1_3genE5ELNS1_11target_archE942ELNS1_3gpuE9ELNS1_3repE0EEENS1_30default_config_static_selectorELNS0_4arch9wavefront6targetE0EEEvS10_.kd
    .uniform_work_group_size: 1
    .uses_dynamic_stack: false
    .vgpr_count:     0
    .vgpr_spill_count: 0
    .wavefront_size: 32
  - .args:
      - .offset:         0
        .size:           112
        .value_kind:     by_value
    .group_segment_fixed_size: 0
    .kernarg_segment_align: 8
    .kernarg_segment_size: 112
    .language:       OpenCL C
    .language_version:
      - 2
      - 0
    .max_flat_workgroup_size: 256
    .name:           _ZN7rocprim17ROCPRIM_400000_NS6detail17trampoline_kernelINS0_14default_configENS1_21merge_config_selectorINS0_5tupleIJffEEENS0_10empty_typeEEEZNS1_10merge_implIS3_NS0_12zip_iteratorINS5_IJN6thrust23THRUST_200600_302600_NS6detail15normal_iteratorINSC_10device_ptrIKfEEEESI_EEEEESK_NSA_INS5_IJNSE_INSF_IfEEEESM_EEEEEPS7_SP_SP_NSC_11hip_rocprim7__merge17predicate_wrapperIffNSC_7greaterIfEEEEEE10hipError_tPvRmT0_T1_T2_T3_T4_T5_mmT6_P12ihipStream_tbEUlT_E0_NS1_11comp_targetILNS1_3genE4ELNS1_11target_archE910ELNS1_3gpuE8ELNS1_3repE0EEENS1_30default_config_static_selectorELNS0_4arch9wavefront6targetE0EEEvS10_
    .private_segment_fixed_size: 0
    .sgpr_count:     0
    .sgpr_spill_count: 0
    .symbol:         _ZN7rocprim17ROCPRIM_400000_NS6detail17trampoline_kernelINS0_14default_configENS1_21merge_config_selectorINS0_5tupleIJffEEENS0_10empty_typeEEEZNS1_10merge_implIS3_NS0_12zip_iteratorINS5_IJN6thrust23THRUST_200600_302600_NS6detail15normal_iteratorINSC_10device_ptrIKfEEEESI_EEEEESK_NSA_INS5_IJNSE_INSF_IfEEEESM_EEEEEPS7_SP_SP_NSC_11hip_rocprim7__merge17predicate_wrapperIffNSC_7greaterIfEEEEEE10hipError_tPvRmT0_T1_T2_T3_T4_T5_mmT6_P12ihipStream_tbEUlT_E0_NS1_11comp_targetILNS1_3genE4ELNS1_11target_archE910ELNS1_3gpuE8ELNS1_3repE0EEENS1_30default_config_static_selectorELNS0_4arch9wavefront6targetE0EEEvS10_.kd
    .uniform_work_group_size: 1
    .uses_dynamic_stack: false
    .vgpr_count:     0
    .vgpr_spill_count: 0
    .wavefront_size: 32
  - .args:
      - .offset:         0
        .size:           112
        .value_kind:     by_value
    .group_segment_fixed_size: 0
    .kernarg_segment_align: 8
    .kernarg_segment_size: 112
    .language:       OpenCL C
    .language_version:
      - 2
      - 0
    .max_flat_workgroup_size: 256
    .name:           _ZN7rocprim17ROCPRIM_400000_NS6detail17trampoline_kernelINS0_14default_configENS1_21merge_config_selectorINS0_5tupleIJffEEENS0_10empty_typeEEEZNS1_10merge_implIS3_NS0_12zip_iteratorINS5_IJN6thrust23THRUST_200600_302600_NS6detail15normal_iteratorINSC_10device_ptrIKfEEEESI_EEEEESK_NSA_INS5_IJNSE_INSF_IfEEEESM_EEEEEPS7_SP_SP_NSC_11hip_rocprim7__merge17predicate_wrapperIffNSC_7greaterIfEEEEEE10hipError_tPvRmT0_T1_T2_T3_T4_T5_mmT6_P12ihipStream_tbEUlT_E0_NS1_11comp_targetILNS1_3genE3ELNS1_11target_archE908ELNS1_3gpuE7ELNS1_3repE0EEENS1_30default_config_static_selectorELNS0_4arch9wavefront6targetE0EEEvS10_
    .private_segment_fixed_size: 0
    .sgpr_count:     0
    .sgpr_spill_count: 0
    .symbol:         _ZN7rocprim17ROCPRIM_400000_NS6detail17trampoline_kernelINS0_14default_configENS1_21merge_config_selectorINS0_5tupleIJffEEENS0_10empty_typeEEEZNS1_10merge_implIS3_NS0_12zip_iteratorINS5_IJN6thrust23THRUST_200600_302600_NS6detail15normal_iteratorINSC_10device_ptrIKfEEEESI_EEEEESK_NSA_INS5_IJNSE_INSF_IfEEEESM_EEEEEPS7_SP_SP_NSC_11hip_rocprim7__merge17predicate_wrapperIffNSC_7greaterIfEEEEEE10hipError_tPvRmT0_T1_T2_T3_T4_T5_mmT6_P12ihipStream_tbEUlT_E0_NS1_11comp_targetILNS1_3genE3ELNS1_11target_archE908ELNS1_3gpuE7ELNS1_3repE0EEENS1_30default_config_static_selectorELNS0_4arch9wavefront6targetE0EEEvS10_.kd
    .uniform_work_group_size: 1
    .uses_dynamic_stack: false
    .vgpr_count:     0
    .vgpr_spill_count: 0
    .wavefront_size: 32
  - .args:
      - .offset:         0
        .size:           112
        .value_kind:     by_value
    .group_segment_fixed_size: 0
    .kernarg_segment_align: 8
    .kernarg_segment_size: 112
    .language:       OpenCL C
    .language_version:
      - 2
      - 0
    .max_flat_workgroup_size: 256
    .name:           _ZN7rocprim17ROCPRIM_400000_NS6detail17trampoline_kernelINS0_14default_configENS1_21merge_config_selectorINS0_5tupleIJffEEENS0_10empty_typeEEEZNS1_10merge_implIS3_NS0_12zip_iteratorINS5_IJN6thrust23THRUST_200600_302600_NS6detail15normal_iteratorINSC_10device_ptrIKfEEEESI_EEEEESK_NSA_INS5_IJNSE_INSF_IfEEEESM_EEEEEPS7_SP_SP_NSC_11hip_rocprim7__merge17predicate_wrapperIffNSC_7greaterIfEEEEEE10hipError_tPvRmT0_T1_T2_T3_T4_T5_mmT6_P12ihipStream_tbEUlT_E0_NS1_11comp_targetILNS1_3genE2ELNS1_11target_archE906ELNS1_3gpuE6ELNS1_3repE0EEENS1_30default_config_static_selectorELNS0_4arch9wavefront6targetE0EEEvS10_
    .private_segment_fixed_size: 0
    .sgpr_count:     0
    .sgpr_spill_count: 0
    .symbol:         _ZN7rocprim17ROCPRIM_400000_NS6detail17trampoline_kernelINS0_14default_configENS1_21merge_config_selectorINS0_5tupleIJffEEENS0_10empty_typeEEEZNS1_10merge_implIS3_NS0_12zip_iteratorINS5_IJN6thrust23THRUST_200600_302600_NS6detail15normal_iteratorINSC_10device_ptrIKfEEEESI_EEEEESK_NSA_INS5_IJNSE_INSF_IfEEEESM_EEEEEPS7_SP_SP_NSC_11hip_rocprim7__merge17predicate_wrapperIffNSC_7greaterIfEEEEEE10hipError_tPvRmT0_T1_T2_T3_T4_T5_mmT6_P12ihipStream_tbEUlT_E0_NS1_11comp_targetILNS1_3genE2ELNS1_11target_archE906ELNS1_3gpuE6ELNS1_3repE0EEENS1_30default_config_static_selectorELNS0_4arch9wavefront6targetE0EEEvS10_.kd
    .uniform_work_group_size: 1
    .uses_dynamic_stack: false
    .vgpr_count:     0
    .vgpr_spill_count: 0
    .wavefront_size: 32
  - .args:
      - .offset:         0
        .size:           112
        .value_kind:     by_value
    .group_segment_fixed_size: 0
    .kernarg_segment_align: 8
    .kernarg_segment_size: 112
    .language:       OpenCL C
    .language_version:
      - 2
      - 0
    .max_flat_workgroup_size: 512
    .name:           _ZN7rocprim17ROCPRIM_400000_NS6detail17trampoline_kernelINS0_14default_configENS1_21merge_config_selectorINS0_5tupleIJffEEENS0_10empty_typeEEEZNS1_10merge_implIS3_NS0_12zip_iteratorINS5_IJN6thrust23THRUST_200600_302600_NS6detail15normal_iteratorINSC_10device_ptrIKfEEEESI_EEEEESK_NSA_INS5_IJNSE_INSF_IfEEEESM_EEEEEPS7_SP_SP_NSC_11hip_rocprim7__merge17predicate_wrapperIffNSC_7greaterIfEEEEEE10hipError_tPvRmT0_T1_T2_T3_T4_T5_mmT6_P12ihipStream_tbEUlT_E0_NS1_11comp_targetILNS1_3genE10ELNS1_11target_archE1201ELNS1_3gpuE5ELNS1_3repE0EEENS1_30default_config_static_selectorELNS0_4arch9wavefront6targetE0EEEvS10_
    .private_segment_fixed_size: 0
    .sgpr_count:     0
    .sgpr_spill_count: 0
    .symbol:         _ZN7rocprim17ROCPRIM_400000_NS6detail17trampoline_kernelINS0_14default_configENS1_21merge_config_selectorINS0_5tupleIJffEEENS0_10empty_typeEEEZNS1_10merge_implIS3_NS0_12zip_iteratorINS5_IJN6thrust23THRUST_200600_302600_NS6detail15normal_iteratorINSC_10device_ptrIKfEEEESI_EEEEESK_NSA_INS5_IJNSE_INSF_IfEEEESM_EEEEEPS7_SP_SP_NSC_11hip_rocprim7__merge17predicate_wrapperIffNSC_7greaterIfEEEEEE10hipError_tPvRmT0_T1_T2_T3_T4_T5_mmT6_P12ihipStream_tbEUlT_E0_NS1_11comp_targetILNS1_3genE10ELNS1_11target_archE1201ELNS1_3gpuE5ELNS1_3repE0EEENS1_30default_config_static_selectorELNS0_4arch9wavefront6targetE0EEEvS10_.kd
    .uniform_work_group_size: 1
    .uses_dynamic_stack: false
    .vgpr_count:     0
    .vgpr_spill_count: 0
    .wavefront_size: 32
  - .args:
      - .offset:         0
        .size:           112
        .value_kind:     by_value
    .group_segment_fixed_size: 0
    .kernarg_segment_align: 8
    .kernarg_segment_size: 112
    .language:       OpenCL C
    .language_version:
      - 2
      - 0
    .max_flat_workgroup_size: 1024
    .name:           _ZN7rocprim17ROCPRIM_400000_NS6detail17trampoline_kernelINS0_14default_configENS1_21merge_config_selectorINS0_5tupleIJffEEENS0_10empty_typeEEEZNS1_10merge_implIS3_NS0_12zip_iteratorINS5_IJN6thrust23THRUST_200600_302600_NS6detail15normal_iteratorINSC_10device_ptrIKfEEEESI_EEEEESK_NSA_INS5_IJNSE_INSF_IfEEEESM_EEEEEPS7_SP_SP_NSC_11hip_rocprim7__merge17predicate_wrapperIffNSC_7greaterIfEEEEEE10hipError_tPvRmT0_T1_T2_T3_T4_T5_mmT6_P12ihipStream_tbEUlT_E0_NS1_11comp_targetILNS1_3genE10ELNS1_11target_archE1200ELNS1_3gpuE4ELNS1_3repE0EEENS1_30default_config_static_selectorELNS0_4arch9wavefront6targetE0EEEvS10_
    .private_segment_fixed_size: 0
    .sgpr_count:     0
    .sgpr_spill_count: 0
    .symbol:         _ZN7rocprim17ROCPRIM_400000_NS6detail17trampoline_kernelINS0_14default_configENS1_21merge_config_selectorINS0_5tupleIJffEEENS0_10empty_typeEEEZNS1_10merge_implIS3_NS0_12zip_iteratorINS5_IJN6thrust23THRUST_200600_302600_NS6detail15normal_iteratorINSC_10device_ptrIKfEEEESI_EEEEESK_NSA_INS5_IJNSE_INSF_IfEEEESM_EEEEEPS7_SP_SP_NSC_11hip_rocprim7__merge17predicate_wrapperIffNSC_7greaterIfEEEEEE10hipError_tPvRmT0_T1_T2_T3_T4_T5_mmT6_P12ihipStream_tbEUlT_E0_NS1_11comp_targetILNS1_3genE10ELNS1_11target_archE1200ELNS1_3gpuE4ELNS1_3repE0EEENS1_30default_config_static_selectorELNS0_4arch9wavefront6targetE0EEEvS10_.kd
    .uniform_work_group_size: 1
    .uses_dynamic_stack: false
    .vgpr_count:     0
    .vgpr_spill_count: 0
    .wavefront_size: 32
  - .args:
      - .offset:         0
        .size:           112
        .value_kind:     by_value
    .group_segment_fixed_size: 0
    .kernarg_segment_align: 8
    .kernarg_segment_size: 112
    .language:       OpenCL C
    .language_version:
      - 2
      - 0
    .max_flat_workgroup_size: 1024
    .name:           _ZN7rocprim17ROCPRIM_400000_NS6detail17trampoline_kernelINS0_14default_configENS1_21merge_config_selectorINS0_5tupleIJffEEENS0_10empty_typeEEEZNS1_10merge_implIS3_NS0_12zip_iteratorINS5_IJN6thrust23THRUST_200600_302600_NS6detail15normal_iteratorINSC_10device_ptrIKfEEEESI_EEEEESK_NSA_INS5_IJNSE_INSF_IfEEEESM_EEEEEPS7_SP_SP_NSC_11hip_rocprim7__merge17predicate_wrapperIffNSC_7greaterIfEEEEEE10hipError_tPvRmT0_T1_T2_T3_T4_T5_mmT6_P12ihipStream_tbEUlT_E0_NS1_11comp_targetILNS1_3genE9ELNS1_11target_archE1100ELNS1_3gpuE3ELNS1_3repE0EEENS1_30default_config_static_selectorELNS0_4arch9wavefront6targetE0EEEvS10_
    .private_segment_fixed_size: 0
    .sgpr_count:     0
    .sgpr_spill_count: 0
    .symbol:         _ZN7rocprim17ROCPRIM_400000_NS6detail17trampoline_kernelINS0_14default_configENS1_21merge_config_selectorINS0_5tupleIJffEEENS0_10empty_typeEEEZNS1_10merge_implIS3_NS0_12zip_iteratorINS5_IJN6thrust23THRUST_200600_302600_NS6detail15normal_iteratorINSC_10device_ptrIKfEEEESI_EEEEESK_NSA_INS5_IJNSE_INSF_IfEEEESM_EEEEEPS7_SP_SP_NSC_11hip_rocprim7__merge17predicate_wrapperIffNSC_7greaterIfEEEEEE10hipError_tPvRmT0_T1_T2_T3_T4_T5_mmT6_P12ihipStream_tbEUlT_E0_NS1_11comp_targetILNS1_3genE9ELNS1_11target_archE1100ELNS1_3gpuE3ELNS1_3repE0EEENS1_30default_config_static_selectorELNS0_4arch9wavefront6targetE0EEEvS10_.kd
    .uniform_work_group_size: 1
    .uses_dynamic_stack: false
    .vgpr_count:     0
    .vgpr_spill_count: 0
    .wavefront_size: 32
  - .args:
      - .offset:         0
        .size:           112
        .value_kind:     by_value
    .group_segment_fixed_size: 0
    .kernarg_segment_align: 8
    .kernarg_segment_size: 112
    .language:       OpenCL C
    .language_version:
      - 2
      - 0
    .max_flat_workgroup_size: 256
    .name:           _ZN7rocprim17ROCPRIM_400000_NS6detail17trampoline_kernelINS0_14default_configENS1_21merge_config_selectorINS0_5tupleIJffEEENS0_10empty_typeEEEZNS1_10merge_implIS3_NS0_12zip_iteratorINS5_IJN6thrust23THRUST_200600_302600_NS6detail15normal_iteratorINSC_10device_ptrIKfEEEESI_EEEEESK_NSA_INS5_IJNSE_INSF_IfEEEESM_EEEEEPS7_SP_SP_NSC_11hip_rocprim7__merge17predicate_wrapperIffNSC_7greaterIfEEEEEE10hipError_tPvRmT0_T1_T2_T3_T4_T5_mmT6_P12ihipStream_tbEUlT_E0_NS1_11comp_targetILNS1_3genE8ELNS1_11target_archE1030ELNS1_3gpuE2ELNS1_3repE0EEENS1_30default_config_static_selectorELNS0_4arch9wavefront6targetE0EEEvS10_
    .private_segment_fixed_size: 0
    .sgpr_count:     0
    .sgpr_spill_count: 0
    .symbol:         _ZN7rocprim17ROCPRIM_400000_NS6detail17trampoline_kernelINS0_14default_configENS1_21merge_config_selectorINS0_5tupleIJffEEENS0_10empty_typeEEEZNS1_10merge_implIS3_NS0_12zip_iteratorINS5_IJN6thrust23THRUST_200600_302600_NS6detail15normal_iteratorINSC_10device_ptrIKfEEEESI_EEEEESK_NSA_INS5_IJNSE_INSF_IfEEEESM_EEEEEPS7_SP_SP_NSC_11hip_rocprim7__merge17predicate_wrapperIffNSC_7greaterIfEEEEEE10hipError_tPvRmT0_T1_T2_T3_T4_T5_mmT6_P12ihipStream_tbEUlT_E0_NS1_11comp_targetILNS1_3genE8ELNS1_11target_archE1030ELNS1_3gpuE2ELNS1_3repE0EEENS1_30default_config_static_selectorELNS0_4arch9wavefront6targetE0EEEvS10_.kd
    .uniform_work_group_size: 1
    .uses_dynamic_stack: false
    .vgpr_count:     0
    .vgpr_spill_count: 0
    .wavefront_size: 32
  - .args:
      - .offset:         0
        .size:           64
        .value_kind:     by_value
      - .offset:         64
        .size:           4
        .value_kind:     hidden_block_count_x
      - .offset:         68
        .size:           4
        .value_kind:     hidden_block_count_y
      - .offset:         72
        .size:           4
        .value_kind:     hidden_block_count_z
      - .offset:         76
        .size:           2
        .value_kind:     hidden_group_size_x
      - .offset:         78
        .size:           2
        .value_kind:     hidden_group_size_y
      - .offset:         80
        .size:           2
        .value_kind:     hidden_group_size_z
      - .offset:         82
        .size:           2
        .value_kind:     hidden_remainder_x
      - .offset:         84
        .size:           2
        .value_kind:     hidden_remainder_y
      - .offset:         86
        .size:           2
        .value_kind:     hidden_remainder_z
      - .offset:         104
        .size:           8
        .value_kind:     hidden_global_offset_x
      - .offset:         112
        .size:           8
        .value_kind:     hidden_global_offset_y
      - .offset:         120
        .size:           8
        .value_kind:     hidden_global_offset_z
      - .offset:         128
        .size:           2
        .value_kind:     hidden_grid_dims
    .group_segment_fixed_size: 0
    .kernarg_segment_align: 8
    .kernarg_segment_size: 320
    .language:       OpenCL C
    .language_version:
      - 2
      - 0
    .max_flat_workgroup_size: 512
    .name:           _ZN7rocprim17ROCPRIM_400000_NS6detail17trampoline_kernelINS0_14default_configENS1_21merge_config_selectorINS0_5tupleIJyyEEENS0_10empty_typeEEEZNS1_10merge_implIS3_NS0_12zip_iteratorINS5_IJN6thrust23THRUST_200600_302600_NS6detail15normal_iteratorINSC_10device_ptrIKyEEEESI_EEEEESK_NSA_INS5_IJNSE_INSF_IyEEEESM_EEEEEPS7_SP_SP_NSC_11hip_rocprim7__merge17predicate_wrapperIyyNSC_7greaterImEEEEEE10hipError_tPvRmT0_T1_T2_T3_T4_T5_mmT6_P12ihipStream_tbEUlT_E_NS1_11comp_targetILNS1_3genE0ELNS1_11target_archE4294967295ELNS1_3gpuE0ELNS1_3repE0EEENS1_30default_config_static_selectorELNS0_4arch9wavefront6targetE0EEEvS10_
    .private_segment_fixed_size: 0
    .sgpr_count:     16
    .sgpr_spill_count: 0
    .symbol:         _ZN7rocprim17ROCPRIM_400000_NS6detail17trampoline_kernelINS0_14default_configENS1_21merge_config_selectorINS0_5tupleIJyyEEENS0_10empty_typeEEEZNS1_10merge_implIS3_NS0_12zip_iteratorINS5_IJN6thrust23THRUST_200600_302600_NS6detail15normal_iteratorINSC_10device_ptrIKyEEEESI_EEEEESK_NSA_INS5_IJNSE_INSF_IyEEEESM_EEEEEPS7_SP_SP_NSC_11hip_rocprim7__merge17predicate_wrapperIyyNSC_7greaterImEEEEEE10hipError_tPvRmT0_T1_T2_T3_T4_T5_mmT6_P12ihipStream_tbEUlT_E_NS1_11comp_targetILNS1_3genE0ELNS1_11target_archE4294967295ELNS1_3gpuE0ELNS1_3repE0EEENS1_30default_config_static_selectorELNS0_4arch9wavefront6targetE0EEEvS10_.kd
    .uniform_work_group_size: 1
    .uses_dynamic_stack: false
    .vgpr_count:     18
    .vgpr_spill_count: 0
    .wavefront_size: 32
  - .args:
      - .offset:         0
        .size:           64
        .value_kind:     by_value
    .group_segment_fixed_size: 0
    .kernarg_segment_align: 8
    .kernarg_segment_size: 64
    .language:       OpenCL C
    .language_version:
      - 2
      - 0
    .max_flat_workgroup_size: 256
    .name:           _ZN7rocprim17ROCPRIM_400000_NS6detail17trampoline_kernelINS0_14default_configENS1_21merge_config_selectorINS0_5tupleIJyyEEENS0_10empty_typeEEEZNS1_10merge_implIS3_NS0_12zip_iteratorINS5_IJN6thrust23THRUST_200600_302600_NS6detail15normal_iteratorINSC_10device_ptrIKyEEEESI_EEEEESK_NSA_INS5_IJNSE_INSF_IyEEEESM_EEEEEPS7_SP_SP_NSC_11hip_rocprim7__merge17predicate_wrapperIyyNSC_7greaterImEEEEEE10hipError_tPvRmT0_T1_T2_T3_T4_T5_mmT6_P12ihipStream_tbEUlT_E_NS1_11comp_targetILNS1_3genE5ELNS1_11target_archE942ELNS1_3gpuE9ELNS1_3repE0EEENS1_30default_config_static_selectorELNS0_4arch9wavefront6targetE0EEEvS10_
    .private_segment_fixed_size: 0
    .sgpr_count:     0
    .sgpr_spill_count: 0
    .symbol:         _ZN7rocprim17ROCPRIM_400000_NS6detail17trampoline_kernelINS0_14default_configENS1_21merge_config_selectorINS0_5tupleIJyyEEENS0_10empty_typeEEEZNS1_10merge_implIS3_NS0_12zip_iteratorINS5_IJN6thrust23THRUST_200600_302600_NS6detail15normal_iteratorINSC_10device_ptrIKyEEEESI_EEEEESK_NSA_INS5_IJNSE_INSF_IyEEEESM_EEEEEPS7_SP_SP_NSC_11hip_rocprim7__merge17predicate_wrapperIyyNSC_7greaterImEEEEEE10hipError_tPvRmT0_T1_T2_T3_T4_T5_mmT6_P12ihipStream_tbEUlT_E_NS1_11comp_targetILNS1_3genE5ELNS1_11target_archE942ELNS1_3gpuE9ELNS1_3repE0EEENS1_30default_config_static_selectorELNS0_4arch9wavefront6targetE0EEEvS10_.kd
    .uniform_work_group_size: 1
    .uses_dynamic_stack: false
    .vgpr_count:     0
    .vgpr_spill_count: 0
    .wavefront_size: 32
  - .args:
      - .offset:         0
        .size:           64
        .value_kind:     by_value
    .group_segment_fixed_size: 0
    .kernarg_segment_align: 8
    .kernarg_segment_size: 64
    .language:       OpenCL C
    .language_version:
      - 2
      - 0
    .max_flat_workgroup_size: 512
    .name:           _ZN7rocprim17ROCPRIM_400000_NS6detail17trampoline_kernelINS0_14default_configENS1_21merge_config_selectorINS0_5tupleIJyyEEENS0_10empty_typeEEEZNS1_10merge_implIS3_NS0_12zip_iteratorINS5_IJN6thrust23THRUST_200600_302600_NS6detail15normal_iteratorINSC_10device_ptrIKyEEEESI_EEEEESK_NSA_INS5_IJNSE_INSF_IyEEEESM_EEEEEPS7_SP_SP_NSC_11hip_rocprim7__merge17predicate_wrapperIyyNSC_7greaterImEEEEEE10hipError_tPvRmT0_T1_T2_T3_T4_T5_mmT6_P12ihipStream_tbEUlT_E_NS1_11comp_targetILNS1_3genE4ELNS1_11target_archE910ELNS1_3gpuE8ELNS1_3repE0EEENS1_30default_config_static_selectorELNS0_4arch9wavefront6targetE0EEEvS10_
    .private_segment_fixed_size: 0
    .sgpr_count:     0
    .sgpr_spill_count: 0
    .symbol:         _ZN7rocprim17ROCPRIM_400000_NS6detail17trampoline_kernelINS0_14default_configENS1_21merge_config_selectorINS0_5tupleIJyyEEENS0_10empty_typeEEEZNS1_10merge_implIS3_NS0_12zip_iteratorINS5_IJN6thrust23THRUST_200600_302600_NS6detail15normal_iteratorINSC_10device_ptrIKyEEEESI_EEEEESK_NSA_INS5_IJNSE_INSF_IyEEEESM_EEEEEPS7_SP_SP_NSC_11hip_rocprim7__merge17predicate_wrapperIyyNSC_7greaterImEEEEEE10hipError_tPvRmT0_T1_T2_T3_T4_T5_mmT6_P12ihipStream_tbEUlT_E_NS1_11comp_targetILNS1_3genE4ELNS1_11target_archE910ELNS1_3gpuE8ELNS1_3repE0EEENS1_30default_config_static_selectorELNS0_4arch9wavefront6targetE0EEEvS10_.kd
    .uniform_work_group_size: 1
    .uses_dynamic_stack: false
    .vgpr_count:     0
    .vgpr_spill_count: 0
    .wavefront_size: 32
  - .args:
      - .offset:         0
        .size:           64
        .value_kind:     by_value
    .group_segment_fixed_size: 0
    .kernarg_segment_align: 8
    .kernarg_segment_size: 64
    .language:       OpenCL C
    .language_version:
      - 2
      - 0
    .max_flat_workgroup_size: 512
    .name:           _ZN7rocprim17ROCPRIM_400000_NS6detail17trampoline_kernelINS0_14default_configENS1_21merge_config_selectorINS0_5tupleIJyyEEENS0_10empty_typeEEEZNS1_10merge_implIS3_NS0_12zip_iteratorINS5_IJN6thrust23THRUST_200600_302600_NS6detail15normal_iteratorINSC_10device_ptrIKyEEEESI_EEEEESK_NSA_INS5_IJNSE_INSF_IyEEEESM_EEEEEPS7_SP_SP_NSC_11hip_rocprim7__merge17predicate_wrapperIyyNSC_7greaterImEEEEEE10hipError_tPvRmT0_T1_T2_T3_T4_T5_mmT6_P12ihipStream_tbEUlT_E_NS1_11comp_targetILNS1_3genE3ELNS1_11target_archE908ELNS1_3gpuE7ELNS1_3repE0EEENS1_30default_config_static_selectorELNS0_4arch9wavefront6targetE0EEEvS10_
    .private_segment_fixed_size: 0
    .sgpr_count:     0
    .sgpr_spill_count: 0
    .symbol:         _ZN7rocprim17ROCPRIM_400000_NS6detail17trampoline_kernelINS0_14default_configENS1_21merge_config_selectorINS0_5tupleIJyyEEENS0_10empty_typeEEEZNS1_10merge_implIS3_NS0_12zip_iteratorINS5_IJN6thrust23THRUST_200600_302600_NS6detail15normal_iteratorINSC_10device_ptrIKyEEEESI_EEEEESK_NSA_INS5_IJNSE_INSF_IyEEEESM_EEEEEPS7_SP_SP_NSC_11hip_rocprim7__merge17predicate_wrapperIyyNSC_7greaterImEEEEEE10hipError_tPvRmT0_T1_T2_T3_T4_T5_mmT6_P12ihipStream_tbEUlT_E_NS1_11comp_targetILNS1_3genE3ELNS1_11target_archE908ELNS1_3gpuE7ELNS1_3repE0EEENS1_30default_config_static_selectorELNS0_4arch9wavefront6targetE0EEEvS10_.kd
    .uniform_work_group_size: 1
    .uses_dynamic_stack: false
    .vgpr_count:     0
    .vgpr_spill_count: 0
    .wavefront_size: 32
  - .args:
      - .offset:         0
        .size:           64
        .value_kind:     by_value
    .group_segment_fixed_size: 0
    .kernarg_segment_align: 8
    .kernarg_segment_size: 64
    .language:       OpenCL C
    .language_version:
      - 2
      - 0
    .max_flat_workgroup_size: 512
    .name:           _ZN7rocprim17ROCPRIM_400000_NS6detail17trampoline_kernelINS0_14default_configENS1_21merge_config_selectorINS0_5tupleIJyyEEENS0_10empty_typeEEEZNS1_10merge_implIS3_NS0_12zip_iteratorINS5_IJN6thrust23THRUST_200600_302600_NS6detail15normal_iteratorINSC_10device_ptrIKyEEEESI_EEEEESK_NSA_INS5_IJNSE_INSF_IyEEEESM_EEEEEPS7_SP_SP_NSC_11hip_rocprim7__merge17predicate_wrapperIyyNSC_7greaterImEEEEEE10hipError_tPvRmT0_T1_T2_T3_T4_T5_mmT6_P12ihipStream_tbEUlT_E_NS1_11comp_targetILNS1_3genE2ELNS1_11target_archE906ELNS1_3gpuE6ELNS1_3repE0EEENS1_30default_config_static_selectorELNS0_4arch9wavefront6targetE0EEEvS10_
    .private_segment_fixed_size: 0
    .sgpr_count:     0
    .sgpr_spill_count: 0
    .symbol:         _ZN7rocprim17ROCPRIM_400000_NS6detail17trampoline_kernelINS0_14default_configENS1_21merge_config_selectorINS0_5tupleIJyyEEENS0_10empty_typeEEEZNS1_10merge_implIS3_NS0_12zip_iteratorINS5_IJN6thrust23THRUST_200600_302600_NS6detail15normal_iteratorINSC_10device_ptrIKyEEEESI_EEEEESK_NSA_INS5_IJNSE_INSF_IyEEEESM_EEEEEPS7_SP_SP_NSC_11hip_rocprim7__merge17predicate_wrapperIyyNSC_7greaterImEEEEEE10hipError_tPvRmT0_T1_T2_T3_T4_T5_mmT6_P12ihipStream_tbEUlT_E_NS1_11comp_targetILNS1_3genE2ELNS1_11target_archE906ELNS1_3gpuE6ELNS1_3repE0EEENS1_30default_config_static_selectorELNS0_4arch9wavefront6targetE0EEEvS10_.kd
    .uniform_work_group_size: 1
    .uses_dynamic_stack: false
    .vgpr_count:     0
    .vgpr_spill_count: 0
    .wavefront_size: 32
  - .args:
      - .offset:         0
        .size:           64
        .value_kind:     by_value
    .group_segment_fixed_size: 0
    .kernarg_segment_align: 8
    .kernarg_segment_size: 64
    .language:       OpenCL C
    .language_version:
      - 2
      - 0
    .max_flat_workgroup_size: 512
    .name:           _ZN7rocprim17ROCPRIM_400000_NS6detail17trampoline_kernelINS0_14default_configENS1_21merge_config_selectorINS0_5tupleIJyyEEENS0_10empty_typeEEEZNS1_10merge_implIS3_NS0_12zip_iteratorINS5_IJN6thrust23THRUST_200600_302600_NS6detail15normal_iteratorINSC_10device_ptrIKyEEEESI_EEEEESK_NSA_INS5_IJNSE_INSF_IyEEEESM_EEEEEPS7_SP_SP_NSC_11hip_rocprim7__merge17predicate_wrapperIyyNSC_7greaterImEEEEEE10hipError_tPvRmT0_T1_T2_T3_T4_T5_mmT6_P12ihipStream_tbEUlT_E_NS1_11comp_targetILNS1_3genE10ELNS1_11target_archE1201ELNS1_3gpuE5ELNS1_3repE0EEENS1_30default_config_static_selectorELNS0_4arch9wavefront6targetE0EEEvS10_
    .private_segment_fixed_size: 0
    .sgpr_count:     0
    .sgpr_spill_count: 0
    .symbol:         _ZN7rocprim17ROCPRIM_400000_NS6detail17trampoline_kernelINS0_14default_configENS1_21merge_config_selectorINS0_5tupleIJyyEEENS0_10empty_typeEEEZNS1_10merge_implIS3_NS0_12zip_iteratorINS5_IJN6thrust23THRUST_200600_302600_NS6detail15normal_iteratorINSC_10device_ptrIKyEEEESI_EEEEESK_NSA_INS5_IJNSE_INSF_IyEEEESM_EEEEEPS7_SP_SP_NSC_11hip_rocprim7__merge17predicate_wrapperIyyNSC_7greaterImEEEEEE10hipError_tPvRmT0_T1_T2_T3_T4_T5_mmT6_P12ihipStream_tbEUlT_E_NS1_11comp_targetILNS1_3genE10ELNS1_11target_archE1201ELNS1_3gpuE5ELNS1_3repE0EEENS1_30default_config_static_selectorELNS0_4arch9wavefront6targetE0EEEvS10_.kd
    .uniform_work_group_size: 1
    .uses_dynamic_stack: false
    .vgpr_count:     0
    .vgpr_spill_count: 0
    .wavefront_size: 32
  - .args:
      - .offset:         0
        .size:           64
        .value_kind:     by_value
    .group_segment_fixed_size: 0
    .kernarg_segment_align: 8
    .kernarg_segment_size: 64
    .language:       OpenCL C
    .language_version:
      - 2
      - 0
    .max_flat_workgroup_size: 256
    .name:           _ZN7rocprim17ROCPRIM_400000_NS6detail17trampoline_kernelINS0_14default_configENS1_21merge_config_selectorINS0_5tupleIJyyEEENS0_10empty_typeEEEZNS1_10merge_implIS3_NS0_12zip_iteratorINS5_IJN6thrust23THRUST_200600_302600_NS6detail15normal_iteratorINSC_10device_ptrIKyEEEESI_EEEEESK_NSA_INS5_IJNSE_INSF_IyEEEESM_EEEEEPS7_SP_SP_NSC_11hip_rocprim7__merge17predicate_wrapperIyyNSC_7greaterImEEEEEE10hipError_tPvRmT0_T1_T2_T3_T4_T5_mmT6_P12ihipStream_tbEUlT_E_NS1_11comp_targetILNS1_3genE10ELNS1_11target_archE1200ELNS1_3gpuE4ELNS1_3repE0EEENS1_30default_config_static_selectorELNS0_4arch9wavefront6targetE0EEEvS10_
    .private_segment_fixed_size: 0
    .sgpr_count:     0
    .sgpr_spill_count: 0
    .symbol:         _ZN7rocprim17ROCPRIM_400000_NS6detail17trampoline_kernelINS0_14default_configENS1_21merge_config_selectorINS0_5tupleIJyyEEENS0_10empty_typeEEEZNS1_10merge_implIS3_NS0_12zip_iteratorINS5_IJN6thrust23THRUST_200600_302600_NS6detail15normal_iteratorINSC_10device_ptrIKyEEEESI_EEEEESK_NSA_INS5_IJNSE_INSF_IyEEEESM_EEEEEPS7_SP_SP_NSC_11hip_rocprim7__merge17predicate_wrapperIyyNSC_7greaterImEEEEEE10hipError_tPvRmT0_T1_T2_T3_T4_T5_mmT6_P12ihipStream_tbEUlT_E_NS1_11comp_targetILNS1_3genE10ELNS1_11target_archE1200ELNS1_3gpuE4ELNS1_3repE0EEENS1_30default_config_static_selectorELNS0_4arch9wavefront6targetE0EEEvS10_.kd
    .uniform_work_group_size: 1
    .uses_dynamic_stack: false
    .vgpr_count:     0
    .vgpr_spill_count: 0
    .wavefront_size: 32
  - .args:
      - .offset:         0
        .size:           64
        .value_kind:     by_value
    .group_segment_fixed_size: 0
    .kernarg_segment_align: 8
    .kernarg_segment_size: 64
    .language:       OpenCL C
    .language_version:
      - 2
      - 0
    .max_flat_workgroup_size: 1024
    .name:           _ZN7rocprim17ROCPRIM_400000_NS6detail17trampoline_kernelINS0_14default_configENS1_21merge_config_selectorINS0_5tupleIJyyEEENS0_10empty_typeEEEZNS1_10merge_implIS3_NS0_12zip_iteratorINS5_IJN6thrust23THRUST_200600_302600_NS6detail15normal_iteratorINSC_10device_ptrIKyEEEESI_EEEEESK_NSA_INS5_IJNSE_INSF_IyEEEESM_EEEEEPS7_SP_SP_NSC_11hip_rocprim7__merge17predicate_wrapperIyyNSC_7greaterImEEEEEE10hipError_tPvRmT0_T1_T2_T3_T4_T5_mmT6_P12ihipStream_tbEUlT_E_NS1_11comp_targetILNS1_3genE9ELNS1_11target_archE1100ELNS1_3gpuE3ELNS1_3repE0EEENS1_30default_config_static_selectorELNS0_4arch9wavefront6targetE0EEEvS10_
    .private_segment_fixed_size: 0
    .sgpr_count:     0
    .sgpr_spill_count: 0
    .symbol:         _ZN7rocprim17ROCPRIM_400000_NS6detail17trampoline_kernelINS0_14default_configENS1_21merge_config_selectorINS0_5tupleIJyyEEENS0_10empty_typeEEEZNS1_10merge_implIS3_NS0_12zip_iteratorINS5_IJN6thrust23THRUST_200600_302600_NS6detail15normal_iteratorINSC_10device_ptrIKyEEEESI_EEEEESK_NSA_INS5_IJNSE_INSF_IyEEEESM_EEEEEPS7_SP_SP_NSC_11hip_rocprim7__merge17predicate_wrapperIyyNSC_7greaterImEEEEEE10hipError_tPvRmT0_T1_T2_T3_T4_T5_mmT6_P12ihipStream_tbEUlT_E_NS1_11comp_targetILNS1_3genE9ELNS1_11target_archE1100ELNS1_3gpuE3ELNS1_3repE0EEENS1_30default_config_static_selectorELNS0_4arch9wavefront6targetE0EEEvS10_.kd
    .uniform_work_group_size: 1
    .uses_dynamic_stack: false
    .vgpr_count:     0
    .vgpr_spill_count: 0
    .wavefront_size: 32
  - .args:
      - .offset:         0
        .size:           64
        .value_kind:     by_value
    .group_segment_fixed_size: 0
    .kernarg_segment_align: 8
    .kernarg_segment_size: 64
    .language:       OpenCL C
    .language_version:
      - 2
      - 0
    .max_flat_workgroup_size: 256
    .name:           _ZN7rocprim17ROCPRIM_400000_NS6detail17trampoline_kernelINS0_14default_configENS1_21merge_config_selectorINS0_5tupleIJyyEEENS0_10empty_typeEEEZNS1_10merge_implIS3_NS0_12zip_iteratorINS5_IJN6thrust23THRUST_200600_302600_NS6detail15normal_iteratorINSC_10device_ptrIKyEEEESI_EEEEESK_NSA_INS5_IJNSE_INSF_IyEEEESM_EEEEEPS7_SP_SP_NSC_11hip_rocprim7__merge17predicate_wrapperIyyNSC_7greaterImEEEEEE10hipError_tPvRmT0_T1_T2_T3_T4_T5_mmT6_P12ihipStream_tbEUlT_E_NS1_11comp_targetILNS1_3genE8ELNS1_11target_archE1030ELNS1_3gpuE2ELNS1_3repE0EEENS1_30default_config_static_selectorELNS0_4arch9wavefront6targetE0EEEvS10_
    .private_segment_fixed_size: 0
    .sgpr_count:     0
    .sgpr_spill_count: 0
    .symbol:         _ZN7rocprim17ROCPRIM_400000_NS6detail17trampoline_kernelINS0_14default_configENS1_21merge_config_selectorINS0_5tupleIJyyEEENS0_10empty_typeEEEZNS1_10merge_implIS3_NS0_12zip_iteratorINS5_IJN6thrust23THRUST_200600_302600_NS6detail15normal_iteratorINSC_10device_ptrIKyEEEESI_EEEEESK_NSA_INS5_IJNSE_INSF_IyEEEESM_EEEEEPS7_SP_SP_NSC_11hip_rocprim7__merge17predicate_wrapperIyyNSC_7greaterImEEEEEE10hipError_tPvRmT0_T1_T2_T3_T4_T5_mmT6_P12ihipStream_tbEUlT_E_NS1_11comp_targetILNS1_3genE8ELNS1_11target_archE1030ELNS1_3gpuE2ELNS1_3repE0EEENS1_30default_config_static_selectorELNS0_4arch9wavefront6targetE0EEEvS10_.kd
    .uniform_work_group_size: 1
    .uses_dynamic_stack: false
    .vgpr_count:     0
    .vgpr_spill_count: 0
    .wavefront_size: 32
  - .args:
      - .offset:         0
        .size:           112
        .value_kind:     by_value
    .group_segment_fixed_size: 16896
    .kernarg_segment_align: 8
    .kernarg_segment_size: 112
    .language:       OpenCL C
    .language_version:
      - 2
      - 0
    .max_flat_workgroup_size: 512
    .name:           _ZN7rocprim17ROCPRIM_400000_NS6detail17trampoline_kernelINS0_14default_configENS1_21merge_config_selectorINS0_5tupleIJyyEEENS0_10empty_typeEEEZNS1_10merge_implIS3_NS0_12zip_iteratorINS5_IJN6thrust23THRUST_200600_302600_NS6detail15normal_iteratorINSC_10device_ptrIKyEEEESI_EEEEESK_NSA_INS5_IJNSE_INSF_IyEEEESM_EEEEEPS7_SP_SP_NSC_11hip_rocprim7__merge17predicate_wrapperIyyNSC_7greaterImEEEEEE10hipError_tPvRmT0_T1_T2_T3_T4_T5_mmT6_P12ihipStream_tbEUlT_E0_NS1_11comp_targetILNS1_3genE0ELNS1_11target_archE4294967295ELNS1_3gpuE0ELNS1_3repE0EEENS1_30default_config_static_selectorELNS0_4arch9wavefront6targetE0EEEvS10_
    .private_segment_fixed_size: 0
    .sgpr_count:     27
    .sgpr_spill_count: 0
    .symbol:         _ZN7rocprim17ROCPRIM_400000_NS6detail17trampoline_kernelINS0_14default_configENS1_21merge_config_selectorINS0_5tupleIJyyEEENS0_10empty_typeEEEZNS1_10merge_implIS3_NS0_12zip_iteratorINS5_IJN6thrust23THRUST_200600_302600_NS6detail15normal_iteratorINSC_10device_ptrIKyEEEESI_EEEEESK_NSA_INS5_IJNSE_INSF_IyEEEESM_EEEEEPS7_SP_SP_NSC_11hip_rocprim7__merge17predicate_wrapperIyyNSC_7greaterImEEEEEE10hipError_tPvRmT0_T1_T2_T3_T4_T5_mmT6_P12ihipStream_tbEUlT_E0_NS1_11comp_targetILNS1_3genE0ELNS1_11target_archE4294967295ELNS1_3gpuE0ELNS1_3repE0EEENS1_30default_config_static_selectorELNS0_4arch9wavefront6targetE0EEEvS10_.kd
    .uniform_work_group_size: 1
    .uses_dynamic_stack: false
    .vgpr_count:     23
    .vgpr_spill_count: 0
    .wavefront_size: 32
  - .args:
      - .offset:         0
        .size:           112
        .value_kind:     by_value
    .group_segment_fixed_size: 0
    .kernarg_segment_align: 8
    .kernarg_segment_size: 112
    .language:       OpenCL C
    .language_version:
      - 2
      - 0
    .max_flat_workgroup_size: 256
    .name:           _ZN7rocprim17ROCPRIM_400000_NS6detail17trampoline_kernelINS0_14default_configENS1_21merge_config_selectorINS0_5tupleIJyyEEENS0_10empty_typeEEEZNS1_10merge_implIS3_NS0_12zip_iteratorINS5_IJN6thrust23THRUST_200600_302600_NS6detail15normal_iteratorINSC_10device_ptrIKyEEEESI_EEEEESK_NSA_INS5_IJNSE_INSF_IyEEEESM_EEEEEPS7_SP_SP_NSC_11hip_rocprim7__merge17predicate_wrapperIyyNSC_7greaterImEEEEEE10hipError_tPvRmT0_T1_T2_T3_T4_T5_mmT6_P12ihipStream_tbEUlT_E0_NS1_11comp_targetILNS1_3genE5ELNS1_11target_archE942ELNS1_3gpuE9ELNS1_3repE0EEENS1_30default_config_static_selectorELNS0_4arch9wavefront6targetE0EEEvS10_
    .private_segment_fixed_size: 0
    .sgpr_count:     0
    .sgpr_spill_count: 0
    .symbol:         _ZN7rocprim17ROCPRIM_400000_NS6detail17trampoline_kernelINS0_14default_configENS1_21merge_config_selectorINS0_5tupleIJyyEEENS0_10empty_typeEEEZNS1_10merge_implIS3_NS0_12zip_iteratorINS5_IJN6thrust23THRUST_200600_302600_NS6detail15normal_iteratorINSC_10device_ptrIKyEEEESI_EEEEESK_NSA_INS5_IJNSE_INSF_IyEEEESM_EEEEEPS7_SP_SP_NSC_11hip_rocprim7__merge17predicate_wrapperIyyNSC_7greaterImEEEEEE10hipError_tPvRmT0_T1_T2_T3_T4_T5_mmT6_P12ihipStream_tbEUlT_E0_NS1_11comp_targetILNS1_3genE5ELNS1_11target_archE942ELNS1_3gpuE9ELNS1_3repE0EEENS1_30default_config_static_selectorELNS0_4arch9wavefront6targetE0EEEvS10_.kd
    .uniform_work_group_size: 1
    .uses_dynamic_stack: false
    .vgpr_count:     0
    .vgpr_spill_count: 0
    .wavefront_size: 32
  - .args:
      - .offset:         0
        .size:           112
        .value_kind:     by_value
    .group_segment_fixed_size: 0
    .kernarg_segment_align: 8
    .kernarg_segment_size: 112
    .language:       OpenCL C
    .language_version:
      - 2
      - 0
    .max_flat_workgroup_size: 512
    .name:           _ZN7rocprim17ROCPRIM_400000_NS6detail17trampoline_kernelINS0_14default_configENS1_21merge_config_selectorINS0_5tupleIJyyEEENS0_10empty_typeEEEZNS1_10merge_implIS3_NS0_12zip_iteratorINS5_IJN6thrust23THRUST_200600_302600_NS6detail15normal_iteratorINSC_10device_ptrIKyEEEESI_EEEEESK_NSA_INS5_IJNSE_INSF_IyEEEESM_EEEEEPS7_SP_SP_NSC_11hip_rocprim7__merge17predicate_wrapperIyyNSC_7greaterImEEEEEE10hipError_tPvRmT0_T1_T2_T3_T4_T5_mmT6_P12ihipStream_tbEUlT_E0_NS1_11comp_targetILNS1_3genE4ELNS1_11target_archE910ELNS1_3gpuE8ELNS1_3repE0EEENS1_30default_config_static_selectorELNS0_4arch9wavefront6targetE0EEEvS10_
    .private_segment_fixed_size: 0
    .sgpr_count:     0
    .sgpr_spill_count: 0
    .symbol:         _ZN7rocprim17ROCPRIM_400000_NS6detail17trampoline_kernelINS0_14default_configENS1_21merge_config_selectorINS0_5tupleIJyyEEENS0_10empty_typeEEEZNS1_10merge_implIS3_NS0_12zip_iteratorINS5_IJN6thrust23THRUST_200600_302600_NS6detail15normal_iteratorINSC_10device_ptrIKyEEEESI_EEEEESK_NSA_INS5_IJNSE_INSF_IyEEEESM_EEEEEPS7_SP_SP_NSC_11hip_rocprim7__merge17predicate_wrapperIyyNSC_7greaterImEEEEEE10hipError_tPvRmT0_T1_T2_T3_T4_T5_mmT6_P12ihipStream_tbEUlT_E0_NS1_11comp_targetILNS1_3genE4ELNS1_11target_archE910ELNS1_3gpuE8ELNS1_3repE0EEENS1_30default_config_static_selectorELNS0_4arch9wavefront6targetE0EEEvS10_.kd
    .uniform_work_group_size: 1
    .uses_dynamic_stack: false
    .vgpr_count:     0
    .vgpr_spill_count: 0
    .wavefront_size: 32
  - .args:
      - .offset:         0
        .size:           112
        .value_kind:     by_value
    .group_segment_fixed_size: 0
    .kernarg_segment_align: 8
    .kernarg_segment_size: 112
    .language:       OpenCL C
    .language_version:
      - 2
      - 0
    .max_flat_workgroup_size: 512
    .name:           _ZN7rocprim17ROCPRIM_400000_NS6detail17trampoline_kernelINS0_14default_configENS1_21merge_config_selectorINS0_5tupleIJyyEEENS0_10empty_typeEEEZNS1_10merge_implIS3_NS0_12zip_iteratorINS5_IJN6thrust23THRUST_200600_302600_NS6detail15normal_iteratorINSC_10device_ptrIKyEEEESI_EEEEESK_NSA_INS5_IJNSE_INSF_IyEEEESM_EEEEEPS7_SP_SP_NSC_11hip_rocprim7__merge17predicate_wrapperIyyNSC_7greaterImEEEEEE10hipError_tPvRmT0_T1_T2_T3_T4_T5_mmT6_P12ihipStream_tbEUlT_E0_NS1_11comp_targetILNS1_3genE3ELNS1_11target_archE908ELNS1_3gpuE7ELNS1_3repE0EEENS1_30default_config_static_selectorELNS0_4arch9wavefront6targetE0EEEvS10_
    .private_segment_fixed_size: 0
    .sgpr_count:     0
    .sgpr_spill_count: 0
    .symbol:         _ZN7rocprim17ROCPRIM_400000_NS6detail17trampoline_kernelINS0_14default_configENS1_21merge_config_selectorINS0_5tupleIJyyEEENS0_10empty_typeEEEZNS1_10merge_implIS3_NS0_12zip_iteratorINS5_IJN6thrust23THRUST_200600_302600_NS6detail15normal_iteratorINSC_10device_ptrIKyEEEESI_EEEEESK_NSA_INS5_IJNSE_INSF_IyEEEESM_EEEEEPS7_SP_SP_NSC_11hip_rocprim7__merge17predicate_wrapperIyyNSC_7greaterImEEEEEE10hipError_tPvRmT0_T1_T2_T3_T4_T5_mmT6_P12ihipStream_tbEUlT_E0_NS1_11comp_targetILNS1_3genE3ELNS1_11target_archE908ELNS1_3gpuE7ELNS1_3repE0EEENS1_30default_config_static_selectorELNS0_4arch9wavefront6targetE0EEEvS10_.kd
    .uniform_work_group_size: 1
    .uses_dynamic_stack: false
    .vgpr_count:     0
    .vgpr_spill_count: 0
    .wavefront_size: 32
  - .args:
      - .offset:         0
        .size:           112
        .value_kind:     by_value
    .group_segment_fixed_size: 0
    .kernarg_segment_align: 8
    .kernarg_segment_size: 112
    .language:       OpenCL C
    .language_version:
      - 2
      - 0
    .max_flat_workgroup_size: 512
    .name:           _ZN7rocprim17ROCPRIM_400000_NS6detail17trampoline_kernelINS0_14default_configENS1_21merge_config_selectorINS0_5tupleIJyyEEENS0_10empty_typeEEEZNS1_10merge_implIS3_NS0_12zip_iteratorINS5_IJN6thrust23THRUST_200600_302600_NS6detail15normal_iteratorINSC_10device_ptrIKyEEEESI_EEEEESK_NSA_INS5_IJNSE_INSF_IyEEEESM_EEEEEPS7_SP_SP_NSC_11hip_rocprim7__merge17predicate_wrapperIyyNSC_7greaterImEEEEEE10hipError_tPvRmT0_T1_T2_T3_T4_T5_mmT6_P12ihipStream_tbEUlT_E0_NS1_11comp_targetILNS1_3genE2ELNS1_11target_archE906ELNS1_3gpuE6ELNS1_3repE0EEENS1_30default_config_static_selectorELNS0_4arch9wavefront6targetE0EEEvS10_
    .private_segment_fixed_size: 0
    .sgpr_count:     0
    .sgpr_spill_count: 0
    .symbol:         _ZN7rocprim17ROCPRIM_400000_NS6detail17trampoline_kernelINS0_14default_configENS1_21merge_config_selectorINS0_5tupleIJyyEEENS0_10empty_typeEEEZNS1_10merge_implIS3_NS0_12zip_iteratorINS5_IJN6thrust23THRUST_200600_302600_NS6detail15normal_iteratorINSC_10device_ptrIKyEEEESI_EEEEESK_NSA_INS5_IJNSE_INSF_IyEEEESM_EEEEEPS7_SP_SP_NSC_11hip_rocprim7__merge17predicate_wrapperIyyNSC_7greaterImEEEEEE10hipError_tPvRmT0_T1_T2_T3_T4_T5_mmT6_P12ihipStream_tbEUlT_E0_NS1_11comp_targetILNS1_3genE2ELNS1_11target_archE906ELNS1_3gpuE6ELNS1_3repE0EEENS1_30default_config_static_selectorELNS0_4arch9wavefront6targetE0EEEvS10_.kd
    .uniform_work_group_size: 1
    .uses_dynamic_stack: false
    .vgpr_count:     0
    .vgpr_spill_count: 0
    .wavefront_size: 32
  - .args:
      - .offset:         0
        .size:           112
        .value_kind:     by_value
    .group_segment_fixed_size: 0
    .kernarg_segment_align: 8
    .kernarg_segment_size: 112
    .language:       OpenCL C
    .language_version:
      - 2
      - 0
    .max_flat_workgroup_size: 512
    .name:           _ZN7rocprim17ROCPRIM_400000_NS6detail17trampoline_kernelINS0_14default_configENS1_21merge_config_selectorINS0_5tupleIJyyEEENS0_10empty_typeEEEZNS1_10merge_implIS3_NS0_12zip_iteratorINS5_IJN6thrust23THRUST_200600_302600_NS6detail15normal_iteratorINSC_10device_ptrIKyEEEESI_EEEEESK_NSA_INS5_IJNSE_INSF_IyEEEESM_EEEEEPS7_SP_SP_NSC_11hip_rocprim7__merge17predicate_wrapperIyyNSC_7greaterImEEEEEE10hipError_tPvRmT0_T1_T2_T3_T4_T5_mmT6_P12ihipStream_tbEUlT_E0_NS1_11comp_targetILNS1_3genE10ELNS1_11target_archE1201ELNS1_3gpuE5ELNS1_3repE0EEENS1_30default_config_static_selectorELNS0_4arch9wavefront6targetE0EEEvS10_
    .private_segment_fixed_size: 0
    .sgpr_count:     0
    .sgpr_spill_count: 0
    .symbol:         _ZN7rocprim17ROCPRIM_400000_NS6detail17trampoline_kernelINS0_14default_configENS1_21merge_config_selectorINS0_5tupleIJyyEEENS0_10empty_typeEEEZNS1_10merge_implIS3_NS0_12zip_iteratorINS5_IJN6thrust23THRUST_200600_302600_NS6detail15normal_iteratorINSC_10device_ptrIKyEEEESI_EEEEESK_NSA_INS5_IJNSE_INSF_IyEEEESM_EEEEEPS7_SP_SP_NSC_11hip_rocprim7__merge17predicate_wrapperIyyNSC_7greaterImEEEEEE10hipError_tPvRmT0_T1_T2_T3_T4_T5_mmT6_P12ihipStream_tbEUlT_E0_NS1_11comp_targetILNS1_3genE10ELNS1_11target_archE1201ELNS1_3gpuE5ELNS1_3repE0EEENS1_30default_config_static_selectorELNS0_4arch9wavefront6targetE0EEEvS10_.kd
    .uniform_work_group_size: 1
    .uses_dynamic_stack: false
    .vgpr_count:     0
    .vgpr_spill_count: 0
    .wavefront_size: 32
  - .args:
      - .offset:         0
        .size:           112
        .value_kind:     by_value
    .group_segment_fixed_size: 0
    .kernarg_segment_align: 8
    .kernarg_segment_size: 112
    .language:       OpenCL C
    .language_version:
      - 2
      - 0
    .max_flat_workgroup_size: 256
    .name:           _ZN7rocprim17ROCPRIM_400000_NS6detail17trampoline_kernelINS0_14default_configENS1_21merge_config_selectorINS0_5tupleIJyyEEENS0_10empty_typeEEEZNS1_10merge_implIS3_NS0_12zip_iteratorINS5_IJN6thrust23THRUST_200600_302600_NS6detail15normal_iteratorINSC_10device_ptrIKyEEEESI_EEEEESK_NSA_INS5_IJNSE_INSF_IyEEEESM_EEEEEPS7_SP_SP_NSC_11hip_rocprim7__merge17predicate_wrapperIyyNSC_7greaterImEEEEEE10hipError_tPvRmT0_T1_T2_T3_T4_T5_mmT6_P12ihipStream_tbEUlT_E0_NS1_11comp_targetILNS1_3genE10ELNS1_11target_archE1200ELNS1_3gpuE4ELNS1_3repE0EEENS1_30default_config_static_selectorELNS0_4arch9wavefront6targetE0EEEvS10_
    .private_segment_fixed_size: 0
    .sgpr_count:     0
    .sgpr_spill_count: 0
    .symbol:         _ZN7rocprim17ROCPRIM_400000_NS6detail17trampoline_kernelINS0_14default_configENS1_21merge_config_selectorINS0_5tupleIJyyEEENS0_10empty_typeEEEZNS1_10merge_implIS3_NS0_12zip_iteratorINS5_IJN6thrust23THRUST_200600_302600_NS6detail15normal_iteratorINSC_10device_ptrIKyEEEESI_EEEEESK_NSA_INS5_IJNSE_INSF_IyEEEESM_EEEEEPS7_SP_SP_NSC_11hip_rocprim7__merge17predicate_wrapperIyyNSC_7greaterImEEEEEE10hipError_tPvRmT0_T1_T2_T3_T4_T5_mmT6_P12ihipStream_tbEUlT_E0_NS1_11comp_targetILNS1_3genE10ELNS1_11target_archE1200ELNS1_3gpuE4ELNS1_3repE0EEENS1_30default_config_static_selectorELNS0_4arch9wavefront6targetE0EEEvS10_.kd
    .uniform_work_group_size: 1
    .uses_dynamic_stack: false
    .vgpr_count:     0
    .vgpr_spill_count: 0
    .wavefront_size: 32
  - .args:
      - .offset:         0
        .size:           112
        .value_kind:     by_value
    .group_segment_fixed_size: 0
    .kernarg_segment_align: 8
    .kernarg_segment_size: 112
    .language:       OpenCL C
    .language_version:
      - 2
      - 0
    .max_flat_workgroup_size: 1024
    .name:           _ZN7rocprim17ROCPRIM_400000_NS6detail17trampoline_kernelINS0_14default_configENS1_21merge_config_selectorINS0_5tupleIJyyEEENS0_10empty_typeEEEZNS1_10merge_implIS3_NS0_12zip_iteratorINS5_IJN6thrust23THRUST_200600_302600_NS6detail15normal_iteratorINSC_10device_ptrIKyEEEESI_EEEEESK_NSA_INS5_IJNSE_INSF_IyEEEESM_EEEEEPS7_SP_SP_NSC_11hip_rocprim7__merge17predicate_wrapperIyyNSC_7greaterImEEEEEE10hipError_tPvRmT0_T1_T2_T3_T4_T5_mmT6_P12ihipStream_tbEUlT_E0_NS1_11comp_targetILNS1_3genE9ELNS1_11target_archE1100ELNS1_3gpuE3ELNS1_3repE0EEENS1_30default_config_static_selectorELNS0_4arch9wavefront6targetE0EEEvS10_
    .private_segment_fixed_size: 0
    .sgpr_count:     0
    .sgpr_spill_count: 0
    .symbol:         _ZN7rocprim17ROCPRIM_400000_NS6detail17trampoline_kernelINS0_14default_configENS1_21merge_config_selectorINS0_5tupleIJyyEEENS0_10empty_typeEEEZNS1_10merge_implIS3_NS0_12zip_iteratorINS5_IJN6thrust23THRUST_200600_302600_NS6detail15normal_iteratorINSC_10device_ptrIKyEEEESI_EEEEESK_NSA_INS5_IJNSE_INSF_IyEEEESM_EEEEEPS7_SP_SP_NSC_11hip_rocprim7__merge17predicate_wrapperIyyNSC_7greaterImEEEEEE10hipError_tPvRmT0_T1_T2_T3_T4_T5_mmT6_P12ihipStream_tbEUlT_E0_NS1_11comp_targetILNS1_3genE9ELNS1_11target_archE1100ELNS1_3gpuE3ELNS1_3repE0EEENS1_30default_config_static_selectorELNS0_4arch9wavefront6targetE0EEEvS10_.kd
    .uniform_work_group_size: 1
    .uses_dynamic_stack: false
    .vgpr_count:     0
    .vgpr_spill_count: 0
    .wavefront_size: 32
  - .args:
      - .offset:         0
        .size:           112
        .value_kind:     by_value
    .group_segment_fixed_size: 0
    .kernarg_segment_align: 8
    .kernarg_segment_size: 112
    .language:       OpenCL C
    .language_version:
      - 2
      - 0
    .max_flat_workgroup_size: 256
    .name:           _ZN7rocprim17ROCPRIM_400000_NS6detail17trampoline_kernelINS0_14default_configENS1_21merge_config_selectorINS0_5tupleIJyyEEENS0_10empty_typeEEEZNS1_10merge_implIS3_NS0_12zip_iteratorINS5_IJN6thrust23THRUST_200600_302600_NS6detail15normal_iteratorINSC_10device_ptrIKyEEEESI_EEEEESK_NSA_INS5_IJNSE_INSF_IyEEEESM_EEEEEPS7_SP_SP_NSC_11hip_rocprim7__merge17predicate_wrapperIyyNSC_7greaterImEEEEEE10hipError_tPvRmT0_T1_T2_T3_T4_T5_mmT6_P12ihipStream_tbEUlT_E0_NS1_11comp_targetILNS1_3genE8ELNS1_11target_archE1030ELNS1_3gpuE2ELNS1_3repE0EEENS1_30default_config_static_selectorELNS0_4arch9wavefront6targetE0EEEvS10_
    .private_segment_fixed_size: 0
    .sgpr_count:     0
    .sgpr_spill_count: 0
    .symbol:         _ZN7rocprim17ROCPRIM_400000_NS6detail17trampoline_kernelINS0_14default_configENS1_21merge_config_selectorINS0_5tupleIJyyEEENS0_10empty_typeEEEZNS1_10merge_implIS3_NS0_12zip_iteratorINS5_IJN6thrust23THRUST_200600_302600_NS6detail15normal_iteratorINSC_10device_ptrIKyEEEESI_EEEEESK_NSA_INS5_IJNSE_INSF_IyEEEESM_EEEEEPS7_SP_SP_NSC_11hip_rocprim7__merge17predicate_wrapperIyyNSC_7greaterImEEEEEE10hipError_tPvRmT0_T1_T2_T3_T4_T5_mmT6_P12ihipStream_tbEUlT_E0_NS1_11comp_targetILNS1_3genE8ELNS1_11target_archE1030ELNS1_3gpuE2ELNS1_3repE0EEENS1_30default_config_static_selectorELNS0_4arch9wavefront6targetE0EEEvS10_.kd
    .uniform_work_group_size: 1
    .uses_dynamic_stack: false
    .vgpr_count:     0
    .vgpr_spill_count: 0
    .wavefront_size: 32
  - .args:
      - .offset:         0
        .size:           64
        .value_kind:     by_value
      - .offset:         64
        .size:           4
        .value_kind:     hidden_block_count_x
      - .offset:         68
        .size:           4
        .value_kind:     hidden_block_count_y
      - .offset:         72
        .size:           4
        .value_kind:     hidden_block_count_z
      - .offset:         76
        .size:           2
        .value_kind:     hidden_group_size_x
      - .offset:         78
        .size:           2
        .value_kind:     hidden_group_size_y
      - .offset:         80
        .size:           2
        .value_kind:     hidden_group_size_z
      - .offset:         82
        .size:           2
        .value_kind:     hidden_remainder_x
      - .offset:         84
        .size:           2
        .value_kind:     hidden_remainder_y
      - .offset:         86
        .size:           2
        .value_kind:     hidden_remainder_z
      - .offset:         104
        .size:           8
        .value_kind:     hidden_global_offset_x
      - .offset:         112
        .size:           8
        .value_kind:     hidden_global_offset_y
      - .offset:         120
        .size:           8
        .value_kind:     hidden_global_offset_z
      - .offset:         128
        .size:           2
        .value_kind:     hidden_grid_dims
    .group_segment_fixed_size: 0
    .kernarg_segment_align: 8
    .kernarg_segment_size: 320
    .language:       OpenCL C
    .language_version:
      - 2
      - 0
    .max_flat_workgroup_size: 256
    .name:           _ZN7rocprim17ROCPRIM_400000_NS6detail17trampoline_kernelINS0_14default_configENS1_21merge_config_selectorINS0_5tupleIJjjEEENS0_10empty_typeEEEZNS1_10merge_implIS3_NS0_12zip_iteratorINS5_IJN6thrust23THRUST_200600_302600_NS6detail15normal_iteratorINSC_10device_ptrIKjEEEESI_EEEEESK_NSA_INS5_IJNSE_INSF_IjEEEESM_EEEEEPS7_SP_SP_NSC_11hip_rocprim7__merge17predicate_wrapperIjjNSC_7greaterIjEEEEEE10hipError_tPvRmT0_T1_T2_T3_T4_T5_mmT6_P12ihipStream_tbEUlT_E_NS1_11comp_targetILNS1_3genE0ELNS1_11target_archE4294967295ELNS1_3gpuE0ELNS1_3repE0EEENS1_30default_config_static_selectorELNS0_4arch9wavefront6targetE0EEEvS10_
    .private_segment_fixed_size: 0
    .sgpr_count:     16
    .sgpr_spill_count: 0
    .symbol:         _ZN7rocprim17ROCPRIM_400000_NS6detail17trampoline_kernelINS0_14default_configENS1_21merge_config_selectorINS0_5tupleIJjjEEENS0_10empty_typeEEEZNS1_10merge_implIS3_NS0_12zip_iteratorINS5_IJN6thrust23THRUST_200600_302600_NS6detail15normal_iteratorINSC_10device_ptrIKjEEEESI_EEEEESK_NSA_INS5_IJNSE_INSF_IjEEEESM_EEEEEPS7_SP_SP_NSC_11hip_rocprim7__merge17predicate_wrapperIjjNSC_7greaterIjEEEEEE10hipError_tPvRmT0_T1_T2_T3_T4_T5_mmT6_P12ihipStream_tbEUlT_E_NS1_11comp_targetILNS1_3genE0ELNS1_11target_archE4294967295ELNS1_3gpuE0ELNS1_3repE0EEENS1_30default_config_static_selectorELNS0_4arch9wavefront6targetE0EEEvS10_.kd
    .uniform_work_group_size: 1
    .uses_dynamic_stack: false
    .vgpr_count:     15
    .vgpr_spill_count: 0
    .wavefront_size: 32
  - .args:
      - .offset:         0
        .size:           64
        .value_kind:     by_value
    .group_segment_fixed_size: 0
    .kernarg_segment_align: 8
    .kernarg_segment_size: 64
    .language:       OpenCL C
    .language_version:
      - 2
      - 0
    .max_flat_workgroup_size: 256
    .name:           _ZN7rocprim17ROCPRIM_400000_NS6detail17trampoline_kernelINS0_14default_configENS1_21merge_config_selectorINS0_5tupleIJjjEEENS0_10empty_typeEEEZNS1_10merge_implIS3_NS0_12zip_iteratorINS5_IJN6thrust23THRUST_200600_302600_NS6detail15normal_iteratorINSC_10device_ptrIKjEEEESI_EEEEESK_NSA_INS5_IJNSE_INSF_IjEEEESM_EEEEEPS7_SP_SP_NSC_11hip_rocprim7__merge17predicate_wrapperIjjNSC_7greaterIjEEEEEE10hipError_tPvRmT0_T1_T2_T3_T4_T5_mmT6_P12ihipStream_tbEUlT_E_NS1_11comp_targetILNS1_3genE5ELNS1_11target_archE942ELNS1_3gpuE9ELNS1_3repE0EEENS1_30default_config_static_selectorELNS0_4arch9wavefront6targetE0EEEvS10_
    .private_segment_fixed_size: 0
    .sgpr_count:     0
    .sgpr_spill_count: 0
    .symbol:         _ZN7rocprim17ROCPRIM_400000_NS6detail17trampoline_kernelINS0_14default_configENS1_21merge_config_selectorINS0_5tupleIJjjEEENS0_10empty_typeEEEZNS1_10merge_implIS3_NS0_12zip_iteratorINS5_IJN6thrust23THRUST_200600_302600_NS6detail15normal_iteratorINSC_10device_ptrIKjEEEESI_EEEEESK_NSA_INS5_IJNSE_INSF_IjEEEESM_EEEEEPS7_SP_SP_NSC_11hip_rocprim7__merge17predicate_wrapperIjjNSC_7greaterIjEEEEEE10hipError_tPvRmT0_T1_T2_T3_T4_T5_mmT6_P12ihipStream_tbEUlT_E_NS1_11comp_targetILNS1_3genE5ELNS1_11target_archE942ELNS1_3gpuE9ELNS1_3repE0EEENS1_30default_config_static_selectorELNS0_4arch9wavefront6targetE0EEEvS10_.kd
    .uniform_work_group_size: 1
    .uses_dynamic_stack: false
    .vgpr_count:     0
    .vgpr_spill_count: 0
    .wavefront_size: 32
  - .args:
      - .offset:         0
        .size:           64
        .value_kind:     by_value
    .group_segment_fixed_size: 0
    .kernarg_segment_align: 8
    .kernarg_segment_size: 64
    .language:       OpenCL C
    .language_version:
      - 2
      - 0
    .max_flat_workgroup_size: 256
    .name:           _ZN7rocprim17ROCPRIM_400000_NS6detail17trampoline_kernelINS0_14default_configENS1_21merge_config_selectorINS0_5tupleIJjjEEENS0_10empty_typeEEEZNS1_10merge_implIS3_NS0_12zip_iteratorINS5_IJN6thrust23THRUST_200600_302600_NS6detail15normal_iteratorINSC_10device_ptrIKjEEEESI_EEEEESK_NSA_INS5_IJNSE_INSF_IjEEEESM_EEEEEPS7_SP_SP_NSC_11hip_rocprim7__merge17predicate_wrapperIjjNSC_7greaterIjEEEEEE10hipError_tPvRmT0_T1_T2_T3_T4_T5_mmT6_P12ihipStream_tbEUlT_E_NS1_11comp_targetILNS1_3genE4ELNS1_11target_archE910ELNS1_3gpuE8ELNS1_3repE0EEENS1_30default_config_static_selectorELNS0_4arch9wavefront6targetE0EEEvS10_
    .private_segment_fixed_size: 0
    .sgpr_count:     0
    .sgpr_spill_count: 0
    .symbol:         _ZN7rocprim17ROCPRIM_400000_NS6detail17trampoline_kernelINS0_14default_configENS1_21merge_config_selectorINS0_5tupleIJjjEEENS0_10empty_typeEEEZNS1_10merge_implIS3_NS0_12zip_iteratorINS5_IJN6thrust23THRUST_200600_302600_NS6detail15normal_iteratorINSC_10device_ptrIKjEEEESI_EEEEESK_NSA_INS5_IJNSE_INSF_IjEEEESM_EEEEEPS7_SP_SP_NSC_11hip_rocprim7__merge17predicate_wrapperIjjNSC_7greaterIjEEEEEE10hipError_tPvRmT0_T1_T2_T3_T4_T5_mmT6_P12ihipStream_tbEUlT_E_NS1_11comp_targetILNS1_3genE4ELNS1_11target_archE910ELNS1_3gpuE8ELNS1_3repE0EEENS1_30default_config_static_selectorELNS0_4arch9wavefront6targetE0EEEvS10_.kd
    .uniform_work_group_size: 1
    .uses_dynamic_stack: false
    .vgpr_count:     0
    .vgpr_spill_count: 0
    .wavefront_size: 32
  - .args:
      - .offset:         0
        .size:           64
        .value_kind:     by_value
    .group_segment_fixed_size: 0
    .kernarg_segment_align: 8
    .kernarg_segment_size: 64
    .language:       OpenCL C
    .language_version:
      - 2
      - 0
    .max_flat_workgroup_size: 256
    .name:           _ZN7rocprim17ROCPRIM_400000_NS6detail17trampoline_kernelINS0_14default_configENS1_21merge_config_selectorINS0_5tupleIJjjEEENS0_10empty_typeEEEZNS1_10merge_implIS3_NS0_12zip_iteratorINS5_IJN6thrust23THRUST_200600_302600_NS6detail15normal_iteratorINSC_10device_ptrIKjEEEESI_EEEEESK_NSA_INS5_IJNSE_INSF_IjEEEESM_EEEEEPS7_SP_SP_NSC_11hip_rocprim7__merge17predicate_wrapperIjjNSC_7greaterIjEEEEEE10hipError_tPvRmT0_T1_T2_T3_T4_T5_mmT6_P12ihipStream_tbEUlT_E_NS1_11comp_targetILNS1_3genE3ELNS1_11target_archE908ELNS1_3gpuE7ELNS1_3repE0EEENS1_30default_config_static_selectorELNS0_4arch9wavefront6targetE0EEEvS10_
    .private_segment_fixed_size: 0
    .sgpr_count:     0
    .sgpr_spill_count: 0
    .symbol:         _ZN7rocprim17ROCPRIM_400000_NS6detail17trampoline_kernelINS0_14default_configENS1_21merge_config_selectorINS0_5tupleIJjjEEENS0_10empty_typeEEEZNS1_10merge_implIS3_NS0_12zip_iteratorINS5_IJN6thrust23THRUST_200600_302600_NS6detail15normal_iteratorINSC_10device_ptrIKjEEEESI_EEEEESK_NSA_INS5_IJNSE_INSF_IjEEEESM_EEEEEPS7_SP_SP_NSC_11hip_rocprim7__merge17predicate_wrapperIjjNSC_7greaterIjEEEEEE10hipError_tPvRmT0_T1_T2_T3_T4_T5_mmT6_P12ihipStream_tbEUlT_E_NS1_11comp_targetILNS1_3genE3ELNS1_11target_archE908ELNS1_3gpuE7ELNS1_3repE0EEENS1_30default_config_static_selectorELNS0_4arch9wavefront6targetE0EEEvS10_.kd
    .uniform_work_group_size: 1
    .uses_dynamic_stack: false
    .vgpr_count:     0
    .vgpr_spill_count: 0
    .wavefront_size: 32
  - .args:
      - .offset:         0
        .size:           64
        .value_kind:     by_value
    .group_segment_fixed_size: 0
    .kernarg_segment_align: 8
    .kernarg_segment_size: 64
    .language:       OpenCL C
    .language_version:
      - 2
      - 0
    .max_flat_workgroup_size: 256
    .name:           _ZN7rocprim17ROCPRIM_400000_NS6detail17trampoline_kernelINS0_14default_configENS1_21merge_config_selectorINS0_5tupleIJjjEEENS0_10empty_typeEEEZNS1_10merge_implIS3_NS0_12zip_iteratorINS5_IJN6thrust23THRUST_200600_302600_NS6detail15normal_iteratorINSC_10device_ptrIKjEEEESI_EEEEESK_NSA_INS5_IJNSE_INSF_IjEEEESM_EEEEEPS7_SP_SP_NSC_11hip_rocprim7__merge17predicate_wrapperIjjNSC_7greaterIjEEEEEE10hipError_tPvRmT0_T1_T2_T3_T4_T5_mmT6_P12ihipStream_tbEUlT_E_NS1_11comp_targetILNS1_3genE2ELNS1_11target_archE906ELNS1_3gpuE6ELNS1_3repE0EEENS1_30default_config_static_selectorELNS0_4arch9wavefront6targetE0EEEvS10_
    .private_segment_fixed_size: 0
    .sgpr_count:     0
    .sgpr_spill_count: 0
    .symbol:         _ZN7rocprim17ROCPRIM_400000_NS6detail17trampoline_kernelINS0_14default_configENS1_21merge_config_selectorINS0_5tupleIJjjEEENS0_10empty_typeEEEZNS1_10merge_implIS3_NS0_12zip_iteratorINS5_IJN6thrust23THRUST_200600_302600_NS6detail15normal_iteratorINSC_10device_ptrIKjEEEESI_EEEEESK_NSA_INS5_IJNSE_INSF_IjEEEESM_EEEEEPS7_SP_SP_NSC_11hip_rocprim7__merge17predicate_wrapperIjjNSC_7greaterIjEEEEEE10hipError_tPvRmT0_T1_T2_T3_T4_T5_mmT6_P12ihipStream_tbEUlT_E_NS1_11comp_targetILNS1_3genE2ELNS1_11target_archE906ELNS1_3gpuE6ELNS1_3repE0EEENS1_30default_config_static_selectorELNS0_4arch9wavefront6targetE0EEEvS10_.kd
    .uniform_work_group_size: 1
    .uses_dynamic_stack: false
    .vgpr_count:     0
    .vgpr_spill_count: 0
    .wavefront_size: 32
  - .args:
      - .offset:         0
        .size:           64
        .value_kind:     by_value
    .group_segment_fixed_size: 0
    .kernarg_segment_align: 8
    .kernarg_segment_size: 64
    .language:       OpenCL C
    .language_version:
      - 2
      - 0
    .max_flat_workgroup_size: 512
    .name:           _ZN7rocprim17ROCPRIM_400000_NS6detail17trampoline_kernelINS0_14default_configENS1_21merge_config_selectorINS0_5tupleIJjjEEENS0_10empty_typeEEEZNS1_10merge_implIS3_NS0_12zip_iteratorINS5_IJN6thrust23THRUST_200600_302600_NS6detail15normal_iteratorINSC_10device_ptrIKjEEEESI_EEEEESK_NSA_INS5_IJNSE_INSF_IjEEEESM_EEEEEPS7_SP_SP_NSC_11hip_rocprim7__merge17predicate_wrapperIjjNSC_7greaterIjEEEEEE10hipError_tPvRmT0_T1_T2_T3_T4_T5_mmT6_P12ihipStream_tbEUlT_E_NS1_11comp_targetILNS1_3genE10ELNS1_11target_archE1201ELNS1_3gpuE5ELNS1_3repE0EEENS1_30default_config_static_selectorELNS0_4arch9wavefront6targetE0EEEvS10_
    .private_segment_fixed_size: 0
    .sgpr_count:     0
    .sgpr_spill_count: 0
    .symbol:         _ZN7rocprim17ROCPRIM_400000_NS6detail17trampoline_kernelINS0_14default_configENS1_21merge_config_selectorINS0_5tupleIJjjEEENS0_10empty_typeEEEZNS1_10merge_implIS3_NS0_12zip_iteratorINS5_IJN6thrust23THRUST_200600_302600_NS6detail15normal_iteratorINSC_10device_ptrIKjEEEESI_EEEEESK_NSA_INS5_IJNSE_INSF_IjEEEESM_EEEEEPS7_SP_SP_NSC_11hip_rocprim7__merge17predicate_wrapperIjjNSC_7greaterIjEEEEEE10hipError_tPvRmT0_T1_T2_T3_T4_T5_mmT6_P12ihipStream_tbEUlT_E_NS1_11comp_targetILNS1_3genE10ELNS1_11target_archE1201ELNS1_3gpuE5ELNS1_3repE0EEENS1_30default_config_static_selectorELNS0_4arch9wavefront6targetE0EEEvS10_.kd
    .uniform_work_group_size: 1
    .uses_dynamic_stack: false
    .vgpr_count:     0
    .vgpr_spill_count: 0
    .wavefront_size: 32
  - .args:
      - .offset:         0
        .size:           64
        .value_kind:     by_value
    .group_segment_fixed_size: 0
    .kernarg_segment_align: 8
    .kernarg_segment_size: 64
    .language:       OpenCL C
    .language_version:
      - 2
      - 0
    .max_flat_workgroup_size: 1024
    .name:           _ZN7rocprim17ROCPRIM_400000_NS6detail17trampoline_kernelINS0_14default_configENS1_21merge_config_selectorINS0_5tupleIJjjEEENS0_10empty_typeEEEZNS1_10merge_implIS3_NS0_12zip_iteratorINS5_IJN6thrust23THRUST_200600_302600_NS6detail15normal_iteratorINSC_10device_ptrIKjEEEESI_EEEEESK_NSA_INS5_IJNSE_INSF_IjEEEESM_EEEEEPS7_SP_SP_NSC_11hip_rocprim7__merge17predicate_wrapperIjjNSC_7greaterIjEEEEEE10hipError_tPvRmT0_T1_T2_T3_T4_T5_mmT6_P12ihipStream_tbEUlT_E_NS1_11comp_targetILNS1_3genE10ELNS1_11target_archE1200ELNS1_3gpuE4ELNS1_3repE0EEENS1_30default_config_static_selectorELNS0_4arch9wavefront6targetE0EEEvS10_
    .private_segment_fixed_size: 0
    .sgpr_count:     0
    .sgpr_spill_count: 0
    .symbol:         _ZN7rocprim17ROCPRIM_400000_NS6detail17trampoline_kernelINS0_14default_configENS1_21merge_config_selectorINS0_5tupleIJjjEEENS0_10empty_typeEEEZNS1_10merge_implIS3_NS0_12zip_iteratorINS5_IJN6thrust23THRUST_200600_302600_NS6detail15normal_iteratorINSC_10device_ptrIKjEEEESI_EEEEESK_NSA_INS5_IJNSE_INSF_IjEEEESM_EEEEEPS7_SP_SP_NSC_11hip_rocprim7__merge17predicate_wrapperIjjNSC_7greaterIjEEEEEE10hipError_tPvRmT0_T1_T2_T3_T4_T5_mmT6_P12ihipStream_tbEUlT_E_NS1_11comp_targetILNS1_3genE10ELNS1_11target_archE1200ELNS1_3gpuE4ELNS1_3repE0EEENS1_30default_config_static_selectorELNS0_4arch9wavefront6targetE0EEEvS10_.kd
    .uniform_work_group_size: 1
    .uses_dynamic_stack: false
    .vgpr_count:     0
    .vgpr_spill_count: 0
    .wavefront_size: 32
  - .args:
      - .offset:         0
        .size:           64
        .value_kind:     by_value
    .group_segment_fixed_size: 0
    .kernarg_segment_align: 8
    .kernarg_segment_size: 64
    .language:       OpenCL C
    .language_version:
      - 2
      - 0
    .max_flat_workgroup_size: 1024
    .name:           _ZN7rocprim17ROCPRIM_400000_NS6detail17trampoline_kernelINS0_14default_configENS1_21merge_config_selectorINS0_5tupleIJjjEEENS0_10empty_typeEEEZNS1_10merge_implIS3_NS0_12zip_iteratorINS5_IJN6thrust23THRUST_200600_302600_NS6detail15normal_iteratorINSC_10device_ptrIKjEEEESI_EEEEESK_NSA_INS5_IJNSE_INSF_IjEEEESM_EEEEEPS7_SP_SP_NSC_11hip_rocprim7__merge17predicate_wrapperIjjNSC_7greaterIjEEEEEE10hipError_tPvRmT0_T1_T2_T3_T4_T5_mmT6_P12ihipStream_tbEUlT_E_NS1_11comp_targetILNS1_3genE9ELNS1_11target_archE1100ELNS1_3gpuE3ELNS1_3repE0EEENS1_30default_config_static_selectorELNS0_4arch9wavefront6targetE0EEEvS10_
    .private_segment_fixed_size: 0
    .sgpr_count:     0
    .sgpr_spill_count: 0
    .symbol:         _ZN7rocprim17ROCPRIM_400000_NS6detail17trampoline_kernelINS0_14default_configENS1_21merge_config_selectorINS0_5tupleIJjjEEENS0_10empty_typeEEEZNS1_10merge_implIS3_NS0_12zip_iteratorINS5_IJN6thrust23THRUST_200600_302600_NS6detail15normal_iteratorINSC_10device_ptrIKjEEEESI_EEEEESK_NSA_INS5_IJNSE_INSF_IjEEEESM_EEEEEPS7_SP_SP_NSC_11hip_rocprim7__merge17predicate_wrapperIjjNSC_7greaterIjEEEEEE10hipError_tPvRmT0_T1_T2_T3_T4_T5_mmT6_P12ihipStream_tbEUlT_E_NS1_11comp_targetILNS1_3genE9ELNS1_11target_archE1100ELNS1_3gpuE3ELNS1_3repE0EEENS1_30default_config_static_selectorELNS0_4arch9wavefront6targetE0EEEvS10_.kd
    .uniform_work_group_size: 1
    .uses_dynamic_stack: false
    .vgpr_count:     0
    .vgpr_spill_count: 0
    .wavefront_size: 32
  - .args:
      - .offset:         0
        .size:           64
        .value_kind:     by_value
    .group_segment_fixed_size: 0
    .kernarg_segment_align: 8
    .kernarg_segment_size: 64
    .language:       OpenCL C
    .language_version:
      - 2
      - 0
    .max_flat_workgroup_size: 256
    .name:           _ZN7rocprim17ROCPRIM_400000_NS6detail17trampoline_kernelINS0_14default_configENS1_21merge_config_selectorINS0_5tupleIJjjEEENS0_10empty_typeEEEZNS1_10merge_implIS3_NS0_12zip_iteratorINS5_IJN6thrust23THRUST_200600_302600_NS6detail15normal_iteratorINSC_10device_ptrIKjEEEESI_EEEEESK_NSA_INS5_IJNSE_INSF_IjEEEESM_EEEEEPS7_SP_SP_NSC_11hip_rocprim7__merge17predicate_wrapperIjjNSC_7greaterIjEEEEEE10hipError_tPvRmT0_T1_T2_T3_T4_T5_mmT6_P12ihipStream_tbEUlT_E_NS1_11comp_targetILNS1_3genE8ELNS1_11target_archE1030ELNS1_3gpuE2ELNS1_3repE0EEENS1_30default_config_static_selectorELNS0_4arch9wavefront6targetE0EEEvS10_
    .private_segment_fixed_size: 0
    .sgpr_count:     0
    .sgpr_spill_count: 0
    .symbol:         _ZN7rocprim17ROCPRIM_400000_NS6detail17trampoline_kernelINS0_14default_configENS1_21merge_config_selectorINS0_5tupleIJjjEEENS0_10empty_typeEEEZNS1_10merge_implIS3_NS0_12zip_iteratorINS5_IJN6thrust23THRUST_200600_302600_NS6detail15normal_iteratorINSC_10device_ptrIKjEEEESI_EEEEESK_NSA_INS5_IJNSE_INSF_IjEEEESM_EEEEEPS7_SP_SP_NSC_11hip_rocprim7__merge17predicate_wrapperIjjNSC_7greaterIjEEEEEE10hipError_tPvRmT0_T1_T2_T3_T4_T5_mmT6_P12ihipStream_tbEUlT_E_NS1_11comp_targetILNS1_3genE8ELNS1_11target_archE1030ELNS1_3gpuE2ELNS1_3repE0EEENS1_30default_config_static_selectorELNS0_4arch9wavefront6targetE0EEEvS10_.kd
    .uniform_work_group_size: 1
    .uses_dynamic_stack: false
    .vgpr_count:     0
    .vgpr_spill_count: 0
    .wavefront_size: 32
  - .args:
      - .offset:         0
        .size:           112
        .value_kind:     by_value
    .group_segment_fixed_size: 14352
    .kernarg_segment_align: 8
    .kernarg_segment_size: 112
    .language:       OpenCL C
    .language_version:
      - 2
      - 0
    .max_flat_workgroup_size: 256
    .name:           _ZN7rocprim17ROCPRIM_400000_NS6detail17trampoline_kernelINS0_14default_configENS1_21merge_config_selectorINS0_5tupleIJjjEEENS0_10empty_typeEEEZNS1_10merge_implIS3_NS0_12zip_iteratorINS5_IJN6thrust23THRUST_200600_302600_NS6detail15normal_iteratorINSC_10device_ptrIKjEEEESI_EEEEESK_NSA_INS5_IJNSE_INSF_IjEEEESM_EEEEEPS7_SP_SP_NSC_11hip_rocprim7__merge17predicate_wrapperIjjNSC_7greaterIjEEEEEE10hipError_tPvRmT0_T1_T2_T3_T4_T5_mmT6_P12ihipStream_tbEUlT_E0_NS1_11comp_targetILNS1_3genE0ELNS1_11target_archE4294967295ELNS1_3gpuE0ELNS1_3repE0EEENS1_30default_config_static_selectorELNS0_4arch9wavefront6targetE0EEEvS10_
    .private_segment_fixed_size: 0
    .sgpr_count:     28
    .sgpr_spill_count: 0
    .symbol:         _ZN7rocprim17ROCPRIM_400000_NS6detail17trampoline_kernelINS0_14default_configENS1_21merge_config_selectorINS0_5tupleIJjjEEENS0_10empty_typeEEEZNS1_10merge_implIS3_NS0_12zip_iteratorINS5_IJN6thrust23THRUST_200600_302600_NS6detail15normal_iteratorINSC_10device_ptrIKjEEEESI_EEEEESK_NSA_INS5_IJNSE_INSF_IjEEEESM_EEEEEPS7_SP_SP_NSC_11hip_rocprim7__merge17predicate_wrapperIjjNSC_7greaterIjEEEEEE10hipError_tPvRmT0_T1_T2_T3_T4_T5_mmT6_P12ihipStream_tbEUlT_E0_NS1_11comp_targetILNS1_3genE0ELNS1_11target_archE4294967295ELNS1_3gpuE0ELNS1_3repE0EEENS1_30default_config_static_selectorELNS0_4arch9wavefront6targetE0EEEvS10_.kd
    .uniform_work_group_size: 1
    .uses_dynamic_stack: false
    .vgpr_count:     35
    .vgpr_spill_count: 0
    .wavefront_size: 32
  - .args:
      - .offset:         0
        .size:           112
        .value_kind:     by_value
    .group_segment_fixed_size: 0
    .kernarg_segment_align: 8
    .kernarg_segment_size: 112
    .language:       OpenCL C
    .language_version:
      - 2
      - 0
    .max_flat_workgroup_size: 256
    .name:           _ZN7rocprim17ROCPRIM_400000_NS6detail17trampoline_kernelINS0_14default_configENS1_21merge_config_selectorINS0_5tupleIJjjEEENS0_10empty_typeEEEZNS1_10merge_implIS3_NS0_12zip_iteratorINS5_IJN6thrust23THRUST_200600_302600_NS6detail15normal_iteratorINSC_10device_ptrIKjEEEESI_EEEEESK_NSA_INS5_IJNSE_INSF_IjEEEESM_EEEEEPS7_SP_SP_NSC_11hip_rocprim7__merge17predicate_wrapperIjjNSC_7greaterIjEEEEEE10hipError_tPvRmT0_T1_T2_T3_T4_T5_mmT6_P12ihipStream_tbEUlT_E0_NS1_11comp_targetILNS1_3genE5ELNS1_11target_archE942ELNS1_3gpuE9ELNS1_3repE0EEENS1_30default_config_static_selectorELNS0_4arch9wavefront6targetE0EEEvS10_
    .private_segment_fixed_size: 0
    .sgpr_count:     0
    .sgpr_spill_count: 0
    .symbol:         _ZN7rocprim17ROCPRIM_400000_NS6detail17trampoline_kernelINS0_14default_configENS1_21merge_config_selectorINS0_5tupleIJjjEEENS0_10empty_typeEEEZNS1_10merge_implIS3_NS0_12zip_iteratorINS5_IJN6thrust23THRUST_200600_302600_NS6detail15normal_iteratorINSC_10device_ptrIKjEEEESI_EEEEESK_NSA_INS5_IJNSE_INSF_IjEEEESM_EEEEEPS7_SP_SP_NSC_11hip_rocprim7__merge17predicate_wrapperIjjNSC_7greaterIjEEEEEE10hipError_tPvRmT0_T1_T2_T3_T4_T5_mmT6_P12ihipStream_tbEUlT_E0_NS1_11comp_targetILNS1_3genE5ELNS1_11target_archE942ELNS1_3gpuE9ELNS1_3repE0EEENS1_30default_config_static_selectorELNS0_4arch9wavefront6targetE0EEEvS10_.kd
    .uniform_work_group_size: 1
    .uses_dynamic_stack: false
    .vgpr_count:     0
    .vgpr_spill_count: 0
    .wavefront_size: 32
  - .args:
      - .offset:         0
        .size:           112
        .value_kind:     by_value
    .group_segment_fixed_size: 0
    .kernarg_segment_align: 8
    .kernarg_segment_size: 112
    .language:       OpenCL C
    .language_version:
      - 2
      - 0
    .max_flat_workgroup_size: 256
    .name:           _ZN7rocprim17ROCPRIM_400000_NS6detail17trampoline_kernelINS0_14default_configENS1_21merge_config_selectorINS0_5tupleIJjjEEENS0_10empty_typeEEEZNS1_10merge_implIS3_NS0_12zip_iteratorINS5_IJN6thrust23THRUST_200600_302600_NS6detail15normal_iteratorINSC_10device_ptrIKjEEEESI_EEEEESK_NSA_INS5_IJNSE_INSF_IjEEEESM_EEEEEPS7_SP_SP_NSC_11hip_rocprim7__merge17predicate_wrapperIjjNSC_7greaterIjEEEEEE10hipError_tPvRmT0_T1_T2_T3_T4_T5_mmT6_P12ihipStream_tbEUlT_E0_NS1_11comp_targetILNS1_3genE4ELNS1_11target_archE910ELNS1_3gpuE8ELNS1_3repE0EEENS1_30default_config_static_selectorELNS0_4arch9wavefront6targetE0EEEvS10_
    .private_segment_fixed_size: 0
    .sgpr_count:     0
    .sgpr_spill_count: 0
    .symbol:         _ZN7rocprim17ROCPRIM_400000_NS6detail17trampoline_kernelINS0_14default_configENS1_21merge_config_selectorINS0_5tupleIJjjEEENS0_10empty_typeEEEZNS1_10merge_implIS3_NS0_12zip_iteratorINS5_IJN6thrust23THRUST_200600_302600_NS6detail15normal_iteratorINSC_10device_ptrIKjEEEESI_EEEEESK_NSA_INS5_IJNSE_INSF_IjEEEESM_EEEEEPS7_SP_SP_NSC_11hip_rocprim7__merge17predicate_wrapperIjjNSC_7greaterIjEEEEEE10hipError_tPvRmT0_T1_T2_T3_T4_T5_mmT6_P12ihipStream_tbEUlT_E0_NS1_11comp_targetILNS1_3genE4ELNS1_11target_archE910ELNS1_3gpuE8ELNS1_3repE0EEENS1_30default_config_static_selectorELNS0_4arch9wavefront6targetE0EEEvS10_.kd
    .uniform_work_group_size: 1
    .uses_dynamic_stack: false
    .vgpr_count:     0
    .vgpr_spill_count: 0
    .wavefront_size: 32
  - .args:
      - .offset:         0
        .size:           112
        .value_kind:     by_value
    .group_segment_fixed_size: 0
    .kernarg_segment_align: 8
    .kernarg_segment_size: 112
    .language:       OpenCL C
    .language_version:
      - 2
      - 0
    .max_flat_workgroup_size: 256
    .name:           _ZN7rocprim17ROCPRIM_400000_NS6detail17trampoline_kernelINS0_14default_configENS1_21merge_config_selectorINS0_5tupleIJjjEEENS0_10empty_typeEEEZNS1_10merge_implIS3_NS0_12zip_iteratorINS5_IJN6thrust23THRUST_200600_302600_NS6detail15normal_iteratorINSC_10device_ptrIKjEEEESI_EEEEESK_NSA_INS5_IJNSE_INSF_IjEEEESM_EEEEEPS7_SP_SP_NSC_11hip_rocprim7__merge17predicate_wrapperIjjNSC_7greaterIjEEEEEE10hipError_tPvRmT0_T1_T2_T3_T4_T5_mmT6_P12ihipStream_tbEUlT_E0_NS1_11comp_targetILNS1_3genE3ELNS1_11target_archE908ELNS1_3gpuE7ELNS1_3repE0EEENS1_30default_config_static_selectorELNS0_4arch9wavefront6targetE0EEEvS10_
    .private_segment_fixed_size: 0
    .sgpr_count:     0
    .sgpr_spill_count: 0
    .symbol:         _ZN7rocprim17ROCPRIM_400000_NS6detail17trampoline_kernelINS0_14default_configENS1_21merge_config_selectorINS0_5tupleIJjjEEENS0_10empty_typeEEEZNS1_10merge_implIS3_NS0_12zip_iteratorINS5_IJN6thrust23THRUST_200600_302600_NS6detail15normal_iteratorINSC_10device_ptrIKjEEEESI_EEEEESK_NSA_INS5_IJNSE_INSF_IjEEEESM_EEEEEPS7_SP_SP_NSC_11hip_rocprim7__merge17predicate_wrapperIjjNSC_7greaterIjEEEEEE10hipError_tPvRmT0_T1_T2_T3_T4_T5_mmT6_P12ihipStream_tbEUlT_E0_NS1_11comp_targetILNS1_3genE3ELNS1_11target_archE908ELNS1_3gpuE7ELNS1_3repE0EEENS1_30default_config_static_selectorELNS0_4arch9wavefront6targetE0EEEvS10_.kd
    .uniform_work_group_size: 1
    .uses_dynamic_stack: false
    .vgpr_count:     0
    .vgpr_spill_count: 0
    .wavefront_size: 32
  - .args:
      - .offset:         0
        .size:           112
        .value_kind:     by_value
    .group_segment_fixed_size: 0
    .kernarg_segment_align: 8
    .kernarg_segment_size: 112
    .language:       OpenCL C
    .language_version:
      - 2
      - 0
    .max_flat_workgroup_size: 256
    .name:           _ZN7rocprim17ROCPRIM_400000_NS6detail17trampoline_kernelINS0_14default_configENS1_21merge_config_selectorINS0_5tupleIJjjEEENS0_10empty_typeEEEZNS1_10merge_implIS3_NS0_12zip_iteratorINS5_IJN6thrust23THRUST_200600_302600_NS6detail15normal_iteratorINSC_10device_ptrIKjEEEESI_EEEEESK_NSA_INS5_IJNSE_INSF_IjEEEESM_EEEEEPS7_SP_SP_NSC_11hip_rocprim7__merge17predicate_wrapperIjjNSC_7greaterIjEEEEEE10hipError_tPvRmT0_T1_T2_T3_T4_T5_mmT6_P12ihipStream_tbEUlT_E0_NS1_11comp_targetILNS1_3genE2ELNS1_11target_archE906ELNS1_3gpuE6ELNS1_3repE0EEENS1_30default_config_static_selectorELNS0_4arch9wavefront6targetE0EEEvS10_
    .private_segment_fixed_size: 0
    .sgpr_count:     0
    .sgpr_spill_count: 0
    .symbol:         _ZN7rocprim17ROCPRIM_400000_NS6detail17trampoline_kernelINS0_14default_configENS1_21merge_config_selectorINS0_5tupleIJjjEEENS0_10empty_typeEEEZNS1_10merge_implIS3_NS0_12zip_iteratorINS5_IJN6thrust23THRUST_200600_302600_NS6detail15normal_iteratorINSC_10device_ptrIKjEEEESI_EEEEESK_NSA_INS5_IJNSE_INSF_IjEEEESM_EEEEEPS7_SP_SP_NSC_11hip_rocprim7__merge17predicate_wrapperIjjNSC_7greaterIjEEEEEE10hipError_tPvRmT0_T1_T2_T3_T4_T5_mmT6_P12ihipStream_tbEUlT_E0_NS1_11comp_targetILNS1_3genE2ELNS1_11target_archE906ELNS1_3gpuE6ELNS1_3repE0EEENS1_30default_config_static_selectorELNS0_4arch9wavefront6targetE0EEEvS10_.kd
    .uniform_work_group_size: 1
    .uses_dynamic_stack: false
    .vgpr_count:     0
    .vgpr_spill_count: 0
    .wavefront_size: 32
  - .args:
      - .offset:         0
        .size:           112
        .value_kind:     by_value
    .group_segment_fixed_size: 0
    .kernarg_segment_align: 8
    .kernarg_segment_size: 112
    .language:       OpenCL C
    .language_version:
      - 2
      - 0
    .max_flat_workgroup_size: 512
    .name:           _ZN7rocprim17ROCPRIM_400000_NS6detail17trampoline_kernelINS0_14default_configENS1_21merge_config_selectorINS0_5tupleIJjjEEENS0_10empty_typeEEEZNS1_10merge_implIS3_NS0_12zip_iteratorINS5_IJN6thrust23THRUST_200600_302600_NS6detail15normal_iteratorINSC_10device_ptrIKjEEEESI_EEEEESK_NSA_INS5_IJNSE_INSF_IjEEEESM_EEEEEPS7_SP_SP_NSC_11hip_rocprim7__merge17predicate_wrapperIjjNSC_7greaterIjEEEEEE10hipError_tPvRmT0_T1_T2_T3_T4_T5_mmT6_P12ihipStream_tbEUlT_E0_NS1_11comp_targetILNS1_3genE10ELNS1_11target_archE1201ELNS1_3gpuE5ELNS1_3repE0EEENS1_30default_config_static_selectorELNS0_4arch9wavefront6targetE0EEEvS10_
    .private_segment_fixed_size: 0
    .sgpr_count:     0
    .sgpr_spill_count: 0
    .symbol:         _ZN7rocprim17ROCPRIM_400000_NS6detail17trampoline_kernelINS0_14default_configENS1_21merge_config_selectorINS0_5tupleIJjjEEENS0_10empty_typeEEEZNS1_10merge_implIS3_NS0_12zip_iteratorINS5_IJN6thrust23THRUST_200600_302600_NS6detail15normal_iteratorINSC_10device_ptrIKjEEEESI_EEEEESK_NSA_INS5_IJNSE_INSF_IjEEEESM_EEEEEPS7_SP_SP_NSC_11hip_rocprim7__merge17predicate_wrapperIjjNSC_7greaterIjEEEEEE10hipError_tPvRmT0_T1_T2_T3_T4_T5_mmT6_P12ihipStream_tbEUlT_E0_NS1_11comp_targetILNS1_3genE10ELNS1_11target_archE1201ELNS1_3gpuE5ELNS1_3repE0EEENS1_30default_config_static_selectorELNS0_4arch9wavefront6targetE0EEEvS10_.kd
    .uniform_work_group_size: 1
    .uses_dynamic_stack: false
    .vgpr_count:     0
    .vgpr_spill_count: 0
    .wavefront_size: 32
  - .args:
      - .offset:         0
        .size:           112
        .value_kind:     by_value
    .group_segment_fixed_size: 0
    .kernarg_segment_align: 8
    .kernarg_segment_size: 112
    .language:       OpenCL C
    .language_version:
      - 2
      - 0
    .max_flat_workgroup_size: 1024
    .name:           _ZN7rocprim17ROCPRIM_400000_NS6detail17trampoline_kernelINS0_14default_configENS1_21merge_config_selectorINS0_5tupleIJjjEEENS0_10empty_typeEEEZNS1_10merge_implIS3_NS0_12zip_iteratorINS5_IJN6thrust23THRUST_200600_302600_NS6detail15normal_iteratorINSC_10device_ptrIKjEEEESI_EEEEESK_NSA_INS5_IJNSE_INSF_IjEEEESM_EEEEEPS7_SP_SP_NSC_11hip_rocprim7__merge17predicate_wrapperIjjNSC_7greaterIjEEEEEE10hipError_tPvRmT0_T1_T2_T3_T4_T5_mmT6_P12ihipStream_tbEUlT_E0_NS1_11comp_targetILNS1_3genE10ELNS1_11target_archE1200ELNS1_3gpuE4ELNS1_3repE0EEENS1_30default_config_static_selectorELNS0_4arch9wavefront6targetE0EEEvS10_
    .private_segment_fixed_size: 0
    .sgpr_count:     0
    .sgpr_spill_count: 0
    .symbol:         _ZN7rocprim17ROCPRIM_400000_NS6detail17trampoline_kernelINS0_14default_configENS1_21merge_config_selectorINS0_5tupleIJjjEEENS0_10empty_typeEEEZNS1_10merge_implIS3_NS0_12zip_iteratorINS5_IJN6thrust23THRUST_200600_302600_NS6detail15normal_iteratorINSC_10device_ptrIKjEEEESI_EEEEESK_NSA_INS5_IJNSE_INSF_IjEEEESM_EEEEEPS7_SP_SP_NSC_11hip_rocprim7__merge17predicate_wrapperIjjNSC_7greaterIjEEEEEE10hipError_tPvRmT0_T1_T2_T3_T4_T5_mmT6_P12ihipStream_tbEUlT_E0_NS1_11comp_targetILNS1_3genE10ELNS1_11target_archE1200ELNS1_3gpuE4ELNS1_3repE0EEENS1_30default_config_static_selectorELNS0_4arch9wavefront6targetE0EEEvS10_.kd
    .uniform_work_group_size: 1
    .uses_dynamic_stack: false
    .vgpr_count:     0
    .vgpr_spill_count: 0
    .wavefront_size: 32
  - .args:
      - .offset:         0
        .size:           112
        .value_kind:     by_value
    .group_segment_fixed_size: 0
    .kernarg_segment_align: 8
    .kernarg_segment_size: 112
    .language:       OpenCL C
    .language_version:
      - 2
      - 0
    .max_flat_workgroup_size: 1024
    .name:           _ZN7rocprim17ROCPRIM_400000_NS6detail17trampoline_kernelINS0_14default_configENS1_21merge_config_selectorINS0_5tupleIJjjEEENS0_10empty_typeEEEZNS1_10merge_implIS3_NS0_12zip_iteratorINS5_IJN6thrust23THRUST_200600_302600_NS6detail15normal_iteratorINSC_10device_ptrIKjEEEESI_EEEEESK_NSA_INS5_IJNSE_INSF_IjEEEESM_EEEEEPS7_SP_SP_NSC_11hip_rocprim7__merge17predicate_wrapperIjjNSC_7greaterIjEEEEEE10hipError_tPvRmT0_T1_T2_T3_T4_T5_mmT6_P12ihipStream_tbEUlT_E0_NS1_11comp_targetILNS1_3genE9ELNS1_11target_archE1100ELNS1_3gpuE3ELNS1_3repE0EEENS1_30default_config_static_selectorELNS0_4arch9wavefront6targetE0EEEvS10_
    .private_segment_fixed_size: 0
    .sgpr_count:     0
    .sgpr_spill_count: 0
    .symbol:         _ZN7rocprim17ROCPRIM_400000_NS6detail17trampoline_kernelINS0_14default_configENS1_21merge_config_selectorINS0_5tupleIJjjEEENS0_10empty_typeEEEZNS1_10merge_implIS3_NS0_12zip_iteratorINS5_IJN6thrust23THRUST_200600_302600_NS6detail15normal_iteratorINSC_10device_ptrIKjEEEESI_EEEEESK_NSA_INS5_IJNSE_INSF_IjEEEESM_EEEEEPS7_SP_SP_NSC_11hip_rocprim7__merge17predicate_wrapperIjjNSC_7greaterIjEEEEEE10hipError_tPvRmT0_T1_T2_T3_T4_T5_mmT6_P12ihipStream_tbEUlT_E0_NS1_11comp_targetILNS1_3genE9ELNS1_11target_archE1100ELNS1_3gpuE3ELNS1_3repE0EEENS1_30default_config_static_selectorELNS0_4arch9wavefront6targetE0EEEvS10_.kd
    .uniform_work_group_size: 1
    .uses_dynamic_stack: false
    .vgpr_count:     0
    .vgpr_spill_count: 0
    .wavefront_size: 32
  - .args:
      - .offset:         0
        .size:           112
        .value_kind:     by_value
    .group_segment_fixed_size: 0
    .kernarg_segment_align: 8
    .kernarg_segment_size: 112
    .language:       OpenCL C
    .language_version:
      - 2
      - 0
    .max_flat_workgroup_size: 256
    .name:           _ZN7rocprim17ROCPRIM_400000_NS6detail17trampoline_kernelINS0_14default_configENS1_21merge_config_selectorINS0_5tupleIJjjEEENS0_10empty_typeEEEZNS1_10merge_implIS3_NS0_12zip_iteratorINS5_IJN6thrust23THRUST_200600_302600_NS6detail15normal_iteratorINSC_10device_ptrIKjEEEESI_EEEEESK_NSA_INS5_IJNSE_INSF_IjEEEESM_EEEEEPS7_SP_SP_NSC_11hip_rocprim7__merge17predicate_wrapperIjjNSC_7greaterIjEEEEEE10hipError_tPvRmT0_T1_T2_T3_T4_T5_mmT6_P12ihipStream_tbEUlT_E0_NS1_11comp_targetILNS1_3genE8ELNS1_11target_archE1030ELNS1_3gpuE2ELNS1_3repE0EEENS1_30default_config_static_selectorELNS0_4arch9wavefront6targetE0EEEvS10_
    .private_segment_fixed_size: 0
    .sgpr_count:     0
    .sgpr_spill_count: 0
    .symbol:         _ZN7rocprim17ROCPRIM_400000_NS6detail17trampoline_kernelINS0_14default_configENS1_21merge_config_selectorINS0_5tupleIJjjEEENS0_10empty_typeEEEZNS1_10merge_implIS3_NS0_12zip_iteratorINS5_IJN6thrust23THRUST_200600_302600_NS6detail15normal_iteratorINSC_10device_ptrIKjEEEESI_EEEEESK_NSA_INS5_IJNSE_INSF_IjEEEESM_EEEEEPS7_SP_SP_NSC_11hip_rocprim7__merge17predicate_wrapperIjjNSC_7greaterIjEEEEEE10hipError_tPvRmT0_T1_T2_T3_T4_T5_mmT6_P12ihipStream_tbEUlT_E0_NS1_11comp_targetILNS1_3genE8ELNS1_11target_archE1030ELNS1_3gpuE2ELNS1_3repE0EEENS1_30default_config_static_selectorELNS0_4arch9wavefront6targetE0EEEvS10_.kd
    .uniform_work_group_size: 1
    .uses_dynamic_stack: false
    .vgpr_count:     0
    .vgpr_spill_count: 0
    .wavefront_size: 32
  - .args:
      - .offset:         0
        .size:           64
        .value_kind:     by_value
      - .offset:         64
        .size:           4
        .value_kind:     hidden_block_count_x
      - .offset:         68
        .size:           4
        .value_kind:     hidden_block_count_y
      - .offset:         72
        .size:           4
        .value_kind:     hidden_block_count_z
      - .offset:         76
        .size:           2
        .value_kind:     hidden_group_size_x
      - .offset:         78
        .size:           2
        .value_kind:     hidden_group_size_y
      - .offset:         80
        .size:           2
        .value_kind:     hidden_group_size_z
      - .offset:         82
        .size:           2
        .value_kind:     hidden_remainder_x
      - .offset:         84
        .size:           2
        .value_kind:     hidden_remainder_y
      - .offset:         86
        .size:           2
        .value_kind:     hidden_remainder_z
      - .offset:         104
        .size:           8
        .value_kind:     hidden_global_offset_x
      - .offset:         112
        .size:           8
        .value_kind:     hidden_global_offset_y
      - .offset:         120
        .size:           8
        .value_kind:     hidden_global_offset_z
      - .offset:         128
        .size:           2
        .value_kind:     hidden_grid_dims
    .group_segment_fixed_size: 0
    .kernarg_segment_align: 8
    .kernarg_segment_size: 320
    .language:       OpenCL C
    .language_version:
      - 2
      - 0
    .max_flat_workgroup_size: 256
    .name:           _ZN7rocprim17ROCPRIM_400000_NS6detail17trampoline_kernelINS0_14default_configENS1_21merge_config_selectorINS0_5tupleIJttEEENS0_10empty_typeEEEZNS1_10merge_implIS3_NS0_12zip_iteratorINS5_IJN6thrust23THRUST_200600_302600_NS6detail15normal_iteratorINSC_10device_ptrIKtEEEESI_EEEEESK_NSA_INS5_IJNSE_INSF_ItEEEESM_EEEEEPS7_SP_SP_NSC_11hip_rocprim7__merge17predicate_wrapperIttNSC_7greaterItEEEEEE10hipError_tPvRmT0_T1_T2_T3_T4_T5_mmT6_P12ihipStream_tbEUlT_E_NS1_11comp_targetILNS1_3genE0ELNS1_11target_archE4294967295ELNS1_3gpuE0ELNS1_3repE0EEENS1_30default_config_static_selectorELNS0_4arch9wavefront6targetE0EEEvS10_
    .private_segment_fixed_size: 0
    .sgpr_count:     16
    .sgpr_spill_count: 0
    .symbol:         _ZN7rocprim17ROCPRIM_400000_NS6detail17trampoline_kernelINS0_14default_configENS1_21merge_config_selectorINS0_5tupleIJttEEENS0_10empty_typeEEEZNS1_10merge_implIS3_NS0_12zip_iteratorINS5_IJN6thrust23THRUST_200600_302600_NS6detail15normal_iteratorINSC_10device_ptrIKtEEEESI_EEEEESK_NSA_INS5_IJNSE_INSF_ItEEEESM_EEEEEPS7_SP_SP_NSC_11hip_rocprim7__merge17predicate_wrapperIttNSC_7greaterItEEEEEE10hipError_tPvRmT0_T1_T2_T3_T4_T5_mmT6_P12ihipStream_tbEUlT_E_NS1_11comp_targetILNS1_3genE0ELNS1_11target_archE4294967295ELNS1_3gpuE0ELNS1_3repE0EEENS1_30default_config_static_selectorELNS0_4arch9wavefront6targetE0EEEvS10_.kd
    .uniform_work_group_size: 1
    .uses_dynamic_stack: false
    .vgpr_count:     15
    .vgpr_spill_count: 0
    .wavefront_size: 32
  - .args:
      - .offset:         0
        .size:           64
        .value_kind:     by_value
    .group_segment_fixed_size: 0
    .kernarg_segment_align: 8
    .kernarg_segment_size: 64
    .language:       OpenCL C
    .language_version:
      - 2
      - 0
    .max_flat_workgroup_size: 256
    .name:           _ZN7rocprim17ROCPRIM_400000_NS6detail17trampoline_kernelINS0_14default_configENS1_21merge_config_selectorINS0_5tupleIJttEEENS0_10empty_typeEEEZNS1_10merge_implIS3_NS0_12zip_iteratorINS5_IJN6thrust23THRUST_200600_302600_NS6detail15normal_iteratorINSC_10device_ptrIKtEEEESI_EEEEESK_NSA_INS5_IJNSE_INSF_ItEEEESM_EEEEEPS7_SP_SP_NSC_11hip_rocprim7__merge17predicate_wrapperIttNSC_7greaterItEEEEEE10hipError_tPvRmT0_T1_T2_T3_T4_T5_mmT6_P12ihipStream_tbEUlT_E_NS1_11comp_targetILNS1_3genE5ELNS1_11target_archE942ELNS1_3gpuE9ELNS1_3repE0EEENS1_30default_config_static_selectorELNS0_4arch9wavefront6targetE0EEEvS10_
    .private_segment_fixed_size: 0
    .sgpr_count:     0
    .sgpr_spill_count: 0
    .symbol:         _ZN7rocprim17ROCPRIM_400000_NS6detail17trampoline_kernelINS0_14default_configENS1_21merge_config_selectorINS0_5tupleIJttEEENS0_10empty_typeEEEZNS1_10merge_implIS3_NS0_12zip_iteratorINS5_IJN6thrust23THRUST_200600_302600_NS6detail15normal_iteratorINSC_10device_ptrIKtEEEESI_EEEEESK_NSA_INS5_IJNSE_INSF_ItEEEESM_EEEEEPS7_SP_SP_NSC_11hip_rocprim7__merge17predicate_wrapperIttNSC_7greaterItEEEEEE10hipError_tPvRmT0_T1_T2_T3_T4_T5_mmT6_P12ihipStream_tbEUlT_E_NS1_11comp_targetILNS1_3genE5ELNS1_11target_archE942ELNS1_3gpuE9ELNS1_3repE0EEENS1_30default_config_static_selectorELNS0_4arch9wavefront6targetE0EEEvS10_.kd
    .uniform_work_group_size: 1
    .uses_dynamic_stack: false
    .vgpr_count:     0
    .vgpr_spill_count: 0
    .wavefront_size: 32
  - .args:
      - .offset:         0
        .size:           64
        .value_kind:     by_value
    .group_segment_fixed_size: 0
    .kernarg_segment_align: 8
    .kernarg_segment_size: 64
    .language:       OpenCL C
    .language_version:
      - 2
      - 0
    .max_flat_workgroup_size: 256
    .name:           _ZN7rocprim17ROCPRIM_400000_NS6detail17trampoline_kernelINS0_14default_configENS1_21merge_config_selectorINS0_5tupleIJttEEENS0_10empty_typeEEEZNS1_10merge_implIS3_NS0_12zip_iteratorINS5_IJN6thrust23THRUST_200600_302600_NS6detail15normal_iteratorINSC_10device_ptrIKtEEEESI_EEEEESK_NSA_INS5_IJNSE_INSF_ItEEEESM_EEEEEPS7_SP_SP_NSC_11hip_rocprim7__merge17predicate_wrapperIttNSC_7greaterItEEEEEE10hipError_tPvRmT0_T1_T2_T3_T4_T5_mmT6_P12ihipStream_tbEUlT_E_NS1_11comp_targetILNS1_3genE4ELNS1_11target_archE910ELNS1_3gpuE8ELNS1_3repE0EEENS1_30default_config_static_selectorELNS0_4arch9wavefront6targetE0EEEvS10_
    .private_segment_fixed_size: 0
    .sgpr_count:     0
    .sgpr_spill_count: 0
    .symbol:         _ZN7rocprim17ROCPRIM_400000_NS6detail17trampoline_kernelINS0_14default_configENS1_21merge_config_selectorINS0_5tupleIJttEEENS0_10empty_typeEEEZNS1_10merge_implIS3_NS0_12zip_iteratorINS5_IJN6thrust23THRUST_200600_302600_NS6detail15normal_iteratorINSC_10device_ptrIKtEEEESI_EEEEESK_NSA_INS5_IJNSE_INSF_ItEEEESM_EEEEEPS7_SP_SP_NSC_11hip_rocprim7__merge17predicate_wrapperIttNSC_7greaterItEEEEEE10hipError_tPvRmT0_T1_T2_T3_T4_T5_mmT6_P12ihipStream_tbEUlT_E_NS1_11comp_targetILNS1_3genE4ELNS1_11target_archE910ELNS1_3gpuE8ELNS1_3repE0EEENS1_30default_config_static_selectorELNS0_4arch9wavefront6targetE0EEEvS10_.kd
    .uniform_work_group_size: 1
    .uses_dynamic_stack: false
    .vgpr_count:     0
    .vgpr_spill_count: 0
    .wavefront_size: 32
  - .args:
      - .offset:         0
        .size:           64
        .value_kind:     by_value
    .group_segment_fixed_size: 0
    .kernarg_segment_align: 8
    .kernarg_segment_size: 64
    .language:       OpenCL C
    .language_version:
      - 2
      - 0
    .max_flat_workgroup_size: 256
    .name:           _ZN7rocprim17ROCPRIM_400000_NS6detail17trampoline_kernelINS0_14default_configENS1_21merge_config_selectorINS0_5tupleIJttEEENS0_10empty_typeEEEZNS1_10merge_implIS3_NS0_12zip_iteratorINS5_IJN6thrust23THRUST_200600_302600_NS6detail15normal_iteratorINSC_10device_ptrIKtEEEESI_EEEEESK_NSA_INS5_IJNSE_INSF_ItEEEESM_EEEEEPS7_SP_SP_NSC_11hip_rocprim7__merge17predicate_wrapperIttNSC_7greaterItEEEEEE10hipError_tPvRmT0_T1_T2_T3_T4_T5_mmT6_P12ihipStream_tbEUlT_E_NS1_11comp_targetILNS1_3genE3ELNS1_11target_archE908ELNS1_3gpuE7ELNS1_3repE0EEENS1_30default_config_static_selectorELNS0_4arch9wavefront6targetE0EEEvS10_
    .private_segment_fixed_size: 0
    .sgpr_count:     0
    .sgpr_spill_count: 0
    .symbol:         _ZN7rocprim17ROCPRIM_400000_NS6detail17trampoline_kernelINS0_14default_configENS1_21merge_config_selectorINS0_5tupleIJttEEENS0_10empty_typeEEEZNS1_10merge_implIS3_NS0_12zip_iteratorINS5_IJN6thrust23THRUST_200600_302600_NS6detail15normal_iteratorINSC_10device_ptrIKtEEEESI_EEEEESK_NSA_INS5_IJNSE_INSF_ItEEEESM_EEEEEPS7_SP_SP_NSC_11hip_rocprim7__merge17predicate_wrapperIttNSC_7greaterItEEEEEE10hipError_tPvRmT0_T1_T2_T3_T4_T5_mmT6_P12ihipStream_tbEUlT_E_NS1_11comp_targetILNS1_3genE3ELNS1_11target_archE908ELNS1_3gpuE7ELNS1_3repE0EEENS1_30default_config_static_selectorELNS0_4arch9wavefront6targetE0EEEvS10_.kd
    .uniform_work_group_size: 1
    .uses_dynamic_stack: false
    .vgpr_count:     0
    .vgpr_spill_count: 0
    .wavefront_size: 32
  - .args:
      - .offset:         0
        .size:           64
        .value_kind:     by_value
    .group_segment_fixed_size: 0
    .kernarg_segment_align: 8
    .kernarg_segment_size: 64
    .language:       OpenCL C
    .language_version:
      - 2
      - 0
    .max_flat_workgroup_size: 256
    .name:           _ZN7rocprim17ROCPRIM_400000_NS6detail17trampoline_kernelINS0_14default_configENS1_21merge_config_selectorINS0_5tupleIJttEEENS0_10empty_typeEEEZNS1_10merge_implIS3_NS0_12zip_iteratorINS5_IJN6thrust23THRUST_200600_302600_NS6detail15normal_iteratorINSC_10device_ptrIKtEEEESI_EEEEESK_NSA_INS5_IJNSE_INSF_ItEEEESM_EEEEEPS7_SP_SP_NSC_11hip_rocprim7__merge17predicate_wrapperIttNSC_7greaterItEEEEEE10hipError_tPvRmT0_T1_T2_T3_T4_T5_mmT6_P12ihipStream_tbEUlT_E_NS1_11comp_targetILNS1_3genE2ELNS1_11target_archE906ELNS1_3gpuE6ELNS1_3repE0EEENS1_30default_config_static_selectorELNS0_4arch9wavefront6targetE0EEEvS10_
    .private_segment_fixed_size: 0
    .sgpr_count:     0
    .sgpr_spill_count: 0
    .symbol:         _ZN7rocprim17ROCPRIM_400000_NS6detail17trampoline_kernelINS0_14default_configENS1_21merge_config_selectorINS0_5tupleIJttEEENS0_10empty_typeEEEZNS1_10merge_implIS3_NS0_12zip_iteratorINS5_IJN6thrust23THRUST_200600_302600_NS6detail15normal_iteratorINSC_10device_ptrIKtEEEESI_EEEEESK_NSA_INS5_IJNSE_INSF_ItEEEESM_EEEEEPS7_SP_SP_NSC_11hip_rocprim7__merge17predicate_wrapperIttNSC_7greaterItEEEEEE10hipError_tPvRmT0_T1_T2_T3_T4_T5_mmT6_P12ihipStream_tbEUlT_E_NS1_11comp_targetILNS1_3genE2ELNS1_11target_archE906ELNS1_3gpuE6ELNS1_3repE0EEENS1_30default_config_static_selectorELNS0_4arch9wavefront6targetE0EEEvS10_.kd
    .uniform_work_group_size: 1
    .uses_dynamic_stack: false
    .vgpr_count:     0
    .vgpr_spill_count: 0
    .wavefront_size: 32
  - .args:
      - .offset:         0
        .size:           64
        .value_kind:     by_value
    .group_segment_fixed_size: 0
    .kernarg_segment_align: 8
    .kernarg_segment_size: 64
    .language:       OpenCL C
    .language_version:
      - 2
      - 0
    .max_flat_workgroup_size: 1024
    .name:           _ZN7rocprim17ROCPRIM_400000_NS6detail17trampoline_kernelINS0_14default_configENS1_21merge_config_selectorINS0_5tupleIJttEEENS0_10empty_typeEEEZNS1_10merge_implIS3_NS0_12zip_iteratorINS5_IJN6thrust23THRUST_200600_302600_NS6detail15normal_iteratorINSC_10device_ptrIKtEEEESI_EEEEESK_NSA_INS5_IJNSE_INSF_ItEEEESM_EEEEEPS7_SP_SP_NSC_11hip_rocprim7__merge17predicate_wrapperIttNSC_7greaterItEEEEEE10hipError_tPvRmT0_T1_T2_T3_T4_T5_mmT6_P12ihipStream_tbEUlT_E_NS1_11comp_targetILNS1_3genE10ELNS1_11target_archE1201ELNS1_3gpuE5ELNS1_3repE0EEENS1_30default_config_static_selectorELNS0_4arch9wavefront6targetE0EEEvS10_
    .private_segment_fixed_size: 0
    .sgpr_count:     0
    .sgpr_spill_count: 0
    .symbol:         _ZN7rocprim17ROCPRIM_400000_NS6detail17trampoline_kernelINS0_14default_configENS1_21merge_config_selectorINS0_5tupleIJttEEENS0_10empty_typeEEEZNS1_10merge_implIS3_NS0_12zip_iteratorINS5_IJN6thrust23THRUST_200600_302600_NS6detail15normal_iteratorINSC_10device_ptrIKtEEEESI_EEEEESK_NSA_INS5_IJNSE_INSF_ItEEEESM_EEEEEPS7_SP_SP_NSC_11hip_rocprim7__merge17predicate_wrapperIttNSC_7greaterItEEEEEE10hipError_tPvRmT0_T1_T2_T3_T4_T5_mmT6_P12ihipStream_tbEUlT_E_NS1_11comp_targetILNS1_3genE10ELNS1_11target_archE1201ELNS1_3gpuE5ELNS1_3repE0EEENS1_30default_config_static_selectorELNS0_4arch9wavefront6targetE0EEEvS10_.kd
    .uniform_work_group_size: 1
    .uses_dynamic_stack: false
    .vgpr_count:     0
    .vgpr_spill_count: 0
    .wavefront_size: 32
  - .args:
      - .offset:         0
        .size:           64
        .value_kind:     by_value
    .group_segment_fixed_size: 0
    .kernarg_segment_align: 8
    .kernarg_segment_size: 64
    .language:       OpenCL C
    .language_version:
      - 2
      - 0
    .max_flat_workgroup_size: 1024
    .name:           _ZN7rocprim17ROCPRIM_400000_NS6detail17trampoline_kernelINS0_14default_configENS1_21merge_config_selectorINS0_5tupleIJttEEENS0_10empty_typeEEEZNS1_10merge_implIS3_NS0_12zip_iteratorINS5_IJN6thrust23THRUST_200600_302600_NS6detail15normal_iteratorINSC_10device_ptrIKtEEEESI_EEEEESK_NSA_INS5_IJNSE_INSF_ItEEEESM_EEEEEPS7_SP_SP_NSC_11hip_rocprim7__merge17predicate_wrapperIttNSC_7greaterItEEEEEE10hipError_tPvRmT0_T1_T2_T3_T4_T5_mmT6_P12ihipStream_tbEUlT_E_NS1_11comp_targetILNS1_3genE10ELNS1_11target_archE1200ELNS1_3gpuE4ELNS1_3repE0EEENS1_30default_config_static_selectorELNS0_4arch9wavefront6targetE0EEEvS10_
    .private_segment_fixed_size: 0
    .sgpr_count:     0
    .sgpr_spill_count: 0
    .symbol:         _ZN7rocprim17ROCPRIM_400000_NS6detail17trampoline_kernelINS0_14default_configENS1_21merge_config_selectorINS0_5tupleIJttEEENS0_10empty_typeEEEZNS1_10merge_implIS3_NS0_12zip_iteratorINS5_IJN6thrust23THRUST_200600_302600_NS6detail15normal_iteratorINSC_10device_ptrIKtEEEESI_EEEEESK_NSA_INS5_IJNSE_INSF_ItEEEESM_EEEEEPS7_SP_SP_NSC_11hip_rocprim7__merge17predicate_wrapperIttNSC_7greaterItEEEEEE10hipError_tPvRmT0_T1_T2_T3_T4_T5_mmT6_P12ihipStream_tbEUlT_E_NS1_11comp_targetILNS1_3genE10ELNS1_11target_archE1200ELNS1_3gpuE4ELNS1_3repE0EEENS1_30default_config_static_selectorELNS0_4arch9wavefront6targetE0EEEvS10_.kd
    .uniform_work_group_size: 1
    .uses_dynamic_stack: false
    .vgpr_count:     0
    .vgpr_spill_count: 0
    .wavefront_size: 32
  - .args:
      - .offset:         0
        .size:           64
        .value_kind:     by_value
    .group_segment_fixed_size: 0
    .kernarg_segment_align: 8
    .kernarg_segment_size: 64
    .language:       OpenCL C
    .language_version:
      - 2
      - 0
    .max_flat_workgroup_size: 1024
    .name:           _ZN7rocprim17ROCPRIM_400000_NS6detail17trampoline_kernelINS0_14default_configENS1_21merge_config_selectorINS0_5tupleIJttEEENS0_10empty_typeEEEZNS1_10merge_implIS3_NS0_12zip_iteratorINS5_IJN6thrust23THRUST_200600_302600_NS6detail15normal_iteratorINSC_10device_ptrIKtEEEESI_EEEEESK_NSA_INS5_IJNSE_INSF_ItEEEESM_EEEEEPS7_SP_SP_NSC_11hip_rocprim7__merge17predicate_wrapperIttNSC_7greaterItEEEEEE10hipError_tPvRmT0_T1_T2_T3_T4_T5_mmT6_P12ihipStream_tbEUlT_E_NS1_11comp_targetILNS1_3genE9ELNS1_11target_archE1100ELNS1_3gpuE3ELNS1_3repE0EEENS1_30default_config_static_selectorELNS0_4arch9wavefront6targetE0EEEvS10_
    .private_segment_fixed_size: 0
    .sgpr_count:     0
    .sgpr_spill_count: 0
    .symbol:         _ZN7rocprim17ROCPRIM_400000_NS6detail17trampoline_kernelINS0_14default_configENS1_21merge_config_selectorINS0_5tupleIJttEEENS0_10empty_typeEEEZNS1_10merge_implIS3_NS0_12zip_iteratorINS5_IJN6thrust23THRUST_200600_302600_NS6detail15normal_iteratorINSC_10device_ptrIKtEEEESI_EEEEESK_NSA_INS5_IJNSE_INSF_ItEEEESM_EEEEEPS7_SP_SP_NSC_11hip_rocprim7__merge17predicate_wrapperIttNSC_7greaterItEEEEEE10hipError_tPvRmT0_T1_T2_T3_T4_T5_mmT6_P12ihipStream_tbEUlT_E_NS1_11comp_targetILNS1_3genE9ELNS1_11target_archE1100ELNS1_3gpuE3ELNS1_3repE0EEENS1_30default_config_static_selectorELNS0_4arch9wavefront6targetE0EEEvS10_.kd
    .uniform_work_group_size: 1
    .uses_dynamic_stack: false
    .vgpr_count:     0
    .vgpr_spill_count: 0
    .wavefront_size: 32
  - .args:
      - .offset:         0
        .size:           64
        .value_kind:     by_value
    .group_segment_fixed_size: 0
    .kernarg_segment_align: 8
    .kernarg_segment_size: 64
    .language:       OpenCL C
    .language_version:
      - 2
      - 0
    .max_flat_workgroup_size: 1024
    .name:           _ZN7rocprim17ROCPRIM_400000_NS6detail17trampoline_kernelINS0_14default_configENS1_21merge_config_selectorINS0_5tupleIJttEEENS0_10empty_typeEEEZNS1_10merge_implIS3_NS0_12zip_iteratorINS5_IJN6thrust23THRUST_200600_302600_NS6detail15normal_iteratorINSC_10device_ptrIKtEEEESI_EEEEESK_NSA_INS5_IJNSE_INSF_ItEEEESM_EEEEEPS7_SP_SP_NSC_11hip_rocprim7__merge17predicate_wrapperIttNSC_7greaterItEEEEEE10hipError_tPvRmT0_T1_T2_T3_T4_T5_mmT6_P12ihipStream_tbEUlT_E_NS1_11comp_targetILNS1_3genE8ELNS1_11target_archE1030ELNS1_3gpuE2ELNS1_3repE0EEENS1_30default_config_static_selectorELNS0_4arch9wavefront6targetE0EEEvS10_
    .private_segment_fixed_size: 0
    .sgpr_count:     0
    .sgpr_spill_count: 0
    .symbol:         _ZN7rocprim17ROCPRIM_400000_NS6detail17trampoline_kernelINS0_14default_configENS1_21merge_config_selectorINS0_5tupleIJttEEENS0_10empty_typeEEEZNS1_10merge_implIS3_NS0_12zip_iteratorINS5_IJN6thrust23THRUST_200600_302600_NS6detail15normal_iteratorINSC_10device_ptrIKtEEEESI_EEEEESK_NSA_INS5_IJNSE_INSF_ItEEEESM_EEEEEPS7_SP_SP_NSC_11hip_rocprim7__merge17predicate_wrapperIttNSC_7greaterItEEEEEE10hipError_tPvRmT0_T1_T2_T3_T4_T5_mmT6_P12ihipStream_tbEUlT_E_NS1_11comp_targetILNS1_3genE8ELNS1_11target_archE1030ELNS1_3gpuE2ELNS1_3repE0EEENS1_30default_config_static_selectorELNS0_4arch9wavefront6targetE0EEEvS10_.kd
    .uniform_work_group_size: 1
    .uses_dynamic_stack: false
    .vgpr_count:     0
    .vgpr_spill_count: 0
    .wavefront_size: 32
  - .args:
      - .offset:         0
        .size:           112
        .value_kind:     by_value
    .group_segment_fixed_size: 10256
    .kernarg_segment_align: 8
    .kernarg_segment_size: 112
    .language:       OpenCL C
    .language_version:
      - 2
      - 0
    .max_flat_workgroup_size: 256
    .name:           _ZN7rocprim17ROCPRIM_400000_NS6detail17trampoline_kernelINS0_14default_configENS1_21merge_config_selectorINS0_5tupleIJttEEENS0_10empty_typeEEEZNS1_10merge_implIS3_NS0_12zip_iteratorINS5_IJN6thrust23THRUST_200600_302600_NS6detail15normal_iteratorINSC_10device_ptrIKtEEEESI_EEEEESK_NSA_INS5_IJNSE_INSF_ItEEEESM_EEEEEPS7_SP_SP_NSC_11hip_rocprim7__merge17predicate_wrapperIttNSC_7greaterItEEEEEE10hipError_tPvRmT0_T1_T2_T3_T4_T5_mmT6_P12ihipStream_tbEUlT_E0_NS1_11comp_targetILNS1_3genE0ELNS1_11target_archE4294967295ELNS1_3gpuE0ELNS1_3repE0EEENS1_30default_config_static_selectorELNS0_4arch9wavefront6targetE0EEEvS10_
    .private_segment_fixed_size: 0
    .sgpr_count:     28
    .sgpr_spill_count: 0
    .symbol:         _ZN7rocprim17ROCPRIM_400000_NS6detail17trampoline_kernelINS0_14default_configENS1_21merge_config_selectorINS0_5tupleIJttEEENS0_10empty_typeEEEZNS1_10merge_implIS3_NS0_12zip_iteratorINS5_IJN6thrust23THRUST_200600_302600_NS6detail15normal_iteratorINSC_10device_ptrIKtEEEESI_EEEEESK_NSA_INS5_IJNSE_INSF_ItEEEESM_EEEEEPS7_SP_SP_NSC_11hip_rocprim7__merge17predicate_wrapperIttNSC_7greaterItEEEEEE10hipError_tPvRmT0_T1_T2_T3_T4_T5_mmT6_P12ihipStream_tbEUlT_E0_NS1_11comp_targetILNS1_3genE0ELNS1_11target_archE4294967295ELNS1_3gpuE0ELNS1_3repE0EEENS1_30default_config_static_selectorELNS0_4arch9wavefront6targetE0EEEvS10_.kd
    .uniform_work_group_size: 1
    .uses_dynamic_stack: false
    .vgpr_count:     43
    .vgpr_spill_count: 0
    .wavefront_size: 32
  - .args:
      - .offset:         0
        .size:           112
        .value_kind:     by_value
    .group_segment_fixed_size: 0
    .kernarg_segment_align: 8
    .kernarg_segment_size: 112
    .language:       OpenCL C
    .language_version:
      - 2
      - 0
    .max_flat_workgroup_size: 256
    .name:           _ZN7rocprim17ROCPRIM_400000_NS6detail17trampoline_kernelINS0_14default_configENS1_21merge_config_selectorINS0_5tupleIJttEEENS0_10empty_typeEEEZNS1_10merge_implIS3_NS0_12zip_iteratorINS5_IJN6thrust23THRUST_200600_302600_NS6detail15normal_iteratorINSC_10device_ptrIKtEEEESI_EEEEESK_NSA_INS5_IJNSE_INSF_ItEEEESM_EEEEEPS7_SP_SP_NSC_11hip_rocprim7__merge17predicate_wrapperIttNSC_7greaterItEEEEEE10hipError_tPvRmT0_T1_T2_T3_T4_T5_mmT6_P12ihipStream_tbEUlT_E0_NS1_11comp_targetILNS1_3genE5ELNS1_11target_archE942ELNS1_3gpuE9ELNS1_3repE0EEENS1_30default_config_static_selectorELNS0_4arch9wavefront6targetE0EEEvS10_
    .private_segment_fixed_size: 0
    .sgpr_count:     0
    .sgpr_spill_count: 0
    .symbol:         _ZN7rocprim17ROCPRIM_400000_NS6detail17trampoline_kernelINS0_14default_configENS1_21merge_config_selectorINS0_5tupleIJttEEENS0_10empty_typeEEEZNS1_10merge_implIS3_NS0_12zip_iteratorINS5_IJN6thrust23THRUST_200600_302600_NS6detail15normal_iteratorINSC_10device_ptrIKtEEEESI_EEEEESK_NSA_INS5_IJNSE_INSF_ItEEEESM_EEEEEPS7_SP_SP_NSC_11hip_rocprim7__merge17predicate_wrapperIttNSC_7greaterItEEEEEE10hipError_tPvRmT0_T1_T2_T3_T4_T5_mmT6_P12ihipStream_tbEUlT_E0_NS1_11comp_targetILNS1_3genE5ELNS1_11target_archE942ELNS1_3gpuE9ELNS1_3repE0EEENS1_30default_config_static_selectorELNS0_4arch9wavefront6targetE0EEEvS10_.kd
    .uniform_work_group_size: 1
    .uses_dynamic_stack: false
    .vgpr_count:     0
    .vgpr_spill_count: 0
    .wavefront_size: 32
  - .args:
      - .offset:         0
        .size:           112
        .value_kind:     by_value
    .group_segment_fixed_size: 0
    .kernarg_segment_align: 8
    .kernarg_segment_size: 112
    .language:       OpenCL C
    .language_version:
      - 2
      - 0
    .max_flat_workgroup_size: 256
    .name:           _ZN7rocprim17ROCPRIM_400000_NS6detail17trampoline_kernelINS0_14default_configENS1_21merge_config_selectorINS0_5tupleIJttEEENS0_10empty_typeEEEZNS1_10merge_implIS3_NS0_12zip_iteratorINS5_IJN6thrust23THRUST_200600_302600_NS6detail15normal_iteratorINSC_10device_ptrIKtEEEESI_EEEEESK_NSA_INS5_IJNSE_INSF_ItEEEESM_EEEEEPS7_SP_SP_NSC_11hip_rocprim7__merge17predicate_wrapperIttNSC_7greaterItEEEEEE10hipError_tPvRmT0_T1_T2_T3_T4_T5_mmT6_P12ihipStream_tbEUlT_E0_NS1_11comp_targetILNS1_3genE4ELNS1_11target_archE910ELNS1_3gpuE8ELNS1_3repE0EEENS1_30default_config_static_selectorELNS0_4arch9wavefront6targetE0EEEvS10_
    .private_segment_fixed_size: 0
    .sgpr_count:     0
    .sgpr_spill_count: 0
    .symbol:         _ZN7rocprim17ROCPRIM_400000_NS6detail17trampoline_kernelINS0_14default_configENS1_21merge_config_selectorINS0_5tupleIJttEEENS0_10empty_typeEEEZNS1_10merge_implIS3_NS0_12zip_iteratorINS5_IJN6thrust23THRUST_200600_302600_NS6detail15normal_iteratorINSC_10device_ptrIKtEEEESI_EEEEESK_NSA_INS5_IJNSE_INSF_ItEEEESM_EEEEEPS7_SP_SP_NSC_11hip_rocprim7__merge17predicate_wrapperIttNSC_7greaterItEEEEEE10hipError_tPvRmT0_T1_T2_T3_T4_T5_mmT6_P12ihipStream_tbEUlT_E0_NS1_11comp_targetILNS1_3genE4ELNS1_11target_archE910ELNS1_3gpuE8ELNS1_3repE0EEENS1_30default_config_static_selectorELNS0_4arch9wavefront6targetE0EEEvS10_.kd
    .uniform_work_group_size: 1
    .uses_dynamic_stack: false
    .vgpr_count:     0
    .vgpr_spill_count: 0
    .wavefront_size: 32
  - .args:
      - .offset:         0
        .size:           112
        .value_kind:     by_value
    .group_segment_fixed_size: 0
    .kernarg_segment_align: 8
    .kernarg_segment_size: 112
    .language:       OpenCL C
    .language_version:
      - 2
      - 0
    .max_flat_workgroup_size: 256
    .name:           _ZN7rocprim17ROCPRIM_400000_NS6detail17trampoline_kernelINS0_14default_configENS1_21merge_config_selectorINS0_5tupleIJttEEENS0_10empty_typeEEEZNS1_10merge_implIS3_NS0_12zip_iteratorINS5_IJN6thrust23THRUST_200600_302600_NS6detail15normal_iteratorINSC_10device_ptrIKtEEEESI_EEEEESK_NSA_INS5_IJNSE_INSF_ItEEEESM_EEEEEPS7_SP_SP_NSC_11hip_rocprim7__merge17predicate_wrapperIttNSC_7greaterItEEEEEE10hipError_tPvRmT0_T1_T2_T3_T4_T5_mmT6_P12ihipStream_tbEUlT_E0_NS1_11comp_targetILNS1_3genE3ELNS1_11target_archE908ELNS1_3gpuE7ELNS1_3repE0EEENS1_30default_config_static_selectorELNS0_4arch9wavefront6targetE0EEEvS10_
    .private_segment_fixed_size: 0
    .sgpr_count:     0
    .sgpr_spill_count: 0
    .symbol:         _ZN7rocprim17ROCPRIM_400000_NS6detail17trampoline_kernelINS0_14default_configENS1_21merge_config_selectorINS0_5tupleIJttEEENS0_10empty_typeEEEZNS1_10merge_implIS3_NS0_12zip_iteratorINS5_IJN6thrust23THRUST_200600_302600_NS6detail15normal_iteratorINSC_10device_ptrIKtEEEESI_EEEEESK_NSA_INS5_IJNSE_INSF_ItEEEESM_EEEEEPS7_SP_SP_NSC_11hip_rocprim7__merge17predicate_wrapperIttNSC_7greaterItEEEEEE10hipError_tPvRmT0_T1_T2_T3_T4_T5_mmT6_P12ihipStream_tbEUlT_E0_NS1_11comp_targetILNS1_3genE3ELNS1_11target_archE908ELNS1_3gpuE7ELNS1_3repE0EEENS1_30default_config_static_selectorELNS0_4arch9wavefront6targetE0EEEvS10_.kd
    .uniform_work_group_size: 1
    .uses_dynamic_stack: false
    .vgpr_count:     0
    .vgpr_spill_count: 0
    .wavefront_size: 32
  - .args:
      - .offset:         0
        .size:           112
        .value_kind:     by_value
    .group_segment_fixed_size: 0
    .kernarg_segment_align: 8
    .kernarg_segment_size: 112
    .language:       OpenCL C
    .language_version:
      - 2
      - 0
    .max_flat_workgroup_size: 256
    .name:           _ZN7rocprim17ROCPRIM_400000_NS6detail17trampoline_kernelINS0_14default_configENS1_21merge_config_selectorINS0_5tupleIJttEEENS0_10empty_typeEEEZNS1_10merge_implIS3_NS0_12zip_iteratorINS5_IJN6thrust23THRUST_200600_302600_NS6detail15normal_iteratorINSC_10device_ptrIKtEEEESI_EEEEESK_NSA_INS5_IJNSE_INSF_ItEEEESM_EEEEEPS7_SP_SP_NSC_11hip_rocprim7__merge17predicate_wrapperIttNSC_7greaterItEEEEEE10hipError_tPvRmT0_T1_T2_T3_T4_T5_mmT6_P12ihipStream_tbEUlT_E0_NS1_11comp_targetILNS1_3genE2ELNS1_11target_archE906ELNS1_3gpuE6ELNS1_3repE0EEENS1_30default_config_static_selectorELNS0_4arch9wavefront6targetE0EEEvS10_
    .private_segment_fixed_size: 0
    .sgpr_count:     0
    .sgpr_spill_count: 0
    .symbol:         _ZN7rocprim17ROCPRIM_400000_NS6detail17trampoline_kernelINS0_14default_configENS1_21merge_config_selectorINS0_5tupleIJttEEENS0_10empty_typeEEEZNS1_10merge_implIS3_NS0_12zip_iteratorINS5_IJN6thrust23THRUST_200600_302600_NS6detail15normal_iteratorINSC_10device_ptrIKtEEEESI_EEEEESK_NSA_INS5_IJNSE_INSF_ItEEEESM_EEEEEPS7_SP_SP_NSC_11hip_rocprim7__merge17predicate_wrapperIttNSC_7greaterItEEEEEE10hipError_tPvRmT0_T1_T2_T3_T4_T5_mmT6_P12ihipStream_tbEUlT_E0_NS1_11comp_targetILNS1_3genE2ELNS1_11target_archE906ELNS1_3gpuE6ELNS1_3repE0EEENS1_30default_config_static_selectorELNS0_4arch9wavefront6targetE0EEEvS10_.kd
    .uniform_work_group_size: 1
    .uses_dynamic_stack: false
    .vgpr_count:     0
    .vgpr_spill_count: 0
    .wavefront_size: 32
  - .args:
      - .offset:         0
        .size:           112
        .value_kind:     by_value
    .group_segment_fixed_size: 0
    .kernarg_segment_align: 8
    .kernarg_segment_size: 112
    .language:       OpenCL C
    .language_version:
      - 2
      - 0
    .max_flat_workgroup_size: 1024
    .name:           _ZN7rocprim17ROCPRIM_400000_NS6detail17trampoline_kernelINS0_14default_configENS1_21merge_config_selectorINS0_5tupleIJttEEENS0_10empty_typeEEEZNS1_10merge_implIS3_NS0_12zip_iteratorINS5_IJN6thrust23THRUST_200600_302600_NS6detail15normal_iteratorINSC_10device_ptrIKtEEEESI_EEEEESK_NSA_INS5_IJNSE_INSF_ItEEEESM_EEEEEPS7_SP_SP_NSC_11hip_rocprim7__merge17predicate_wrapperIttNSC_7greaterItEEEEEE10hipError_tPvRmT0_T1_T2_T3_T4_T5_mmT6_P12ihipStream_tbEUlT_E0_NS1_11comp_targetILNS1_3genE10ELNS1_11target_archE1201ELNS1_3gpuE5ELNS1_3repE0EEENS1_30default_config_static_selectorELNS0_4arch9wavefront6targetE0EEEvS10_
    .private_segment_fixed_size: 0
    .sgpr_count:     0
    .sgpr_spill_count: 0
    .symbol:         _ZN7rocprim17ROCPRIM_400000_NS6detail17trampoline_kernelINS0_14default_configENS1_21merge_config_selectorINS0_5tupleIJttEEENS0_10empty_typeEEEZNS1_10merge_implIS3_NS0_12zip_iteratorINS5_IJN6thrust23THRUST_200600_302600_NS6detail15normal_iteratorINSC_10device_ptrIKtEEEESI_EEEEESK_NSA_INS5_IJNSE_INSF_ItEEEESM_EEEEEPS7_SP_SP_NSC_11hip_rocprim7__merge17predicate_wrapperIttNSC_7greaterItEEEEEE10hipError_tPvRmT0_T1_T2_T3_T4_T5_mmT6_P12ihipStream_tbEUlT_E0_NS1_11comp_targetILNS1_3genE10ELNS1_11target_archE1201ELNS1_3gpuE5ELNS1_3repE0EEENS1_30default_config_static_selectorELNS0_4arch9wavefront6targetE0EEEvS10_.kd
    .uniform_work_group_size: 1
    .uses_dynamic_stack: false
    .vgpr_count:     0
    .vgpr_spill_count: 0
    .wavefront_size: 32
  - .args:
      - .offset:         0
        .size:           112
        .value_kind:     by_value
    .group_segment_fixed_size: 0
    .kernarg_segment_align: 8
    .kernarg_segment_size: 112
    .language:       OpenCL C
    .language_version:
      - 2
      - 0
    .max_flat_workgroup_size: 1024
    .name:           _ZN7rocprim17ROCPRIM_400000_NS6detail17trampoline_kernelINS0_14default_configENS1_21merge_config_selectorINS0_5tupleIJttEEENS0_10empty_typeEEEZNS1_10merge_implIS3_NS0_12zip_iteratorINS5_IJN6thrust23THRUST_200600_302600_NS6detail15normal_iteratorINSC_10device_ptrIKtEEEESI_EEEEESK_NSA_INS5_IJNSE_INSF_ItEEEESM_EEEEEPS7_SP_SP_NSC_11hip_rocprim7__merge17predicate_wrapperIttNSC_7greaterItEEEEEE10hipError_tPvRmT0_T1_T2_T3_T4_T5_mmT6_P12ihipStream_tbEUlT_E0_NS1_11comp_targetILNS1_3genE10ELNS1_11target_archE1200ELNS1_3gpuE4ELNS1_3repE0EEENS1_30default_config_static_selectorELNS0_4arch9wavefront6targetE0EEEvS10_
    .private_segment_fixed_size: 0
    .sgpr_count:     0
    .sgpr_spill_count: 0
    .symbol:         _ZN7rocprim17ROCPRIM_400000_NS6detail17trampoline_kernelINS0_14default_configENS1_21merge_config_selectorINS0_5tupleIJttEEENS0_10empty_typeEEEZNS1_10merge_implIS3_NS0_12zip_iteratorINS5_IJN6thrust23THRUST_200600_302600_NS6detail15normal_iteratorINSC_10device_ptrIKtEEEESI_EEEEESK_NSA_INS5_IJNSE_INSF_ItEEEESM_EEEEEPS7_SP_SP_NSC_11hip_rocprim7__merge17predicate_wrapperIttNSC_7greaterItEEEEEE10hipError_tPvRmT0_T1_T2_T3_T4_T5_mmT6_P12ihipStream_tbEUlT_E0_NS1_11comp_targetILNS1_3genE10ELNS1_11target_archE1200ELNS1_3gpuE4ELNS1_3repE0EEENS1_30default_config_static_selectorELNS0_4arch9wavefront6targetE0EEEvS10_.kd
    .uniform_work_group_size: 1
    .uses_dynamic_stack: false
    .vgpr_count:     0
    .vgpr_spill_count: 0
    .wavefront_size: 32
  - .args:
      - .offset:         0
        .size:           112
        .value_kind:     by_value
    .group_segment_fixed_size: 0
    .kernarg_segment_align: 8
    .kernarg_segment_size: 112
    .language:       OpenCL C
    .language_version:
      - 2
      - 0
    .max_flat_workgroup_size: 1024
    .name:           _ZN7rocprim17ROCPRIM_400000_NS6detail17trampoline_kernelINS0_14default_configENS1_21merge_config_selectorINS0_5tupleIJttEEENS0_10empty_typeEEEZNS1_10merge_implIS3_NS0_12zip_iteratorINS5_IJN6thrust23THRUST_200600_302600_NS6detail15normal_iteratorINSC_10device_ptrIKtEEEESI_EEEEESK_NSA_INS5_IJNSE_INSF_ItEEEESM_EEEEEPS7_SP_SP_NSC_11hip_rocprim7__merge17predicate_wrapperIttNSC_7greaterItEEEEEE10hipError_tPvRmT0_T1_T2_T3_T4_T5_mmT6_P12ihipStream_tbEUlT_E0_NS1_11comp_targetILNS1_3genE9ELNS1_11target_archE1100ELNS1_3gpuE3ELNS1_3repE0EEENS1_30default_config_static_selectorELNS0_4arch9wavefront6targetE0EEEvS10_
    .private_segment_fixed_size: 0
    .sgpr_count:     0
    .sgpr_spill_count: 0
    .symbol:         _ZN7rocprim17ROCPRIM_400000_NS6detail17trampoline_kernelINS0_14default_configENS1_21merge_config_selectorINS0_5tupleIJttEEENS0_10empty_typeEEEZNS1_10merge_implIS3_NS0_12zip_iteratorINS5_IJN6thrust23THRUST_200600_302600_NS6detail15normal_iteratorINSC_10device_ptrIKtEEEESI_EEEEESK_NSA_INS5_IJNSE_INSF_ItEEEESM_EEEEEPS7_SP_SP_NSC_11hip_rocprim7__merge17predicate_wrapperIttNSC_7greaterItEEEEEE10hipError_tPvRmT0_T1_T2_T3_T4_T5_mmT6_P12ihipStream_tbEUlT_E0_NS1_11comp_targetILNS1_3genE9ELNS1_11target_archE1100ELNS1_3gpuE3ELNS1_3repE0EEENS1_30default_config_static_selectorELNS0_4arch9wavefront6targetE0EEEvS10_.kd
    .uniform_work_group_size: 1
    .uses_dynamic_stack: false
    .vgpr_count:     0
    .vgpr_spill_count: 0
    .wavefront_size: 32
  - .args:
      - .offset:         0
        .size:           112
        .value_kind:     by_value
    .group_segment_fixed_size: 0
    .kernarg_segment_align: 8
    .kernarg_segment_size: 112
    .language:       OpenCL C
    .language_version:
      - 2
      - 0
    .max_flat_workgroup_size: 1024
    .name:           _ZN7rocprim17ROCPRIM_400000_NS6detail17trampoline_kernelINS0_14default_configENS1_21merge_config_selectorINS0_5tupleIJttEEENS0_10empty_typeEEEZNS1_10merge_implIS3_NS0_12zip_iteratorINS5_IJN6thrust23THRUST_200600_302600_NS6detail15normal_iteratorINSC_10device_ptrIKtEEEESI_EEEEESK_NSA_INS5_IJNSE_INSF_ItEEEESM_EEEEEPS7_SP_SP_NSC_11hip_rocprim7__merge17predicate_wrapperIttNSC_7greaterItEEEEEE10hipError_tPvRmT0_T1_T2_T3_T4_T5_mmT6_P12ihipStream_tbEUlT_E0_NS1_11comp_targetILNS1_3genE8ELNS1_11target_archE1030ELNS1_3gpuE2ELNS1_3repE0EEENS1_30default_config_static_selectorELNS0_4arch9wavefront6targetE0EEEvS10_
    .private_segment_fixed_size: 0
    .sgpr_count:     0
    .sgpr_spill_count: 0
    .symbol:         _ZN7rocprim17ROCPRIM_400000_NS6detail17trampoline_kernelINS0_14default_configENS1_21merge_config_selectorINS0_5tupleIJttEEENS0_10empty_typeEEEZNS1_10merge_implIS3_NS0_12zip_iteratorINS5_IJN6thrust23THRUST_200600_302600_NS6detail15normal_iteratorINSC_10device_ptrIKtEEEESI_EEEEESK_NSA_INS5_IJNSE_INSF_ItEEEESM_EEEEEPS7_SP_SP_NSC_11hip_rocprim7__merge17predicate_wrapperIttNSC_7greaterItEEEEEE10hipError_tPvRmT0_T1_T2_T3_T4_T5_mmT6_P12ihipStream_tbEUlT_E0_NS1_11comp_targetILNS1_3genE8ELNS1_11target_archE1030ELNS1_3gpuE2ELNS1_3repE0EEENS1_30default_config_static_selectorELNS0_4arch9wavefront6targetE0EEEvS10_.kd
    .uniform_work_group_size: 1
    .uses_dynamic_stack: false
    .vgpr_count:     0
    .vgpr_spill_count: 0
    .wavefront_size: 32
  - .args:
      - .offset:         0
        .size:           64
        .value_kind:     by_value
      - .offset:         64
        .size:           4
        .value_kind:     hidden_block_count_x
      - .offset:         68
        .size:           4
        .value_kind:     hidden_block_count_y
      - .offset:         72
        .size:           4
        .value_kind:     hidden_block_count_z
      - .offset:         76
        .size:           2
        .value_kind:     hidden_group_size_x
      - .offset:         78
        .size:           2
        .value_kind:     hidden_group_size_y
      - .offset:         80
        .size:           2
        .value_kind:     hidden_group_size_z
      - .offset:         82
        .size:           2
        .value_kind:     hidden_remainder_x
      - .offset:         84
        .size:           2
        .value_kind:     hidden_remainder_y
      - .offset:         86
        .size:           2
        .value_kind:     hidden_remainder_z
      - .offset:         104
        .size:           8
        .value_kind:     hidden_global_offset_x
      - .offset:         112
        .size:           8
        .value_kind:     hidden_global_offset_y
      - .offset:         120
        .size:           8
        .value_kind:     hidden_global_offset_z
      - .offset:         128
        .size:           2
        .value_kind:     hidden_grid_dims
    .group_segment_fixed_size: 0
    .kernarg_segment_align: 8
    .kernarg_segment_size: 320
    .language:       OpenCL C
    .language_version:
      - 2
      - 0
    .max_flat_workgroup_size: 512
    .name:           _ZN7rocprim17ROCPRIM_400000_NS6detail17trampoline_kernelINS0_14default_configENS1_21merge_config_selectorINS0_5tupleIJxxEEENS0_10empty_typeEEEZNS1_10merge_implIS3_NS0_12zip_iteratorINS5_IJN6thrust23THRUST_200600_302600_NS6detail15normal_iteratorINSC_10device_ptrIKxEEEESI_EEEEESK_NSA_INS5_IJNSE_INSF_IxEEEESM_EEEEEPS7_SP_SP_NSC_11hip_rocprim7__merge17predicate_wrapperIxxNSC_7greaterIxEEEEEE10hipError_tPvRmT0_T1_T2_T3_T4_T5_mmT6_P12ihipStream_tbEUlT_E_NS1_11comp_targetILNS1_3genE0ELNS1_11target_archE4294967295ELNS1_3gpuE0ELNS1_3repE0EEENS1_30default_config_static_selectorELNS0_4arch9wavefront6targetE0EEEvS10_
    .private_segment_fixed_size: 0
    .sgpr_count:     16
    .sgpr_spill_count: 0
    .symbol:         _ZN7rocprim17ROCPRIM_400000_NS6detail17trampoline_kernelINS0_14default_configENS1_21merge_config_selectorINS0_5tupleIJxxEEENS0_10empty_typeEEEZNS1_10merge_implIS3_NS0_12zip_iteratorINS5_IJN6thrust23THRUST_200600_302600_NS6detail15normal_iteratorINSC_10device_ptrIKxEEEESI_EEEEESK_NSA_INS5_IJNSE_INSF_IxEEEESM_EEEEEPS7_SP_SP_NSC_11hip_rocprim7__merge17predicate_wrapperIxxNSC_7greaterIxEEEEEE10hipError_tPvRmT0_T1_T2_T3_T4_T5_mmT6_P12ihipStream_tbEUlT_E_NS1_11comp_targetILNS1_3genE0ELNS1_11target_archE4294967295ELNS1_3gpuE0ELNS1_3repE0EEENS1_30default_config_static_selectorELNS0_4arch9wavefront6targetE0EEEvS10_.kd
    .uniform_work_group_size: 1
    .uses_dynamic_stack: false
    .vgpr_count:     18
    .vgpr_spill_count: 0
    .wavefront_size: 32
  - .args:
      - .offset:         0
        .size:           64
        .value_kind:     by_value
    .group_segment_fixed_size: 0
    .kernarg_segment_align: 8
    .kernarg_segment_size: 64
    .language:       OpenCL C
    .language_version:
      - 2
      - 0
    .max_flat_workgroup_size: 256
    .name:           _ZN7rocprim17ROCPRIM_400000_NS6detail17trampoline_kernelINS0_14default_configENS1_21merge_config_selectorINS0_5tupleIJxxEEENS0_10empty_typeEEEZNS1_10merge_implIS3_NS0_12zip_iteratorINS5_IJN6thrust23THRUST_200600_302600_NS6detail15normal_iteratorINSC_10device_ptrIKxEEEESI_EEEEESK_NSA_INS5_IJNSE_INSF_IxEEEESM_EEEEEPS7_SP_SP_NSC_11hip_rocprim7__merge17predicate_wrapperIxxNSC_7greaterIxEEEEEE10hipError_tPvRmT0_T1_T2_T3_T4_T5_mmT6_P12ihipStream_tbEUlT_E_NS1_11comp_targetILNS1_3genE5ELNS1_11target_archE942ELNS1_3gpuE9ELNS1_3repE0EEENS1_30default_config_static_selectorELNS0_4arch9wavefront6targetE0EEEvS10_
    .private_segment_fixed_size: 0
    .sgpr_count:     0
    .sgpr_spill_count: 0
    .symbol:         _ZN7rocprim17ROCPRIM_400000_NS6detail17trampoline_kernelINS0_14default_configENS1_21merge_config_selectorINS0_5tupleIJxxEEENS0_10empty_typeEEEZNS1_10merge_implIS3_NS0_12zip_iteratorINS5_IJN6thrust23THRUST_200600_302600_NS6detail15normal_iteratorINSC_10device_ptrIKxEEEESI_EEEEESK_NSA_INS5_IJNSE_INSF_IxEEEESM_EEEEEPS7_SP_SP_NSC_11hip_rocprim7__merge17predicate_wrapperIxxNSC_7greaterIxEEEEEE10hipError_tPvRmT0_T1_T2_T3_T4_T5_mmT6_P12ihipStream_tbEUlT_E_NS1_11comp_targetILNS1_3genE5ELNS1_11target_archE942ELNS1_3gpuE9ELNS1_3repE0EEENS1_30default_config_static_selectorELNS0_4arch9wavefront6targetE0EEEvS10_.kd
    .uniform_work_group_size: 1
    .uses_dynamic_stack: false
    .vgpr_count:     0
    .vgpr_spill_count: 0
    .wavefront_size: 32
  - .args:
      - .offset:         0
        .size:           64
        .value_kind:     by_value
    .group_segment_fixed_size: 0
    .kernarg_segment_align: 8
    .kernarg_segment_size: 64
    .language:       OpenCL C
    .language_version:
      - 2
      - 0
    .max_flat_workgroup_size: 512
    .name:           _ZN7rocprim17ROCPRIM_400000_NS6detail17trampoline_kernelINS0_14default_configENS1_21merge_config_selectorINS0_5tupleIJxxEEENS0_10empty_typeEEEZNS1_10merge_implIS3_NS0_12zip_iteratorINS5_IJN6thrust23THRUST_200600_302600_NS6detail15normal_iteratorINSC_10device_ptrIKxEEEESI_EEEEESK_NSA_INS5_IJNSE_INSF_IxEEEESM_EEEEEPS7_SP_SP_NSC_11hip_rocprim7__merge17predicate_wrapperIxxNSC_7greaterIxEEEEEE10hipError_tPvRmT0_T1_T2_T3_T4_T5_mmT6_P12ihipStream_tbEUlT_E_NS1_11comp_targetILNS1_3genE4ELNS1_11target_archE910ELNS1_3gpuE8ELNS1_3repE0EEENS1_30default_config_static_selectorELNS0_4arch9wavefront6targetE0EEEvS10_
    .private_segment_fixed_size: 0
    .sgpr_count:     0
    .sgpr_spill_count: 0
    .symbol:         _ZN7rocprim17ROCPRIM_400000_NS6detail17trampoline_kernelINS0_14default_configENS1_21merge_config_selectorINS0_5tupleIJxxEEENS0_10empty_typeEEEZNS1_10merge_implIS3_NS0_12zip_iteratorINS5_IJN6thrust23THRUST_200600_302600_NS6detail15normal_iteratorINSC_10device_ptrIKxEEEESI_EEEEESK_NSA_INS5_IJNSE_INSF_IxEEEESM_EEEEEPS7_SP_SP_NSC_11hip_rocprim7__merge17predicate_wrapperIxxNSC_7greaterIxEEEEEE10hipError_tPvRmT0_T1_T2_T3_T4_T5_mmT6_P12ihipStream_tbEUlT_E_NS1_11comp_targetILNS1_3genE4ELNS1_11target_archE910ELNS1_3gpuE8ELNS1_3repE0EEENS1_30default_config_static_selectorELNS0_4arch9wavefront6targetE0EEEvS10_.kd
    .uniform_work_group_size: 1
    .uses_dynamic_stack: false
    .vgpr_count:     0
    .vgpr_spill_count: 0
    .wavefront_size: 32
  - .args:
      - .offset:         0
        .size:           64
        .value_kind:     by_value
    .group_segment_fixed_size: 0
    .kernarg_segment_align: 8
    .kernarg_segment_size: 64
    .language:       OpenCL C
    .language_version:
      - 2
      - 0
    .max_flat_workgroup_size: 512
    .name:           _ZN7rocprim17ROCPRIM_400000_NS6detail17trampoline_kernelINS0_14default_configENS1_21merge_config_selectorINS0_5tupleIJxxEEENS0_10empty_typeEEEZNS1_10merge_implIS3_NS0_12zip_iteratorINS5_IJN6thrust23THRUST_200600_302600_NS6detail15normal_iteratorINSC_10device_ptrIKxEEEESI_EEEEESK_NSA_INS5_IJNSE_INSF_IxEEEESM_EEEEEPS7_SP_SP_NSC_11hip_rocprim7__merge17predicate_wrapperIxxNSC_7greaterIxEEEEEE10hipError_tPvRmT0_T1_T2_T3_T4_T5_mmT6_P12ihipStream_tbEUlT_E_NS1_11comp_targetILNS1_3genE3ELNS1_11target_archE908ELNS1_3gpuE7ELNS1_3repE0EEENS1_30default_config_static_selectorELNS0_4arch9wavefront6targetE0EEEvS10_
    .private_segment_fixed_size: 0
    .sgpr_count:     0
    .sgpr_spill_count: 0
    .symbol:         _ZN7rocprim17ROCPRIM_400000_NS6detail17trampoline_kernelINS0_14default_configENS1_21merge_config_selectorINS0_5tupleIJxxEEENS0_10empty_typeEEEZNS1_10merge_implIS3_NS0_12zip_iteratorINS5_IJN6thrust23THRUST_200600_302600_NS6detail15normal_iteratorINSC_10device_ptrIKxEEEESI_EEEEESK_NSA_INS5_IJNSE_INSF_IxEEEESM_EEEEEPS7_SP_SP_NSC_11hip_rocprim7__merge17predicate_wrapperIxxNSC_7greaterIxEEEEEE10hipError_tPvRmT0_T1_T2_T3_T4_T5_mmT6_P12ihipStream_tbEUlT_E_NS1_11comp_targetILNS1_3genE3ELNS1_11target_archE908ELNS1_3gpuE7ELNS1_3repE0EEENS1_30default_config_static_selectorELNS0_4arch9wavefront6targetE0EEEvS10_.kd
    .uniform_work_group_size: 1
    .uses_dynamic_stack: false
    .vgpr_count:     0
    .vgpr_spill_count: 0
    .wavefront_size: 32
  - .args:
      - .offset:         0
        .size:           64
        .value_kind:     by_value
    .group_segment_fixed_size: 0
    .kernarg_segment_align: 8
    .kernarg_segment_size: 64
    .language:       OpenCL C
    .language_version:
      - 2
      - 0
    .max_flat_workgroup_size: 512
    .name:           _ZN7rocprim17ROCPRIM_400000_NS6detail17trampoline_kernelINS0_14default_configENS1_21merge_config_selectorINS0_5tupleIJxxEEENS0_10empty_typeEEEZNS1_10merge_implIS3_NS0_12zip_iteratorINS5_IJN6thrust23THRUST_200600_302600_NS6detail15normal_iteratorINSC_10device_ptrIKxEEEESI_EEEEESK_NSA_INS5_IJNSE_INSF_IxEEEESM_EEEEEPS7_SP_SP_NSC_11hip_rocprim7__merge17predicate_wrapperIxxNSC_7greaterIxEEEEEE10hipError_tPvRmT0_T1_T2_T3_T4_T5_mmT6_P12ihipStream_tbEUlT_E_NS1_11comp_targetILNS1_3genE2ELNS1_11target_archE906ELNS1_3gpuE6ELNS1_3repE0EEENS1_30default_config_static_selectorELNS0_4arch9wavefront6targetE0EEEvS10_
    .private_segment_fixed_size: 0
    .sgpr_count:     0
    .sgpr_spill_count: 0
    .symbol:         _ZN7rocprim17ROCPRIM_400000_NS6detail17trampoline_kernelINS0_14default_configENS1_21merge_config_selectorINS0_5tupleIJxxEEENS0_10empty_typeEEEZNS1_10merge_implIS3_NS0_12zip_iteratorINS5_IJN6thrust23THRUST_200600_302600_NS6detail15normal_iteratorINSC_10device_ptrIKxEEEESI_EEEEESK_NSA_INS5_IJNSE_INSF_IxEEEESM_EEEEEPS7_SP_SP_NSC_11hip_rocprim7__merge17predicate_wrapperIxxNSC_7greaterIxEEEEEE10hipError_tPvRmT0_T1_T2_T3_T4_T5_mmT6_P12ihipStream_tbEUlT_E_NS1_11comp_targetILNS1_3genE2ELNS1_11target_archE906ELNS1_3gpuE6ELNS1_3repE0EEENS1_30default_config_static_selectorELNS0_4arch9wavefront6targetE0EEEvS10_.kd
    .uniform_work_group_size: 1
    .uses_dynamic_stack: false
    .vgpr_count:     0
    .vgpr_spill_count: 0
    .wavefront_size: 32
  - .args:
      - .offset:         0
        .size:           64
        .value_kind:     by_value
    .group_segment_fixed_size: 0
    .kernarg_segment_align: 8
    .kernarg_segment_size: 64
    .language:       OpenCL C
    .language_version:
      - 2
      - 0
    .max_flat_workgroup_size: 512
    .name:           _ZN7rocprim17ROCPRIM_400000_NS6detail17trampoline_kernelINS0_14default_configENS1_21merge_config_selectorINS0_5tupleIJxxEEENS0_10empty_typeEEEZNS1_10merge_implIS3_NS0_12zip_iteratorINS5_IJN6thrust23THRUST_200600_302600_NS6detail15normal_iteratorINSC_10device_ptrIKxEEEESI_EEEEESK_NSA_INS5_IJNSE_INSF_IxEEEESM_EEEEEPS7_SP_SP_NSC_11hip_rocprim7__merge17predicate_wrapperIxxNSC_7greaterIxEEEEEE10hipError_tPvRmT0_T1_T2_T3_T4_T5_mmT6_P12ihipStream_tbEUlT_E_NS1_11comp_targetILNS1_3genE10ELNS1_11target_archE1201ELNS1_3gpuE5ELNS1_3repE0EEENS1_30default_config_static_selectorELNS0_4arch9wavefront6targetE0EEEvS10_
    .private_segment_fixed_size: 0
    .sgpr_count:     0
    .sgpr_spill_count: 0
    .symbol:         _ZN7rocprim17ROCPRIM_400000_NS6detail17trampoline_kernelINS0_14default_configENS1_21merge_config_selectorINS0_5tupleIJxxEEENS0_10empty_typeEEEZNS1_10merge_implIS3_NS0_12zip_iteratorINS5_IJN6thrust23THRUST_200600_302600_NS6detail15normal_iteratorINSC_10device_ptrIKxEEEESI_EEEEESK_NSA_INS5_IJNSE_INSF_IxEEEESM_EEEEEPS7_SP_SP_NSC_11hip_rocprim7__merge17predicate_wrapperIxxNSC_7greaterIxEEEEEE10hipError_tPvRmT0_T1_T2_T3_T4_T5_mmT6_P12ihipStream_tbEUlT_E_NS1_11comp_targetILNS1_3genE10ELNS1_11target_archE1201ELNS1_3gpuE5ELNS1_3repE0EEENS1_30default_config_static_selectorELNS0_4arch9wavefront6targetE0EEEvS10_.kd
    .uniform_work_group_size: 1
    .uses_dynamic_stack: false
    .vgpr_count:     0
    .vgpr_spill_count: 0
    .wavefront_size: 32
  - .args:
      - .offset:         0
        .size:           64
        .value_kind:     by_value
    .group_segment_fixed_size: 0
    .kernarg_segment_align: 8
    .kernarg_segment_size: 64
    .language:       OpenCL C
    .language_version:
      - 2
      - 0
    .max_flat_workgroup_size: 256
    .name:           _ZN7rocprim17ROCPRIM_400000_NS6detail17trampoline_kernelINS0_14default_configENS1_21merge_config_selectorINS0_5tupleIJxxEEENS0_10empty_typeEEEZNS1_10merge_implIS3_NS0_12zip_iteratorINS5_IJN6thrust23THRUST_200600_302600_NS6detail15normal_iteratorINSC_10device_ptrIKxEEEESI_EEEEESK_NSA_INS5_IJNSE_INSF_IxEEEESM_EEEEEPS7_SP_SP_NSC_11hip_rocprim7__merge17predicate_wrapperIxxNSC_7greaterIxEEEEEE10hipError_tPvRmT0_T1_T2_T3_T4_T5_mmT6_P12ihipStream_tbEUlT_E_NS1_11comp_targetILNS1_3genE10ELNS1_11target_archE1200ELNS1_3gpuE4ELNS1_3repE0EEENS1_30default_config_static_selectorELNS0_4arch9wavefront6targetE0EEEvS10_
    .private_segment_fixed_size: 0
    .sgpr_count:     0
    .sgpr_spill_count: 0
    .symbol:         _ZN7rocprim17ROCPRIM_400000_NS6detail17trampoline_kernelINS0_14default_configENS1_21merge_config_selectorINS0_5tupleIJxxEEENS0_10empty_typeEEEZNS1_10merge_implIS3_NS0_12zip_iteratorINS5_IJN6thrust23THRUST_200600_302600_NS6detail15normal_iteratorINSC_10device_ptrIKxEEEESI_EEEEESK_NSA_INS5_IJNSE_INSF_IxEEEESM_EEEEEPS7_SP_SP_NSC_11hip_rocprim7__merge17predicate_wrapperIxxNSC_7greaterIxEEEEEE10hipError_tPvRmT0_T1_T2_T3_T4_T5_mmT6_P12ihipStream_tbEUlT_E_NS1_11comp_targetILNS1_3genE10ELNS1_11target_archE1200ELNS1_3gpuE4ELNS1_3repE0EEENS1_30default_config_static_selectorELNS0_4arch9wavefront6targetE0EEEvS10_.kd
    .uniform_work_group_size: 1
    .uses_dynamic_stack: false
    .vgpr_count:     0
    .vgpr_spill_count: 0
    .wavefront_size: 32
  - .args:
      - .offset:         0
        .size:           64
        .value_kind:     by_value
    .group_segment_fixed_size: 0
    .kernarg_segment_align: 8
    .kernarg_segment_size: 64
    .language:       OpenCL C
    .language_version:
      - 2
      - 0
    .max_flat_workgroup_size: 1024
    .name:           _ZN7rocprim17ROCPRIM_400000_NS6detail17trampoline_kernelINS0_14default_configENS1_21merge_config_selectorINS0_5tupleIJxxEEENS0_10empty_typeEEEZNS1_10merge_implIS3_NS0_12zip_iteratorINS5_IJN6thrust23THRUST_200600_302600_NS6detail15normal_iteratorINSC_10device_ptrIKxEEEESI_EEEEESK_NSA_INS5_IJNSE_INSF_IxEEEESM_EEEEEPS7_SP_SP_NSC_11hip_rocprim7__merge17predicate_wrapperIxxNSC_7greaterIxEEEEEE10hipError_tPvRmT0_T1_T2_T3_T4_T5_mmT6_P12ihipStream_tbEUlT_E_NS1_11comp_targetILNS1_3genE9ELNS1_11target_archE1100ELNS1_3gpuE3ELNS1_3repE0EEENS1_30default_config_static_selectorELNS0_4arch9wavefront6targetE0EEEvS10_
    .private_segment_fixed_size: 0
    .sgpr_count:     0
    .sgpr_spill_count: 0
    .symbol:         _ZN7rocprim17ROCPRIM_400000_NS6detail17trampoline_kernelINS0_14default_configENS1_21merge_config_selectorINS0_5tupleIJxxEEENS0_10empty_typeEEEZNS1_10merge_implIS3_NS0_12zip_iteratorINS5_IJN6thrust23THRUST_200600_302600_NS6detail15normal_iteratorINSC_10device_ptrIKxEEEESI_EEEEESK_NSA_INS5_IJNSE_INSF_IxEEEESM_EEEEEPS7_SP_SP_NSC_11hip_rocprim7__merge17predicate_wrapperIxxNSC_7greaterIxEEEEEE10hipError_tPvRmT0_T1_T2_T3_T4_T5_mmT6_P12ihipStream_tbEUlT_E_NS1_11comp_targetILNS1_3genE9ELNS1_11target_archE1100ELNS1_3gpuE3ELNS1_3repE0EEENS1_30default_config_static_selectorELNS0_4arch9wavefront6targetE0EEEvS10_.kd
    .uniform_work_group_size: 1
    .uses_dynamic_stack: false
    .vgpr_count:     0
    .vgpr_spill_count: 0
    .wavefront_size: 32
  - .args:
      - .offset:         0
        .size:           64
        .value_kind:     by_value
    .group_segment_fixed_size: 0
    .kernarg_segment_align: 8
    .kernarg_segment_size: 64
    .language:       OpenCL C
    .language_version:
      - 2
      - 0
    .max_flat_workgroup_size: 256
    .name:           _ZN7rocprim17ROCPRIM_400000_NS6detail17trampoline_kernelINS0_14default_configENS1_21merge_config_selectorINS0_5tupleIJxxEEENS0_10empty_typeEEEZNS1_10merge_implIS3_NS0_12zip_iteratorINS5_IJN6thrust23THRUST_200600_302600_NS6detail15normal_iteratorINSC_10device_ptrIKxEEEESI_EEEEESK_NSA_INS5_IJNSE_INSF_IxEEEESM_EEEEEPS7_SP_SP_NSC_11hip_rocprim7__merge17predicate_wrapperIxxNSC_7greaterIxEEEEEE10hipError_tPvRmT0_T1_T2_T3_T4_T5_mmT6_P12ihipStream_tbEUlT_E_NS1_11comp_targetILNS1_3genE8ELNS1_11target_archE1030ELNS1_3gpuE2ELNS1_3repE0EEENS1_30default_config_static_selectorELNS0_4arch9wavefront6targetE0EEEvS10_
    .private_segment_fixed_size: 0
    .sgpr_count:     0
    .sgpr_spill_count: 0
    .symbol:         _ZN7rocprim17ROCPRIM_400000_NS6detail17trampoline_kernelINS0_14default_configENS1_21merge_config_selectorINS0_5tupleIJxxEEENS0_10empty_typeEEEZNS1_10merge_implIS3_NS0_12zip_iteratorINS5_IJN6thrust23THRUST_200600_302600_NS6detail15normal_iteratorINSC_10device_ptrIKxEEEESI_EEEEESK_NSA_INS5_IJNSE_INSF_IxEEEESM_EEEEEPS7_SP_SP_NSC_11hip_rocprim7__merge17predicate_wrapperIxxNSC_7greaterIxEEEEEE10hipError_tPvRmT0_T1_T2_T3_T4_T5_mmT6_P12ihipStream_tbEUlT_E_NS1_11comp_targetILNS1_3genE8ELNS1_11target_archE1030ELNS1_3gpuE2ELNS1_3repE0EEENS1_30default_config_static_selectorELNS0_4arch9wavefront6targetE0EEEvS10_.kd
    .uniform_work_group_size: 1
    .uses_dynamic_stack: false
    .vgpr_count:     0
    .vgpr_spill_count: 0
    .wavefront_size: 32
  - .args:
      - .offset:         0
        .size:           112
        .value_kind:     by_value
    .group_segment_fixed_size: 16896
    .kernarg_segment_align: 8
    .kernarg_segment_size: 112
    .language:       OpenCL C
    .language_version:
      - 2
      - 0
    .max_flat_workgroup_size: 512
    .name:           _ZN7rocprim17ROCPRIM_400000_NS6detail17trampoline_kernelINS0_14default_configENS1_21merge_config_selectorINS0_5tupleIJxxEEENS0_10empty_typeEEEZNS1_10merge_implIS3_NS0_12zip_iteratorINS5_IJN6thrust23THRUST_200600_302600_NS6detail15normal_iteratorINSC_10device_ptrIKxEEEESI_EEEEESK_NSA_INS5_IJNSE_INSF_IxEEEESM_EEEEEPS7_SP_SP_NSC_11hip_rocprim7__merge17predicate_wrapperIxxNSC_7greaterIxEEEEEE10hipError_tPvRmT0_T1_T2_T3_T4_T5_mmT6_P12ihipStream_tbEUlT_E0_NS1_11comp_targetILNS1_3genE0ELNS1_11target_archE4294967295ELNS1_3gpuE0ELNS1_3repE0EEENS1_30default_config_static_selectorELNS0_4arch9wavefront6targetE0EEEvS10_
    .private_segment_fixed_size: 0
    .sgpr_count:     27
    .sgpr_spill_count: 0
    .symbol:         _ZN7rocprim17ROCPRIM_400000_NS6detail17trampoline_kernelINS0_14default_configENS1_21merge_config_selectorINS0_5tupleIJxxEEENS0_10empty_typeEEEZNS1_10merge_implIS3_NS0_12zip_iteratorINS5_IJN6thrust23THRUST_200600_302600_NS6detail15normal_iteratorINSC_10device_ptrIKxEEEESI_EEEEESK_NSA_INS5_IJNSE_INSF_IxEEEESM_EEEEEPS7_SP_SP_NSC_11hip_rocprim7__merge17predicate_wrapperIxxNSC_7greaterIxEEEEEE10hipError_tPvRmT0_T1_T2_T3_T4_T5_mmT6_P12ihipStream_tbEUlT_E0_NS1_11comp_targetILNS1_3genE0ELNS1_11target_archE4294967295ELNS1_3gpuE0ELNS1_3repE0EEENS1_30default_config_static_selectorELNS0_4arch9wavefront6targetE0EEEvS10_.kd
    .uniform_work_group_size: 1
    .uses_dynamic_stack: false
    .vgpr_count:     23
    .vgpr_spill_count: 0
    .wavefront_size: 32
  - .args:
      - .offset:         0
        .size:           112
        .value_kind:     by_value
    .group_segment_fixed_size: 0
    .kernarg_segment_align: 8
    .kernarg_segment_size: 112
    .language:       OpenCL C
    .language_version:
      - 2
      - 0
    .max_flat_workgroup_size: 256
    .name:           _ZN7rocprim17ROCPRIM_400000_NS6detail17trampoline_kernelINS0_14default_configENS1_21merge_config_selectorINS0_5tupleIJxxEEENS0_10empty_typeEEEZNS1_10merge_implIS3_NS0_12zip_iteratorINS5_IJN6thrust23THRUST_200600_302600_NS6detail15normal_iteratorINSC_10device_ptrIKxEEEESI_EEEEESK_NSA_INS5_IJNSE_INSF_IxEEEESM_EEEEEPS7_SP_SP_NSC_11hip_rocprim7__merge17predicate_wrapperIxxNSC_7greaterIxEEEEEE10hipError_tPvRmT0_T1_T2_T3_T4_T5_mmT6_P12ihipStream_tbEUlT_E0_NS1_11comp_targetILNS1_3genE5ELNS1_11target_archE942ELNS1_3gpuE9ELNS1_3repE0EEENS1_30default_config_static_selectorELNS0_4arch9wavefront6targetE0EEEvS10_
    .private_segment_fixed_size: 0
    .sgpr_count:     0
    .sgpr_spill_count: 0
    .symbol:         _ZN7rocprim17ROCPRIM_400000_NS6detail17trampoline_kernelINS0_14default_configENS1_21merge_config_selectorINS0_5tupleIJxxEEENS0_10empty_typeEEEZNS1_10merge_implIS3_NS0_12zip_iteratorINS5_IJN6thrust23THRUST_200600_302600_NS6detail15normal_iteratorINSC_10device_ptrIKxEEEESI_EEEEESK_NSA_INS5_IJNSE_INSF_IxEEEESM_EEEEEPS7_SP_SP_NSC_11hip_rocprim7__merge17predicate_wrapperIxxNSC_7greaterIxEEEEEE10hipError_tPvRmT0_T1_T2_T3_T4_T5_mmT6_P12ihipStream_tbEUlT_E0_NS1_11comp_targetILNS1_3genE5ELNS1_11target_archE942ELNS1_3gpuE9ELNS1_3repE0EEENS1_30default_config_static_selectorELNS0_4arch9wavefront6targetE0EEEvS10_.kd
    .uniform_work_group_size: 1
    .uses_dynamic_stack: false
    .vgpr_count:     0
    .vgpr_spill_count: 0
    .wavefront_size: 32
  - .args:
      - .offset:         0
        .size:           112
        .value_kind:     by_value
    .group_segment_fixed_size: 0
    .kernarg_segment_align: 8
    .kernarg_segment_size: 112
    .language:       OpenCL C
    .language_version:
      - 2
      - 0
    .max_flat_workgroup_size: 512
    .name:           _ZN7rocprim17ROCPRIM_400000_NS6detail17trampoline_kernelINS0_14default_configENS1_21merge_config_selectorINS0_5tupleIJxxEEENS0_10empty_typeEEEZNS1_10merge_implIS3_NS0_12zip_iteratorINS5_IJN6thrust23THRUST_200600_302600_NS6detail15normal_iteratorINSC_10device_ptrIKxEEEESI_EEEEESK_NSA_INS5_IJNSE_INSF_IxEEEESM_EEEEEPS7_SP_SP_NSC_11hip_rocprim7__merge17predicate_wrapperIxxNSC_7greaterIxEEEEEE10hipError_tPvRmT0_T1_T2_T3_T4_T5_mmT6_P12ihipStream_tbEUlT_E0_NS1_11comp_targetILNS1_3genE4ELNS1_11target_archE910ELNS1_3gpuE8ELNS1_3repE0EEENS1_30default_config_static_selectorELNS0_4arch9wavefront6targetE0EEEvS10_
    .private_segment_fixed_size: 0
    .sgpr_count:     0
    .sgpr_spill_count: 0
    .symbol:         _ZN7rocprim17ROCPRIM_400000_NS6detail17trampoline_kernelINS0_14default_configENS1_21merge_config_selectorINS0_5tupleIJxxEEENS0_10empty_typeEEEZNS1_10merge_implIS3_NS0_12zip_iteratorINS5_IJN6thrust23THRUST_200600_302600_NS6detail15normal_iteratorINSC_10device_ptrIKxEEEESI_EEEEESK_NSA_INS5_IJNSE_INSF_IxEEEESM_EEEEEPS7_SP_SP_NSC_11hip_rocprim7__merge17predicate_wrapperIxxNSC_7greaterIxEEEEEE10hipError_tPvRmT0_T1_T2_T3_T4_T5_mmT6_P12ihipStream_tbEUlT_E0_NS1_11comp_targetILNS1_3genE4ELNS1_11target_archE910ELNS1_3gpuE8ELNS1_3repE0EEENS1_30default_config_static_selectorELNS0_4arch9wavefront6targetE0EEEvS10_.kd
    .uniform_work_group_size: 1
    .uses_dynamic_stack: false
    .vgpr_count:     0
    .vgpr_spill_count: 0
    .wavefront_size: 32
  - .args:
      - .offset:         0
        .size:           112
        .value_kind:     by_value
    .group_segment_fixed_size: 0
    .kernarg_segment_align: 8
    .kernarg_segment_size: 112
    .language:       OpenCL C
    .language_version:
      - 2
      - 0
    .max_flat_workgroup_size: 512
    .name:           _ZN7rocprim17ROCPRIM_400000_NS6detail17trampoline_kernelINS0_14default_configENS1_21merge_config_selectorINS0_5tupleIJxxEEENS0_10empty_typeEEEZNS1_10merge_implIS3_NS0_12zip_iteratorINS5_IJN6thrust23THRUST_200600_302600_NS6detail15normal_iteratorINSC_10device_ptrIKxEEEESI_EEEEESK_NSA_INS5_IJNSE_INSF_IxEEEESM_EEEEEPS7_SP_SP_NSC_11hip_rocprim7__merge17predicate_wrapperIxxNSC_7greaterIxEEEEEE10hipError_tPvRmT0_T1_T2_T3_T4_T5_mmT6_P12ihipStream_tbEUlT_E0_NS1_11comp_targetILNS1_3genE3ELNS1_11target_archE908ELNS1_3gpuE7ELNS1_3repE0EEENS1_30default_config_static_selectorELNS0_4arch9wavefront6targetE0EEEvS10_
    .private_segment_fixed_size: 0
    .sgpr_count:     0
    .sgpr_spill_count: 0
    .symbol:         _ZN7rocprim17ROCPRIM_400000_NS6detail17trampoline_kernelINS0_14default_configENS1_21merge_config_selectorINS0_5tupleIJxxEEENS0_10empty_typeEEEZNS1_10merge_implIS3_NS0_12zip_iteratorINS5_IJN6thrust23THRUST_200600_302600_NS6detail15normal_iteratorINSC_10device_ptrIKxEEEESI_EEEEESK_NSA_INS5_IJNSE_INSF_IxEEEESM_EEEEEPS7_SP_SP_NSC_11hip_rocprim7__merge17predicate_wrapperIxxNSC_7greaterIxEEEEEE10hipError_tPvRmT0_T1_T2_T3_T4_T5_mmT6_P12ihipStream_tbEUlT_E0_NS1_11comp_targetILNS1_3genE3ELNS1_11target_archE908ELNS1_3gpuE7ELNS1_3repE0EEENS1_30default_config_static_selectorELNS0_4arch9wavefront6targetE0EEEvS10_.kd
    .uniform_work_group_size: 1
    .uses_dynamic_stack: false
    .vgpr_count:     0
    .vgpr_spill_count: 0
    .wavefront_size: 32
  - .args:
      - .offset:         0
        .size:           112
        .value_kind:     by_value
    .group_segment_fixed_size: 0
    .kernarg_segment_align: 8
    .kernarg_segment_size: 112
    .language:       OpenCL C
    .language_version:
      - 2
      - 0
    .max_flat_workgroup_size: 512
    .name:           _ZN7rocprim17ROCPRIM_400000_NS6detail17trampoline_kernelINS0_14default_configENS1_21merge_config_selectorINS0_5tupleIJxxEEENS0_10empty_typeEEEZNS1_10merge_implIS3_NS0_12zip_iteratorINS5_IJN6thrust23THRUST_200600_302600_NS6detail15normal_iteratorINSC_10device_ptrIKxEEEESI_EEEEESK_NSA_INS5_IJNSE_INSF_IxEEEESM_EEEEEPS7_SP_SP_NSC_11hip_rocprim7__merge17predicate_wrapperIxxNSC_7greaterIxEEEEEE10hipError_tPvRmT0_T1_T2_T3_T4_T5_mmT6_P12ihipStream_tbEUlT_E0_NS1_11comp_targetILNS1_3genE2ELNS1_11target_archE906ELNS1_3gpuE6ELNS1_3repE0EEENS1_30default_config_static_selectorELNS0_4arch9wavefront6targetE0EEEvS10_
    .private_segment_fixed_size: 0
    .sgpr_count:     0
    .sgpr_spill_count: 0
    .symbol:         _ZN7rocprim17ROCPRIM_400000_NS6detail17trampoline_kernelINS0_14default_configENS1_21merge_config_selectorINS0_5tupleIJxxEEENS0_10empty_typeEEEZNS1_10merge_implIS3_NS0_12zip_iteratorINS5_IJN6thrust23THRUST_200600_302600_NS6detail15normal_iteratorINSC_10device_ptrIKxEEEESI_EEEEESK_NSA_INS5_IJNSE_INSF_IxEEEESM_EEEEEPS7_SP_SP_NSC_11hip_rocprim7__merge17predicate_wrapperIxxNSC_7greaterIxEEEEEE10hipError_tPvRmT0_T1_T2_T3_T4_T5_mmT6_P12ihipStream_tbEUlT_E0_NS1_11comp_targetILNS1_3genE2ELNS1_11target_archE906ELNS1_3gpuE6ELNS1_3repE0EEENS1_30default_config_static_selectorELNS0_4arch9wavefront6targetE0EEEvS10_.kd
    .uniform_work_group_size: 1
    .uses_dynamic_stack: false
    .vgpr_count:     0
    .vgpr_spill_count: 0
    .wavefront_size: 32
  - .args:
      - .offset:         0
        .size:           112
        .value_kind:     by_value
    .group_segment_fixed_size: 0
    .kernarg_segment_align: 8
    .kernarg_segment_size: 112
    .language:       OpenCL C
    .language_version:
      - 2
      - 0
    .max_flat_workgroup_size: 512
    .name:           _ZN7rocprim17ROCPRIM_400000_NS6detail17trampoline_kernelINS0_14default_configENS1_21merge_config_selectorINS0_5tupleIJxxEEENS0_10empty_typeEEEZNS1_10merge_implIS3_NS0_12zip_iteratorINS5_IJN6thrust23THRUST_200600_302600_NS6detail15normal_iteratorINSC_10device_ptrIKxEEEESI_EEEEESK_NSA_INS5_IJNSE_INSF_IxEEEESM_EEEEEPS7_SP_SP_NSC_11hip_rocprim7__merge17predicate_wrapperIxxNSC_7greaterIxEEEEEE10hipError_tPvRmT0_T1_T2_T3_T4_T5_mmT6_P12ihipStream_tbEUlT_E0_NS1_11comp_targetILNS1_3genE10ELNS1_11target_archE1201ELNS1_3gpuE5ELNS1_3repE0EEENS1_30default_config_static_selectorELNS0_4arch9wavefront6targetE0EEEvS10_
    .private_segment_fixed_size: 0
    .sgpr_count:     0
    .sgpr_spill_count: 0
    .symbol:         _ZN7rocprim17ROCPRIM_400000_NS6detail17trampoline_kernelINS0_14default_configENS1_21merge_config_selectorINS0_5tupleIJxxEEENS0_10empty_typeEEEZNS1_10merge_implIS3_NS0_12zip_iteratorINS5_IJN6thrust23THRUST_200600_302600_NS6detail15normal_iteratorINSC_10device_ptrIKxEEEESI_EEEEESK_NSA_INS5_IJNSE_INSF_IxEEEESM_EEEEEPS7_SP_SP_NSC_11hip_rocprim7__merge17predicate_wrapperIxxNSC_7greaterIxEEEEEE10hipError_tPvRmT0_T1_T2_T3_T4_T5_mmT6_P12ihipStream_tbEUlT_E0_NS1_11comp_targetILNS1_3genE10ELNS1_11target_archE1201ELNS1_3gpuE5ELNS1_3repE0EEENS1_30default_config_static_selectorELNS0_4arch9wavefront6targetE0EEEvS10_.kd
    .uniform_work_group_size: 1
    .uses_dynamic_stack: false
    .vgpr_count:     0
    .vgpr_spill_count: 0
    .wavefront_size: 32
  - .args:
      - .offset:         0
        .size:           112
        .value_kind:     by_value
    .group_segment_fixed_size: 0
    .kernarg_segment_align: 8
    .kernarg_segment_size: 112
    .language:       OpenCL C
    .language_version:
      - 2
      - 0
    .max_flat_workgroup_size: 256
    .name:           _ZN7rocprim17ROCPRIM_400000_NS6detail17trampoline_kernelINS0_14default_configENS1_21merge_config_selectorINS0_5tupleIJxxEEENS0_10empty_typeEEEZNS1_10merge_implIS3_NS0_12zip_iteratorINS5_IJN6thrust23THRUST_200600_302600_NS6detail15normal_iteratorINSC_10device_ptrIKxEEEESI_EEEEESK_NSA_INS5_IJNSE_INSF_IxEEEESM_EEEEEPS7_SP_SP_NSC_11hip_rocprim7__merge17predicate_wrapperIxxNSC_7greaterIxEEEEEE10hipError_tPvRmT0_T1_T2_T3_T4_T5_mmT6_P12ihipStream_tbEUlT_E0_NS1_11comp_targetILNS1_3genE10ELNS1_11target_archE1200ELNS1_3gpuE4ELNS1_3repE0EEENS1_30default_config_static_selectorELNS0_4arch9wavefront6targetE0EEEvS10_
    .private_segment_fixed_size: 0
    .sgpr_count:     0
    .sgpr_spill_count: 0
    .symbol:         _ZN7rocprim17ROCPRIM_400000_NS6detail17trampoline_kernelINS0_14default_configENS1_21merge_config_selectorINS0_5tupleIJxxEEENS0_10empty_typeEEEZNS1_10merge_implIS3_NS0_12zip_iteratorINS5_IJN6thrust23THRUST_200600_302600_NS6detail15normal_iteratorINSC_10device_ptrIKxEEEESI_EEEEESK_NSA_INS5_IJNSE_INSF_IxEEEESM_EEEEEPS7_SP_SP_NSC_11hip_rocprim7__merge17predicate_wrapperIxxNSC_7greaterIxEEEEEE10hipError_tPvRmT0_T1_T2_T3_T4_T5_mmT6_P12ihipStream_tbEUlT_E0_NS1_11comp_targetILNS1_3genE10ELNS1_11target_archE1200ELNS1_3gpuE4ELNS1_3repE0EEENS1_30default_config_static_selectorELNS0_4arch9wavefront6targetE0EEEvS10_.kd
    .uniform_work_group_size: 1
    .uses_dynamic_stack: false
    .vgpr_count:     0
    .vgpr_spill_count: 0
    .wavefront_size: 32
  - .args:
      - .offset:         0
        .size:           112
        .value_kind:     by_value
    .group_segment_fixed_size: 0
    .kernarg_segment_align: 8
    .kernarg_segment_size: 112
    .language:       OpenCL C
    .language_version:
      - 2
      - 0
    .max_flat_workgroup_size: 1024
    .name:           _ZN7rocprim17ROCPRIM_400000_NS6detail17trampoline_kernelINS0_14default_configENS1_21merge_config_selectorINS0_5tupleIJxxEEENS0_10empty_typeEEEZNS1_10merge_implIS3_NS0_12zip_iteratorINS5_IJN6thrust23THRUST_200600_302600_NS6detail15normal_iteratorINSC_10device_ptrIKxEEEESI_EEEEESK_NSA_INS5_IJNSE_INSF_IxEEEESM_EEEEEPS7_SP_SP_NSC_11hip_rocprim7__merge17predicate_wrapperIxxNSC_7greaterIxEEEEEE10hipError_tPvRmT0_T1_T2_T3_T4_T5_mmT6_P12ihipStream_tbEUlT_E0_NS1_11comp_targetILNS1_3genE9ELNS1_11target_archE1100ELNS1_3gpuE3ELNS1_3repE0EEENS1_30default_config_static_selectorELNS0_4arch9wavefront6targetE0EEEvS10_
    .private_segment_fixed_size: 0
    .sgpr_count:     0
    .sgpr_spill_count: 0
    .symbol:         _ZN7rocprim17ROCPRIM_400000_NS6detail17trampoline_kernelINS0_14default_configENS1_21merge_config_selectorINS0_5tupleIJxxEEENS0_10empty_typeEEEZNS1_10merge_implIS3_NS0_12zip_iteratorINS5_IJN6thrust23THRUST_200600_302600_NS6detail15normal_iteratorINSC_10device_ptrIKxEEEESI_EEEEESK_NSA_INS5_IJNSE_INSF_IxEEEESM_EEEEEPS7_SP_SP_NSC_11hip_rocprim7__merge17predicate_wrapperIxxNSC_7greaterIxEEEEEE10hipError_tPvRmT0_T1_T2_T3_T4_T5_mmT6_P12ihipStream_tbEUlT_E0_NS1_11comp_targetILNS1_3genE9ELNS1_11target_archE1100ELNS1_3gpuE3ELNS1_3repE0EEENS1_30default_config_static_selectorELNS0_4arch9wavefront6targetE0EEEvS10_.kd
    .uniform_work_group_size: 1
    .uses_dynamic_stack: false
    .vgpr_count:     0
    .vgpr_spill_count: 0
    .wavefront_size: 32
  - .args:
      - .offset:         0
        .size:           112
        .value_kind:     by_value
    .group_segment_fixed_size: 0
    .kernarg_segment_align: 8
    .kernarg_segment_size: 112
    .language:       OpenCL C
    .language_version:
      - 2
      - 0
    .max_flat_workgroup_size: 256
    .name:           _ZN7rocprim17ROCPRIM_400000_NS6detail17trampoline_kernelINS0_14default_configENS1_21merge_config_selectorINS0_5tupleIJxxEEENS0_10empty_typeEEEZNS1_10merge_implIS3_NS0_12zip_iteratorINS5_IJN6thrust23THRUST_200600_302600_NS6detail15normal_iteratorINSC_10device_ptrIKxEEEESI_EEEEESK_NSA_INS5_IJNSE_INSF_IxEEEESM_EEEEEPS7_SP_SP_NSC_11hip_rocprim7__merge17predicate_wrapperIxxNSC_7greaterIxEEEEEE10hipError_tPvRmT0_T1_T2_T3_T4_T5_mmT6_P12ihipStream_tbEUlT_E0_NS1_11comp_targetILNS1_3genE8ELNS1_11target_archE1030ELNS1_3gpuE2ELNS1_3repE0EEENS1_30default_config_static_selectorELNS0_4arch9wavefront6targetE0EEEvS10_
    .private_segment_fixed_size: 0
    .sgpr_count:     0
    .sgpr_spill_count: 0
    .symbol:         _ZN7rocprim17ROCPRIM_400000_NS6detail17trampoline_kernelINS0_14default_configENS1_21merge_config_selectorINS0_5tupleIJxxEEENS0_10empty_typeEEEZNS1_10merge_implIS3_NS0_12zip_iteratorINS5_IJN6thrust23THRUST_200600_302600_NS6detail15normal_iteratorINSC_10device_ptrIKxEEEESI_EEEEESK_NSA_INS5_IJNSE_INSF_IxEEEESM_EEEEEPS7_SP_SP_NSC_11hip_rocprim7__merge17predicate_wrapperIxxNSC_7greaterIxEEEEEE10hipError_tPvRmT0_T1_T2_T3_T4_T5_mmT6_P12ihipStream_tbEUlT_E0_NS1_11comp_targetILNS1_3genE8ELNS1_11target_archE1030ELNS1_3gpuE2ELNS1_3repE0EEENS1_30default_config_static_selectorELNS0_4arch9wavefront6targetE0EEEvS10_.kd
    .uniform_work_group_size: 1
    .uses_dynamic_stack: false
    .vgpr_count:     0
    .vgpr_spill_count: 0
    .wavefront_size: 32
  - .args:
      - .offset:         0
        .size:           64
        .value_kind:     by_value
      - .offset:         64
        .size:           4
        .value_kind:     hidden_block_count_x
      - .offset:         68
        .size:           4
        .value_kind:     hidden_block_count_y
      - .offset:         72
        .size:           4
        .value_kind:     hidden_block_count_z
      - .offset:         76
        .size:           2
        .value_kind:     hidden_group_size_x
      - .offset:         78
        .size:           2
        .value_kind:     hidden_group_size_y
      - .offset:         80
        .size:           2
        .value_kind:     hidden_group_size_z
      - .offset:         82
        .size:           2
        .value_kind:     hidden_remainder_x
      - .offset:         84
        .size:           2
        .value_kind:     hidden_remainder_y
      - .offset:         86
        .size:           2
        .value_kind:     hidden_remainder_z
      - .offset:         104
        .size:           8
        .value_kind:     hidden_global_offset_x
      - .offset:         112
        .size:           8
        .value_kind:     hidden_global_offset_y
      - .offset:         120
        .size:           8
        .value_kind:     hidden_global_offset_z
      - .offset:         128
        .size:           2
        .value_kind:     hidden_grid_dims
    .group_segment_fixed_size: 0
    .kernarg_segment_align: 8
    .kernarg_segment_size: 320
    .language:       OpenCL C
    .language_version:
      - 2
      - 0
    .max_flat_workgroup_size: 256
    .name:           _ZN7rocprim17ROCPRIM_400000_NS6detail17trampoline_kernelINS0_14default_configENS1_21merge_config_selectorINS0_5tupleIJiiEEENS0_10empty_typeEEEZNS1_10merge_implIS3_NS0_12zip_iteratorINS5_IJN6thrust23THRUST_200600_302600_NS6detail15normal_iteratorINSC_10device_ptrIKiEEEESI_EEEEESK_NSA_INS5_IJNSE_INSF_IiEEEESM_EEEEEPS7_SP_SP_NSC_11hip_rocprim7__merge17predicate_wrapperIiiNSC_7greaterIiEEEEEE10hipError_tPvRmT0_T1_T2_T3_T4_T5_mmT6_P12ihipStream_tbEUlT_E_NS1_11comp_targetILNS1_3genE0ELNS1_11target_archE4294967295ELNS1_3gpuE0ELNS1_3repE0EEENS1_30default_config_static_selectorELNS0_4arch9wavefront6targetE0EEEvS10_
    .private_segment_fixed_size: 0
    .sgpr_count:     16
    .sgpr_spill_count: 0
    .symbol:         _ZN7rocprim17ROCPRIM_400000_NS6detail17trampoline_kernelINS0_14default_configENS1_21merge_config_selectorINS0_5tupleIJiiEEENS0_10empty_typeEEEZNS1_10merge_implIS3_NS0_12zip_iteratorINS5_IJN6thrust23THRUST_200600_302600_NS6detail15normal_iteratorINSC_10device_ptrIKiEEEESI_EEEEESK_NSA_INS5_IJNSE_INSF_IiEEEESM_EEEEEPS7_SP_SP_NSC_11hip_rocprim7__merge17predicate_wrapperIiiNSC_7greaterIiEEEEEE10hipError_tPvRmT0_T1_T2_T3_T4_T5_mmT6_P12ihipStream_tbEUlT_E_NS1_11comp_targetILNS1_3genE0ELNS1_11target_archE4294967295ELNS1_3gpuE0ELNS1_3repE0EEENS1_30default_config_static_selectorELNS0_4arch9wavefront6targetE0EEEvS10_.kd
    .uniform_work_group_size: 1
    .uses_dynamic_stack: false
    .vgpr_count:     15
    .vgpr_spill_count: 0
    .wavefront_size: 32
  - .args:
      - .offset:         0
        .size:           64
        .value_kind:     by_value
    .group_segment_fixed_size: 0
    .kernarg_segment_align: 8
    .kernarg_segment_size: 64
    .language:       OpenCL C
    .language_version:
      - 2
      - 0
    .max_flat_workgroup_size: 256
    .name:           _ZN7rocprim17ROCPRIM_400000_NS6detail17trampoline_kernelINS0_14default_configENS1_21merge_config_selectorINS0_5tupleIJiiEEENS0_10empty_typeEEEZNS1_10merge_implIS3_NS0_12zip_iteratorINS5_IJN6thrust23THRUST_200600_302600_NS6detail15normal_iteratorINSC_10device_ptrIKiEEEESI_EEEEESK_NSA_INS5_IJNSE_INSF_IiEEEESM_EEEEEPS7_SP_SP_NSC_11hip_rocprim7__merge17predicate_wrapperIiiNSC_7greaterIiEEEEEE10hipError_tPvRmT0_T1_T2_T3_T4_T5_mmT6_P12ihipStream_tbEUlT_E_NS1_11comp_targetILNS1_3genE5ELNS1_11target_archE942ELNS1_3gpuE9ELNS1_3repE0EEENS1_30default_config_static_selectorELNS0_4arch9wavefront6targetE0EEEvS10_
    .private_segment_fixed_size: 0
    .sgpr_count:     0
    .sgpr_spill_count: 0
    .symbol:         _ZN7rocprim17ROCPRIM_400000_NS6detail17trampoline_kernelINS0_14default_configENS1_21merge_config_selectorINS0_5tupleIJiiEEENS0_10empty_typeEEEZNS1_10merge_implIS3_NS0_12zip_iteratorINS5_IJN6thrust23THRUST_200600_302600_NS6detail15normal_iteratorINSC_10device_ptrIKiEEEESI_EEEEESK_NSA_INS5_IJNSE_INSF_IiEEEESM_EEEEEPS7_SP_SP_NSC_11hip_rocprim7__merge17predicate_wrapperIiiNSC_7greaterIiEEEEEE10hipError_tPvRmT0_T1_T2_T3_T4_T5_mmT6_P12ihipStream_tbEUlT_E_NS1_11comp_targetILNS1_3genE5ELNS1_11target_archE942ELNS1_3gpuE9ELNS1_3repE0EEENS1_30default_config_static_selectorELNS0_4arch9wavefront6targetE0EEEvS10_.kd
    .uniform_work_group_size: 1
    .uses_dynamic_stack: false
    .vgpr_count:     0
    .vgpr_spill_count: 0
    .wavefront_size: 32
  - .args:
      - .offset:         0
        .size:           64
        .value_kind:     by_value
    .group_segment_fixed_size: 0
    .kernarg_segment_align: 8
    .kernarg_segment_size: 64
    .language:       OpenCL C
    .language_version:
      - 2
      - 0
    .max_flat_workgroup_size: 256
    .name:           _ZN7rocprim17ROCPRIM_400000_NS6detail17trampoline_kernelINS0_14default_configENS1_21merge_config_selectorINS0_5tupleIJiiEEENS0_10empty_typeEEEZNS1_10merge_implIS3_NS0_12zip_iteratorINS5_IJN6thrust23THRUST_200600_302600_NS6detail15normal_iteratorINSC_10device_ptrIKiEEEESI_EEEEESK_NSA_INS5_IJNSE_INSF_IiEEEESM_EEEEEPS7_SP_SP_NSC_11hip_rocprim7__merge17predicate_wrapperIiiNSC_7greaterIiEEEEEE10hipError_tPvRmT0_T1_T2_T3_T4_T5_mmT6_P12ihipStream_tbEUlT_E_NS1_11comp_targetILNS1_3genE4ELNS1_11target_archE910ELNS1_3gpuE8ELNS1_3repE0EEENS1_30default_config_static_selectorELNS0_4arch9wavefront6targetE0EEEvS10_
    .private_segment_fixed_size: 0
    .sgpr_count:     0
    .sgpr_spill_count: 0
    .symbol:         _ZN7rocprim17ROCPRIM_400000_NS6detail17trampoline_kernelINS0_14default_configENS1_21merge_config_selectorINS0_5tupleIJiiEEENS0_10empty_typeEEEZNS1_10merge_implIS3_NS0_12zip_iteratorINS5_IJN6thrust23THRUST_200600_302600_NS6detail15normal_iteratorINSC_10device_ptrIKiEEEESI_EEEEESK_NSA_INS5_IJNSE_INSF_IiEEEESM_EEEEEPS7_SP_SP_NSC_11hip_rocprim7__merge17predicate_wrapperIiiNSC_7greaterIiEEEEEE10hipError_tPvRmT0_T1_T2_T3_T4_T5_mmT6_P12ihipStream_tbEUlT_E_NS1_11comp_targetILNS1_3genE4ELNS1_11target_archE910ELNS1_3gpuE8ELNS1_3repE0EEENS1_30default_config_static_selectorELNS0_4arch9wavefront6targetE0EEEvS10_.kd
    .uniform_work_group_size: 1
    .uses_dynamic_stack: false
    .vgpr_count:     0
    .vgpr_spill_count: 0
    .wavefront_size: 32
  - .args:
      - .offset:         0
        .size:           64
        .value_kind:     by_value
    .group_segment_fixed_size: 0
    .kernarg_segment_align: 8
    .kernarg_segment_size: 64
    .language:       OpenCL C
    .language_version:
      - 2
      - 0
    .max_flat_workgroup_size: 256
    .name:           _ZN7rocprim17ROCPRIM_400000_NS6detail17trampoline_kernelINS0_14default_configENS1_21merge_config_selectorINS0_5tupleIJiiEEENS0_10empty_typeEEEZNS1_10merge_implIS3_NS0_12zip_iteratorINS5_IJN6thrust23THRUST_200600_302600_NS6detail15normal_iteratorINSC_10device_ptrIKiEEEESI_EEEEESK_NSA_INS5_IJNSE_INSF_IiEEEESM_EEEEEPS7_SP_SP_NSC_11hip_rocprim7__merge17predicate_wrapperIiiNSC_7greaterIiEEEEEE10hipError_tPvRmT0_T1_T2_T3_T4_T5_mmT6_P12ihipStream_tbEUlT_E_NS1_11comp_targetILNS1_3genE3ELNS1_11target_archE908ELNS1_3gpuE7ELNS1_3repE0EEENS1_30default_config_static_selectorELNS0_4arch9wavefront6targetE0EEEvS10_
    .private_segment_fixed_size: 0
    .sgpr_count:     0
    .sgpr_spill_count: 0
    .symbol:         _ZN7rocprim17ROCPRIM_400000_NS6detail17trampoline_kernelINS0_14default_configENS1_21merge_config_selectorINS0_5tupleIJiiEEENS0_10empty_typeEEEZNS1_10merge_implIS3_NS0_12zip_iteratorINS5_IJN6thrust23THRUST_200600_302600_NS6detail15normal_iteratorINSC_10device_ptrIKiEEEESI_EEEEESK_NSA_INS5_IJNSE_INSF_IiEEEESM_EEEEEPS7_SP_SP_NSC_11hip_rocprim7__merge17predicate_wrapperIiiNSC_7greaterIiEEEEEE10hipError_tPvRmT0_T1_T2_T3_T4_T5_mmT6_P12ihipStream_tbEUlT_E_NS1_11comp_targetILNS1_3genE3ELNS1_11target_archE908ELNS1_3gpuE7ELNS1_3repE0EEENS1_30default_config_static_selectorELNS0_4arch9wavefront6targetE0EEEvS10_.kd
    .uniform_work_group_size: 1
    .uses_dynamic_stack: false
    .vgpr_count:     0
    .vgpr_spill_count: 0
    .wavefront_size: 32
  - .args:
      - .offset:         0
        .size:           64
        .value_kind:     by_value
    .group_segment_fixed_size: 0
    .kernarg_segment_align: 8
    .kernarg_segment_size: 64
    .language:       OpenCL C
    .language_version:
      - 2
      - 0
    .max_flat_workgroup_size: 256
    .name:           _ZN7rocprim17ROCPRIM_400000_NS6detail17trampoline_kernelINS0_14default_configENS1_21merge_config_selectorINS0_5tupleIJiiEEENS0_10empty_typeEEEZNS1_10merge_implIS3_NS0_12zip_iteratorINS5_IJN6thrust23THRUST_200600_302600_NS6detail15normal_iteratorINSC_10device_ptrIKiEEEESI_EEEEESK_NSA_INS5_IJNSE_INSF_IiEEEESM_EEEEEPS7_SP_SP_NSC_11hip_rocprim7__merge17predicate_wrapperIiiNSC_7greaterIiEEEEEE10hipError_tPvRmT0_T1_T2_T3_T4_T5_mmT6_P12ihipStream_tbEUlT_E_NS1_11comp_targetILNS1_3genE2ELNS1_11target_archE906ELNS1_3gpuE6ELNS1_3repE0EEENS1_30default_config_static_selectorELNS0_4arch9wavefront6targetE0EEEvS10_
    .private_segment_fixed_size: 0
    .sgpr_count:     0
    .sgpr_spill_count: 0
    .symbol:         _ZN7rocprim17ROCPRIM_400000_NS6detail17trampoline_kernelINS0_14default_configENS1_21merge_config_selectorINS0_5tupleIJiiEEENS0_10empty_typeEEEZNS1_10merge_implIS3_NS0_12zip_iteratorINS5_IJN6thrust23THRUST_200600_302600_NS6detail15normal_iteratorINSC_10device_ptrIKiEEEESI_EEEEESK_NSA_INS5_IJNSE_INSF_IiEEEESM_EEEEEPS7_SP_SP_NSC_11hip_rocprim7__merge17predicate_wrapperIiiNSC_7greaterIiEEEEEE10hipError_tPvRmT0_T1_T2_T3_T4_T5_mmT6_P12ihipStream_tbEUlT_E_NS1_11comp_targetILNS1_3genE2ELNS1_11target_archE906ELNS1_3gpuE6ELNS1_3repE0EEENS1_30default_config_static_selectorELNS0_4arch9wavefront6targetE0EEEvS10_.kd
    .uniform_work_group_size: 1
    .uses_dynamic_stack: false
    .vgpr_count:     0
    .vgpr_spill_count: 0
    .wavefront_size: 32
  - .args:
      - .offset:         0
        .size:           64
        .value_kind:     by_value
    .group_segment_fixed_size: 0
    .kernarg_segment_align: 8
    .kernarg_segment_size: 64
    .language:       OpenCL C
    .language_version:
      - 2
      - 0
    .max_flat_workgroup_size: 512
    .name:           _ZN7rocprim17ROCPRIM_400000_NS6detail17trampoline_kernelINS0_14default_configENS1_21merge_config_selectorINS0_5tupleIJiiEEENS0_10empty_typeEEEZNS1_10merge_implIS3_NS0_12zip_iteratorINS5_IJN6thrust23THRUST_200600_302600_NS6detail15normal_iteratorINSC_10device_ptrIKiEEEESI_EEEEESK_NSA_INS5_IJNSE_INSF_IiEEEESM_EEEEEPS7_SP_SP_NSC_11hip_rocprim7__merge17predicate_wrapperIiiNSC_7greaterIiEEEEEE10hipError_tPvRmT0_T1_T2_T3_T4_T5_mmT6_P12ihipStream_tbEUlT_E_NS1_11comp_targetILNS1_3genE10ELNS1_11target_archE1201ELNS1_3gpuE5ELNS1_3repE0EEENS1_30default_config_static_selectorELNS0_4arch9wavefront6targetE0EEEvS10_
    .private_segment_fixed_size: 0
    .sgpr_count:     0
    .sgpr_spill_count: 0
    .symbol:         _ZN7rocprim17ROCPRIM_400000_NS6detail17trampoline_kernelINS0_14default_configENS1_21merge_config_selectorINS0_5tupleIJiiEEENS0_10empty_typeEEEZNS1_10merge_implIS3_NS0_12zip_iteratorINS5_IJN6thrust23THRUST_200600_302600_NS6detail15normal_iteratorINSC_10device_ptrIKiEEEESI_EEEEESK_NSA_INS5_IJNSE_INSF_IiEEEESM_EEEEEPS7_SP_SP_NSC_11hip_rocprim7__merge17predicate_wrapperIiiNSC_7greaterIiEEEEEE10hipError_tPvRmT0_T1_T2_T3_T4_T5_mmT6_P12ihipStream_tbEUlT_E_NS1_11comp_targetILNS1_3genE10ELNS1_11target_archE1201ELNS1_3gpuE5ELNS1_3repE0EEENS1_30default_config_static_selectorELNS0_4arch9wavefront6targetE0EEEvS10_.kd
    .uniform_work_group_size: 1
    .uses_dynamic_stack: false
    .vgpr_count:     0
    .vgpr_spill_count: 0
    .wavefront_size: 32
  - .args:
      - .offset:         0
        .size:           64
        .value_kind:     by_value
    .group_segment_fixed_size: 0
    .kernarg_segment_align: 8
    .kernarg_segment_size: 64
    .language:       OpenCL C
    .language_version:
      - 2
      - 0
    .max_flat_workgroup_size: 1024
    .name:           _ZN7rocprim17ROCPRIM_400000_NS6detail17trampoline_kernelINS0_14default_configENS1_21merge_config_selectorINS0_5tupleIJiiEEENS0_10empty_typeEEEZNS1_10merge_implIS3_NS0_12zip_iteratorINS5_IJN6thrust23THRUST_200600_302600_NS6detail15normal_iteratorINSC_10device_ptrIKiEEEESI_EEEEESK_NSA_INS5_IJNSE_INSF_IiEEEESM_EEEEEPS7_SP_SP_NSC_11hip_rocprim7__merge17predicate_wrapperIiiNSC_7greaterIiEEEEEE10hipError_tPvRmT0_T1_T2_T3_T4_T5_mmT6_P12ihipStream_tbEUlT_E_NS1_11comp_targetILNS1_3genE10ELNS1_11target_archE1200ELNS1_3gpuE4ELNS1_3repE0EEENS1_30default_config_static_selectorELNS0_4arch9wavefront6targetE0EEEvS10_
    .private_segment_fixed_size: 0
    .sgpr_count:     0
    .sgpr_spill_count: 0
    .symbol:         _ZN7rocprim17ROCPRIM_400000_NS6detail17trampoline_kernelINS0_14default_configENS1_21merge_config_selectorINS0_5tupleIJiiEEENS0_10empty_typeEEEZNS1_10merge_implIS3_NS0_12zip_iteratorINS5_IJN6thrust23THRUST_200600_302600_NS6detail15normal_iteratorINSC_10device_ptrIKiEEEESI_EEEEESK_NSA_INS5_IJNSE_INSF_IiEEEESM_EEEEEPS7_SP_SP_NSC_11hip_rocprim7__merge17predicate_wrapperIiiNSC_7greaterIiEEEEEE10hipError_tPvRmT0_T1_T2_T3_T4_T5_mmT6_P12ihipStream_tbEUlT_E_NS1_11comp_targetILNS1_3genE10ELNS1_11target_archE1200ELNS1_3gpuE4ELNS1_3repE0EEENS1_30default_config_static_selectorELNS0_4arch9wavefront6targetE0EEEvS10_.kd
    .uniform_work_group_size: 1
    .uses_dynamic_stack: false
    .vgpr_count:     0
    .vgpr_spill_count: 0
    .wavefront_size: 32
  - .args:
      - .offset:         0
        .size:           64
        .value_kind:     by_value
    .group_segment_fixed_size: 0
    .kernarg_segment_align: 8
    .kernarg_segment_size: 64
    .language:       OpenCL C
    .language_version:
      - 2
      - 0
    .max_flat_workgroup_size: 1024
    .name:           _ZN7rocprim17ROCPRIM_400000_NS6detail17trampoline_kernelINS0_14default_configENS1_21merge_config_selectorINS0_5tupleIJiiEEENS0_10empty_typeEEEZNS1_10merge_implIS3_NS0_12zip_iteratorINS5_IJN6thrust23THRUST_200600_302600_NS6detail15normal_iteratorINSC_10device_ptrIKiEEEESI_EEEEESK_NSA_INS5_IJNSE_INSF_IiEEEESM_EEEEEPS7_SP_SP_NSC_11hip_rocprim7__merge17predicate_wrapperIiiNSC_7greaterIiEEEEEE10hipError_tPvRmT0_T1_T2_T3_T4_T5_mmT6_P12ihipStream_tbEUlT_E_NS1_11comp_targetILNS1_3genE9ELNS1_11target_archE1100ELNS1_3gpuE3ELNS1_3repE0EEENS1_30default_config_static_selectorELNS0_4arch9wavefront6targetE0EEEvS10_
    .private_segment_fixed_size: 0
    .sgpr_count:     0
    .sgpr_spill_count: 0
    .symbol:         _ZN7rocprim17ROCPRIM_400000_NS6detail17trampoline_kernelINS0_14default_configENS1_21merge_config_selectorINS0_5tupleIJiiEEENS0_10empty_typeEEEZNS1_10merge_implIS3_NS0_12zip_iteratorINS5_IJN6thrust23THRUST_200600_302600_NS6detail15normal_iteratorINSC_10device_ptrIKiEEEESI_EEEEESK_NSA_INS5_IJNSE_INSF_IiEEEESM_EEEEEPS7_SP_SP_NSC_11hip_rocprim7__merge17predicate_wrapperIiiNSC_7greaterIiEEEEEE10hipError_tPvRmT0_T1_T2_T3_T4_T5_mmT6_P12ihipStream_tbEUlT_E_NS1_11comp_targetILNS1_3genE9ELNS1_11target_archE1100ELNS1_3gpuE3ELNS1_3repE0EEENS1_30default_config_static_selectorELNS0_4arch9wavefront6targetE0EEEvS10_.kd
    .uniform_work_group_size: 1
    .uses_dynamic_stack: false
    .vgpr_count:     0
    .vgpr_spill_count: 0
    .wavefront_size: 32
  - .args:
      - .offset:         0
        .size:           64
        .value_kind:     by_value
    .group_segment_fixed_size: 0
    .kernarg_segment_align: 8
    .kernarg_segment_size: 64
    .language:       OpenCL C
    .language_version:
      - 2
      - 0
    .max_flat_workgroup_size: 256
    .name:           _ZN7rocprim17ROCPRIM_400000_NS6detail17trampoline_kernelINS0_14default_configENS1_21merge_config_selectorINS0_5tupleIJiiEEENS0_10empty_typeEEEZNS1_10merge_implIS3_NS0_12zip_iteratorINS5_IJN6thrust23THRUST_200600_302600_NS6detail15normal_iteratorINSC_10device_ptrIKiEEEESI_EEEEESK_NSA_INS5_IJNSE_INSF_IiEEEESM_EEEEEPS7_SP_SP_NSC_11hip_rocprim7__merge17predicate_wrapperIiiNSC_7greaterIiEEEEEE10hipError_tPvRmT0_T1_T2_T3_T4_T5_mmT6_P12ihipStream_tbEUlT_E_NS1_11comp_targetILNS1_3genE8ELNS1_11target_archE1030ELNS1_3gpuE2ELNS1_3repE0EEENS1_30default_config_static_selectorELNS0_4arch9wavefront6targetE0EEEvS10_
    .private_segment_fixed_size: 0
    .sgpr_count:     0
    .sgpr_spill_count: 0
    .symbol:         _ZN7rocprim17ROCPRIM_400000_NS6detail17trampoline_kernelINS0_14default_configENS1_21merge_config_selectorINS0_5tupleIJiiEEENS0_10empty_typeEEEZNS1_10merge_implIS3_NS0_12zip_iteratorINS5_IJN6thrust23THRUST_200600_302600_NS6detail15normal_iteratorINSC_10device_ptrIKiEEEESI_EEEEESK_NSA_INS5_IJNSE_INSF_IiEEEESM_EEEEEPS7_SP_SP_NSC_11hip_rocprim7__merge17predicate_wrapperIiiNSC_7greaterIiEEEEEE10hipError_tPvRmT0_T1_T2_T3_T4_T5_mmT6_P12ihipStream_tbEUlT_E_NS1_11comp_targetILNS1_3genE8ELNS1_11target_archE1030ELNS1_3gpuE2ELNS1_3repE0EEENS1_30default_config_static_selectorELNS0_4arch9wavefront6targetE0EEEvS10_.kd
    .uniform_work_group_size: 1
    .uses_dynamic_stack: false
    .vgpr_count:     0
    .vgpr_spill_count: 0
    .wavefront_size: 32
  - .args:
      - .offset:         0
        .size:           112
        .value_kind:     by_value
    .group_segment_fixed_size: 14352
    .kernarg_segment_align: 8
    .kernarg_segment_size: 112
    .language:       OpenCL C
    .language_version:
      - 2
      - 0
    .max_flat_workgroup_size: 256
    .name:           _ZN7rocprim17ROCPRIM_400000_NS6detail17trampoline_kernelINS0_14default_configENS1_21merge_config_selectorINS0_5tupleIJiiEEENS0_10empty_typeEEEZNS1_10merge_implIS3_NS0_12zip_iteratorINS5_IJN6thrust23THRUST_200600_302600_NS6detail15normal_iteratorINSC_10device_ptrIKiEEEESI_EEEEESK_NSA_INS5_IJNSE_INSF_IiEEEESM_EEEEEPS7_SP_SP_NSC_11hip_rocprim7__merge17predicate_wrapperIiiNSC_7greaterIiEEEEEE10hipError_tPvRmT0_T1_T2_T3_T4_T5_mmT6_P12ihipStream_tbEUlT_E0_NS1_11comp_targetILNS1_3genE0ELNS1_11target_archE4294967295ELNS1_3gpuE0ELNS1_3repE0EEENS1_30default_config_static_selectorELNS0_4arch9wavefront6targetE0EEEvS10_
    .private_segment_fixed_size: 0
    .sgpr_count:     28
    .sgpr_spill_count: 0
    .symbol:         _ZN7rocprim17ROCPRIM_400000_NS6detail17trampoline_kernelINS0_14default_configENS1_21merge_config_selectorINS0_5tupleIJiiEEENS0_10empty_typeEEEZNS1_10merge_implIS3_NS0_12zip_iteratorINS5_IJN6thrust23THRUST_200600_302600_NS6detail15normal_iteratorINSC_10device_ptrIKiEEEESI_EEEEESK_NSA_INS5_IJNSE_INSF_IiEEEESM_EEEEEPS7_SP_SP_NSC_11hip_rocprim7__merge17predicate_wrapperIiiNSC_7greaterIiEEEEEE10hipError_tPvRmT0_T1_T2_T3_T4_T5_mmT6_P12ihipStream_tbEUlT_E0_NS1_11comp_targetILNS1_3genE0ELNS1_11target_archE4294967295ELNS1_3gpuE0ELNS1_3repE0EEENS1_30default_config_static_selectorELNS0_4arch9wavefront6targetE0EEEvS10_.kd
    .uniform_work_group_size: 1
    .uses_dynamic_stack: false
    .vgpr_count:     35
    .vgpr_spill_count: 0
    .wavefront_size: 32
  - .args:
      - .offset:         0
        .size:           112
        .value_kind:     by_value
    .group_segment_fixed_size: 0
    .kernarg_segment_align: 8
    .kernarg_segment_size: 112
    .language:       OpenCL C
    .language_version:
      - 2
      - 0
    .max_flat_workgroup_size: 256
    .name:           _ZN7rocprim17ROCPRIM_400000_NS6detail17trampoline_kernelINS0_14default_configENS1_21merge_config_selectorINS0_5tupleIJiiEEENS0_10empty_typeEEEZNS1_10merge_implIS3_NS0_12zip_iteratorINS5_IJN6thrust23THRUST_200600_302600_NS6detail15normal_iteratorINSC_10device_ptrIKiEEEESI_EEEEESK_NSA_INS5_IJNSE_INSF_IiEEEESM_EEEEEPS7_SP_SP_NSC_11hip_rocprim7__merge17predicate_wrapperIiiNSC_7greaterIiEEEEEE10hipError_tPvRmT0_T1_T2_T3_T4_T5_mmT6_P12ihipStream_tbEUlT_E0_NS1_11comp_targetILNS1_3genE5ELNS1_11target_archE942ELNS1_3gpuE9ELNS1_3repE0EEENS1_30default_config_static_selectorELNS0_4arch9wavefront6targetE0EEEvS10_
    .private_segment_fixed_size: 0
    .sgpr_count:     0
    .sgpr_spill_count: 0
    .symbol:         _ZN7rocprim17ROCPRIM_400000_NS6detail17trampoline_kernelINS0_14default_configENS1_21merge_config_selectorINS0_5tupleIJiiEEENS0_10empty_typeEEEZNS1_10merge_implIS3_NS0_12zip_iteratorINS5_IJN6thrust23THRUST_200600_302600_NS6detail15normal_iteratorINSC_10device_ptrIKiEEEESI_EEEEESK_NSA_INS5_IJNSE_INSF_IiEEEESM_EEEEEPS7_SP_SP_NSC_11hip_rocprim7__merge17predicate_wrapperIiiNSC_7greaterIiEEEEEE10hipError_tPvRmT0_T1_T2_T3_T4_T5_mmT6_P12ihipStream_tbEUlT_E0_NS1_11comp_targetILNS1_3genE5ELNS1_11target_archE942ELNS1_3gpuE9ELNS1_3repE0EEENS1_30default_config_static_selectorELNS0_4arch9wavefront6targetE0EEEvS10_.kd
    .uniform_work_group_size: 1
    .uses_dynamic_stack: false
    .vgpr_count:     0
    .vgpr_spill_count: 0
    .wavefront_size: 32
  - .args:
      - .offset:         0
        .size:           112
        .value_kind:     by_value
    .group_segment_fixed_size: 0
    .kernarg_segment_align: 8
    .kernarg_segment_size: 112
    .language:       OpenCL C
    .language_version:
      - 2
      - 0
    .max_flat_workgroup_size: 256
    .name:           _ZN7rocprim17ROCPRIM_400000_NS6detail17trampoline_kernelINS0_14default_configENS1_21merge_config_selectorINS0_5tupleIJiiEEENS0_10empty_typeEEEZNS1_10merge_implIS3_NS0_12zip_iteratorINS5_IJN6thrust23THRUST_200600_302600_NS6detail15normal_iteratorINSC_10device_ptrIKiEEEESI_EEEEESK_NSA_INS5_IJNSE_INSF_IiEEEESM_EEEEEPS7_SP_SP_NSC_11hip_rocprim7__merge17predicate_wrapperIiiNSC_7greaterIiEEEEEE10hipError_tPvRmT0_T1_T2_T3_T4_T5_mmT6_P12ihipStream_tbEUlT_E0_NS1_11comp_targetILNS1_3genE4ELNS1_11target_archE910ELNS1_3gpuE8ELNS1_3repE0EEENS1_30default_config_static_selectorELNS0_4arch9wavefront6targetE0EEEvS10_
    .private_segment_fixed_size: 0
    .sgpr_count:     0
    .sgpr_spill_count: 0
    .symbol:         _ZN7rocprim17ROCPRIM_400000_NS6detail17trampoline_kernelINS0_14default_configENS1_21merge_config_selectorINS0_5tupleIJiiEEENS0_10empty_typeEEEZNS1_10merge_implIS3_NS0_12zip_iteratorINS5_IJN6thrust23THRUST_200600_302600_NS6detail15normal_iteratorINSC_10device_ptrIKiEEEESI_EEEEESK_NSA_INS5_IJNSE_INSF_IiEEEESM_EEEEEPS7_SP_SP_NSC_11hip_rocprim7__merge17predicate_wrapperIiiNSC_7greaterIiEEEEEE10hipError_tPvRmT0_T1_T2_T3_T4_T5_mmT6_P12ihipStream_tbEUlT_E0_NS1_11comp_targetILNS1_3genE4ELNS1_11target_archE910ELNS1_3gpuE8ELNS1_3repE0EEENS1_30default_config_static_selectorELNS0_4arch9wavefront6targetE0EEEvS10_.kd
    .uniform_work_group_size: 1
    .uses_dynamic_stack: false
    .vgpr_count:     0
    .vgpr_spill_count: 0
    .wavefront_size: 32
  - .args:
      - .offset:         0
        .size:           112
        .value_kind:     by_value
    .group_segment_fixed_size: 0
    .kernarg_segment_align: 8
    .kernarg_segment_size: 112
    .language:       OpenCL C
    .language_version:
      - 2
      - 0
    .max_flat_workgroup_size: 256
    .name:           _ZN7rocprim17ROCPRIM_400000_NS6detail17trampoline_kernelINS0_14default_configENS1_21merge_config_selectorINS0_5tupleIJiiEEENS0_10empty_typeEEEZNS1_10merge_implIS3_NS0_12zip_iteratorINS5_IJN6thrust23THRUST_200600_302600_NS6detail15normal_iteratorINSC_10device_ptrIKiEEEESI_EEEEESK_NSA_INS5_IJNSE_INSF_IiEEEESM_EEEEEPS7_SP_SP_NSC_11hip_rocprim7__merge17predicate_wrapperIiiNSC_7greaterIiEEEEEE10hipError_tPvRmT0_T1_T2_T3_T4_T5_mmT6_P12ihipStream_tbEUlT_E0_NS1_11comp_targetILNS1_3genE3ELNS1_11target_archE908ELNS1_3gpuE7ELNS1_3repE0EEENS1_30default_config_static_selectorELNS0_4arch9wavefront6targetE0EEEvS10_
    .private_segment_fixed_size: 0
    .sgpr_count:     0
    .sgpr_spill_count: 0
    .symbol:         _ZN7rocprim17ROCPRIM_400000_NS6detail17trampoline_kernelINS0_14default_configENS1_21merge_config_selectorINS0_5tupleIJiiEEENS0_10empty_typeEEEZNS1_10merge_implIS3_NS0_12zip_iteratorINS5_IJN6thrust23THRUST_200600_302600_NS6detail15normal_iteratorINSC_10device_ptrIKiEEEESI_EEEEESK_NSA_INS5_IJNSE_INSF_IiEEEESM_EEEEEPS7_SP_SP_NSC_11hip_rocprim7__merge17predicate_wrapperIiiNSC_7greaterIiEEEEEE10hipError_tPvRmT0_T1_T2_T3_T4_T5_mmT6_P12ihipStream_tbEUlT_E0_NS1_11comp_targetILNS1_3genE3ELNS1_11target_archE908ELNS1_3gpuE7ELNS1_3repE0EEENS1_30default_config_static_selectorELNS0_4arch9wavefront6targetE0EEEvS10_.kd
    .uniform_work_group_size: 1
    .uses_dynamic_stack: false
    .vgpr_count:     0
    .vgpr_spill_count: 0
    .wavefront_size: 32
  - .args:
      - .offset:         0
        .size:           112
        .value_kind:     by_value
    .group_segment_fixed_size: 0
    .kernarg_segment_align: 8
    .kernarg_segment_size: 112
    .language:       OpenCL C
    .language_version:
      - 2
      - 0
    .max_flat_workgroup_size: 256
    .name:           _ZN7rocprim17ROCPRIM_400000_NS6detail17trampoline_kernelINS0_14default_configENS1_21merge_config_selectorINS0_5tupleIJiiEEENS0_10empty_typeEEEZNS1_10merge_implIS3_NS0_12zip_iteratorINS5_IJN6thrust23THRUST_200600_302600_NS6detail15normal_iteratorINSC_10device_ptrIKiEEEESI_EEEEESK_NSA_INS5_IJNSE_INSF_IiEEEESM_EEEEEPS7_SP_SP_NSC_11hip_rocprim7__merge17predicate_wrapperIiiNSC_7greaterIiEEEEEE10hipError_tPvRmT0_T1_T2_T3_T4_T5_mmT6_P12ihipStream_tbEUlT_E0_NS1_11comp_targetILNS1_3genE2ELNS1_11target_archE906ELNS1_3gpuE6ELNS1_3repE0EEENS1_30default_config_static_selectorELNS0_4arch9wavefront6targetE0EEEvS10_
    .private_segment_fixed_size: 0
    .sgpr_count:     0
    .sgpr_spill_count: 0
    .symbol:         _ZN7rocprim17ROCPRIM_400000_NS6detail17trampoline_kernelINS0_14default_configENS1_21merge_config_selectorINS0_5tupleIJiiEEENS0_10empty_typeEEEZNS1_10merge_implIS3_NS0_12zip_iteratorINS5_IJN6thrust23THRUST_200600_302600_NS6detail15normal_iteratorINSC_10device_ptrIKiEEEESI_EEEEESK_NSA_INS5_IJNSE_INSF_IiEEEESM_EEEEEPS7_SP_SP_NSC_11hip_rocprim7__merge17predicate_wrapperIiiNSC_7greaterIiEEEEEE10hipError_tPvRmT0_T1_T2_T3_T4_T5_mmT6_P12ihipStream_tbEUlT_E0_NS1_11comp_targetILNS1_3genE2ELNS1_11target_archE906ELNS1_3gpuE6ELNS1_3repE0EEENS1_30default_config_static_selectorELNS0_4arch9wavefront6targetE0EEEvS10_.kd
    .uniform_work_group_size: 1
    .uses_dynamic_stack: false
    .vgpr_count:     0
    .vgpr_spill_count: 0
    .wavefront_size: 32
  - .args:
      - .offset:         0
        .size:           112
        .value_kind:     by_value
    .group_segment_fixed_size: 0
    .kernarg_segment_align: 8
    .kernarg_segment_size: 112
    .language:       OpenCL C
    .language_version:
      - 2
      - 0
    .max_flat_workgroup_size: 512
    .name:           _ZN7rocprim17ROCPRIM_400000_NS6detail17trampoline_kernelINS0_14default_configENS1_21merge_config_selectorINS0_5tupleIJiiEEENS0_10empty_typeEEEZNS1_10merge_implIS3_NS0_12zip_iteratorINS5_IJN6thrust23THRUST_200600_302600_NS6detail15normal_iteratorINSC_10device_ptrIKiEEEESI_EEEEESK_NSA_INS5_IJNSE_INSF_IiEEEESM_EEEEEPS7_SP_SP_NSC_11hip_rocprim7__merge17predicate_wrapperIiiNSC_7greaterIiEEEEEE10hipError_tPvRmT0_T1_T2_T3_T4_T5_mmT6_P12ihipStream_tbEUlT_E0_NS1_11comp_targetILNS1_3genE10ELNS1_11target_archE1201ELNS1_3gpuE5ELNS1_3repE0EEENS1_30default_config_static_selectorELNS0_4arch9wavefront6targetE0EEEvS10_
    .private_segment_fixed_size: 0
    .sgpr_count:     0
    .sgpr_spill_count: 0
    .symbol:         _ZN7rocprim17ROCPRIM_400000_NS6detail17trampoline_kernelINS0_14default_configENS1_21merge_config_selectorINS0_5tupleIJiiEEENS0_10empty_typeEEEZNS1_10merge_implIS3_NS0_12zip_iteratorINS5_IJN6thrust23THRUST_200600_302600_NS6detail15normal_iteratorINSC_10device_ptrIKiEEEESI_EEEEESK_NSA_INS5_IJNSE_INSF_IiEEEESM_EEEEEPS7_SP_SP_NSC_11hip_rocprim7__merge17predicate_wrapperIiiNSC_7greaterIiEEEEEE10hipError_tPvRmT0_T1_T2_T3_T4_T5_mmT6_P12ihipStream_tbEUlT_E0_NS1_11comp_targetILNS1_3genE10ELNS1_11target_archE1201ELNS1_3gpuE5ELNS1_3repE0EEENS1_30default_config_static_selectorELNS0_4arch9wavefront6targetE0EEEvS10_.kd
    .uniform_work_group_size: 1
    .uses_dynamic_stack: false
    .vgpr_count:     0
    .vgpr_spill_count: 0
    .wavefront_size: 32
  - .args:
      - .offset:         0
        .size:           112
        .value_kind:     by_value
    .group_segment_fixed_size: 0
    .kernarg_segment_align: 8
    .kernarg_segment_size: 112
    .language:       OpenCL C
    .language_version:
      - 2
      - 0
    .max_flat_workgroup_size: 1024
    .name:           _ZN7rocprim17ROCPRIM_400000_NS6detail17trampoline_kernelINS0_14default_configENS1_21merge_config_selectorINS0_5tupleIJiiEEENS0_10empty_typeEEEZNS1_10merge_implIS3_NS0_12zip_iteratorINS5_IJN6thrust23THRUST_200600_302600_NS6detail15normal_iteratorINSC_10device_ptrIKiEEEESI_EEEEESK_NSA_INS5_IJNSE_INSF_IiEEEESM_EEEEEPS7_SP_SP_NSC_11hip_rocprim7__merge17predicate_wrapperIiiNSC_7greaterIiEEEEEE10hipError_tPvRmT0_T1_T2_T3_T4_T5_mmT6_P12ihipStream_tbEUlT_E0_NS1_11comp_targetILNS1_3genE10ELNS1_11target_archE1200ELNS1_3gpuE4ELNS1_3repE0EEENS1_30default_config_static_selectorELNS0_4arch9wavefront6targetE0EEEvS10_
    .private_segment_fixed_size: 0
    .sgpr_count:     0
    .sgpr_spill_count: 0
    .symbol:         _ZN7rocprim17ROCPRIM_400000_NS6detail17trampoline_kernelINS0_14default_configENS1_21merge_config_selectorINS0_5tupleIJiiEEENS0_10empty_typeEEEZNS1_10merge_implIS3_NS0_12zip_iteratorINS5_IJN6thrust23THRUST_200600_302600_NS6detail15normal_iteratorINSC_10device_ptrIKiEEEESI_EEEEESK_NSA_INS5_IJNSE_INSF_IiEEEESM_EEEEEPS7_SP_SP_NSC_11hip_rocprim7__merge17predicate_wrapperIiiNSC_7greaterIiEEEEEE10hipError_tPvRmT0_T1_T2_T3_T4_T5_mmT6_P12ihipStream_tbEUlT_E0_NS1_11comp_targetILNS1_3genE10ELNS1_11target_archE1200ELNS1_3gpuE4ELNS1_3repE0EEENS1_30default_config_static_selectorELNS0_4arch9wavefront6targetE0EEEvS10_.kd
    .uniform_work_group_size: 1
    .uses_dynamic_stack: false
    .vgpr_count:     0
    .vgpr_spill_count: 0
    .wavefront_size: 32
  - .args:
      - .offset:         0
        .size:           112
        .value_kind:     by_value
    .group_segment_fixed_size: 0
    .kernarg_segment_align: 8
    .kernarg_segment_size: 112
    .language:       OpenCL C
    .language_version:
      - 2
      - 0
    .max_flat_workgroup_size: 1024
    .name:           _ZN7rocprim17ROCPRIM_400000_NS6detail17trampoline_kernelINS0_14default_configENS1_21merge_config_selectorINS0_5tupleIJiiEEENS0_10empty_typeEEEZNS1_10merge_implIS3_NS0_12zip_iteratorINS5_IJN6thrust23THRUST_200600_302600_NS6detail15normal_iteratorINSC_10device_ptrIKiEEEESI_EEEEESK_NSA_INS5_IJNSE_INSF_IiEEEESM_EEEEEPS7_SP_SP_NSC_11hip_rocprim7__merge17predicate_wrapperIiiNSC_7greaterIiEEEEEE10hipError_tPvRmT0_T1_T2_T3_T4_T5_mmT6_P12ihipStream_tbEUlT_E0_NS1_11comp_targetILNS1_3genE9ELNS1_11target_archE1100ELNS1_3gpuE3ELNS1_3repE0EEENS1_30default_config_static_selectorELNS0_4arch9wavefront6targetE0EEEvS10_
    .private_segment_fixed_size: 0
    .sgpr_count:     0
    .sgpr_spill_count: 0
    .symbol:         _ZN7rocprim17ROCPRIM_400000_NS6detail17trampoline_kernelINS0_14default_configENS1_21merge_config_selectorINS0_5tupleIJiiEEENS0_10empty_typeEEEZNS1_10merge_implIS3_NS0_12zip_iteratorINS5_IJN6thrust23THRUST_200600_302600_NS6detail15normal_iteratorINSC_10device_ptrIKiEEEESI_EEEEESK_NSA_INS5_IJNSE_INSF_IiEEEESM_EEEEEPS7_SP_SP_NSC_11hip_rocprim7__merge17predicate_wrapperIiiNSC_7greaterIiEEEEEE10hipError_tPvRmT0_T1_T2_T3_T4_T5_mmT6_P12ihipStream_tbEUlT_E0_NS1_11comp_targetILNS1_3genE9ELNS1_11target_archE1100ELNS1_3gpuE3ELNS1_3repE0EEENS1_30default_config_static_selectorELNS0_4arch9wavefront6targetE0EEEvS10_.kd
    .uniform_work_group_size: 1
    .uses_dynamic_stack: false
    .vgpr_count:     0
    .vgpr_spill_count: 0
    .wavefront_size: 32
  - .args:
      - .offset:         0
        .size:           112
        .value_kind:     by_value
    .group_segment_fixed_size: 0
    .kernarg_segment_align: 8
    .kernarg_segment_size: 112
    .language:       OpenCL C
    .language_version:
      - 2
      - 0
    .max_flat_workgroup_size: 256
    .name:           _ZN7rocprim17ROCPRIM_400000_NS6detail17trampoline_kernelINS0_14default_configENS1_21merge_config_selectorINS0_5tupleIJiiEEENS0_10empty_typeEEEZNS1_10merge_implIS3_NS0_12zip_iteratorINS5_IJN6thrust23THRUST_200600_302600_NS6detail15normal_iteratorINSC_10device_ptrIKiEEEESI_EEEEESK_NSA_INS5_IJNSE_INSF_IiEEEESM_EEEEEPS7_SP_SP_NSC_11hip_rocprim7__merge17predicate_wrapperIiiNSC_7greaterIiEEEEEE10hipError_tPvRmT0_T1_T2_T3_T4_T5_mmT6_P12ihipStream_tbEUlT_E0_NS1_11comp_targetILNS1_3genE8ELNS1_11target_archE1030ELNS1_3gpuE2ELNS1_3repE0EEENS1_30default_config_static_selectorELNS0_4arch9wavefront6targetE0EEEvS10_
    .private_segment_fixed_size: 0
    .sgpr_count:     0
    .sgpr_spill_count: 0
    .symbol:         _ZN7rocprim17ROCPRIM_400000_NS6detail17trampoline_kernelINS0_14default_configENS1_21merge_config_selectorINS0_5tupleIJiiEEENS0_10empty_typeEEEZNS1_10merge_implIS3_NS0_12zip_iteratorINS5_IJN6thrust23THRUST_200600_302600_NS6detail15normal_iteratorINSC_10device_ptrIKiEEEESI_EEEEESK_NSA_INS5_IJNSE_INSF_IiEEEESM_EEEEEPS7_SP_SP_NSC_11hip_rocprim7__merge17predicate_wrapperIiiNSC_7greaterIiEEEEEE10hipError_tPvRmT0_T1_T2_T3_T4_T5_mmT6_P12ihipStream_tbEUlT_E0_NS1_11comp_targetILNS1_3genE8ELNS1_11target_archE1030ELNS1_3gpuE2ELNS1_3repE0EEENS1_30default_config_static_selectorELNS0_4arch9wavefront6targetE0EEEvS10_.kd
    .uniform_work_group_size: 1
    .uses_dynamic_stack: false
    .vgpr_count:     0
    .vgpr_spill_count: 0
    .wavefront_size: 32
  - .args:
      - .offset:         0
        .size:           64
        .value_kind:     by_value
      - .offset:         64
        .size:           4
        .value_kind:     hidden_block_count_x
      - .offset:         68
        .size:           4
        .value_kind:     hidden_block_count_y
      - .offset:         72
        .size:           4
        .value_kind:     hidden_block_count_z
      - .offset:         76
        .size:           2
        .value_kind:     hidden_group_size_x
      - .offset:         78
        .size:           2
        .value_kind:     hidden_group_size_y
      - .offset:         80
        .size:           2
        .value_kind:     hidden_group_size_z
      - .offset:         82
        .size:           2
        .value_kind:     hidden_remainder_x
      - .offset:         84
        .size:           2
        .value_kind:     hidden_remainder_y
      - .offset:         86
        .size:           2
        .value_kind:     hidden_remainder_z
      - .offset:         104
        .size:           8
        .value_kind:     hidden_global_offset_x
      - .offset:         112
        .size:           8
        .value_kind:     hidden_global_offset_y
      - .offset:         120
        .size:           8
        .value_kind:     hidden_global_offset_z
      - .offset:         128
        .size:           2
        .value_kind:     hidden_grid_dims
    .group_segment_fixed_size: 0
    .kernarg_segment_align: 8
    .kernarg_segment_size: 320
    .language:       OpenCL C
    .language_version:
      - 2
      - 0
    .max_flat_workgroup_size: 256
    .name:           _ZN7rocprim17ROCPRIM_400000_NS6detail17trampoline_kernelINS0_14default_configENS1_21merge_config_selectorINS0_5tupleIJssEEENS0_10empty_typeEEEZNS1_10merge_implIS3_NS0_12zip_iteratorINS5_IJN6thrust23THRUST_200600_302600_NS6detail15normal_iteratorINSC_10device_ptrIKsEEEESI_EEEEESK_NSA_INS5_IJNSE_INSF_IsEEEESM_EEEEEPS7_SP_SP_NSC_11hip_rocprim7__merge17predicate_wrapperIssNSC_7greaterIsEEEEEE10hipError_tPvRmT0_T1_T2_T3_T4_T5_mmT6_P12ihipStream_tbEUlT_E_NS1_11comp_targetILNS1_3genE0ELNS1_11target_archE4294967295ELNS1_3gpuE0ELNS1_3repE0EEENS1_30default_config_static_selectorELNS0_4arch9wavefront6targetE0EEEvS10_
    .private_segment_fixed_size: 0
    .sgpr_count:     16
    .sgpr_spill_count: 0
    .symbol:         _ZN7rocprim17ROCPRIM_400000_NS6detail17trampoline_kernelINS0_14default_configENS1_21merge_config_selectorINS0_5tupleIJssEEENS0_10empty_typeEEEZNS1_10merge_implIS3_NS0_12zip_iteratorINS5_IJN6thrust23THRUST_200600_302600_NS6detail15normal_iteratorINSC_10device_ptrIKsEEEESI_EEEEESK_NSA_INS5_IJNSE_INSF_IsEEEESM_EEEEEPS7_SP_SP_NSC_11hip_rocprim7__merge17predicate_wrapperIssNSC_7greaterIsEEEEEE10hipError_tPvRmT0_T1_T2_T3_T4_T5_mmT6_P12ihipStream_tbEUlT_E_NS1_11comp_targetILNS1_3genE0ELNS1_11target_archE4294967295ELNS1_3gpuE0ELNS1_3repE0EEENS1_30default_config_static_selectorELNS0_4arch9wavefront6targetE0EEEvS10_.kd
    .uniform_work_group_size: 1
    .uses_dynamic_stack: false
    .vgpr_count:     15
    .vgpr_spill_count: 0
    .wavefront_size: 32
  - .args:
      - .offset:         0
        .size:           64
        .value_kind:     by_value
    .group_segment_fixed_size: 0
    .kernarg_segment_align: 8
    .kernarg_segment_size: 64
    .language:       OpenCL C
    .language_version:
      - 2
      - 0
    .max_flat_workgroup_size: 256
    .name:           _ZN7rocprim17ROCPRIM_400000_NS6detail17trampoline_kernelINS0_14default_configENS1_21merge_config_selectorINS0_5tupleIJssEEENS0_10empty_typeEEEZNS1_10merge_implIS3_NS0_12zip_iteratorINS5_IJN6thrust23THRUST_200600_302600_NS6detail15normal_iteratorINSC_10device_ptrIKsEEEESI_EEEEESK_NSA_INS5_IJNSE_INSF_IsEEEESM_EEEEEPS7_SP_SP_NSC_11hip_rocprim7__merge17predicate_wrapperIssNSC_7greaterIsEEEEEE10hipError_tPvRmT0_T1_T2_T3_T4_T5_mmT6_P12ihipStream_tbEUlT_E_NS1_11comp_targetILNS1_3genE5ELNS1_11target_archE942ELNS1_3gpuE9ELNS1_3repE0EEENS1_30default_config_static_selectorELNS0_4arch9wavefront6targetE0EEEvS10_
    .private_segment_fixed_size: 0
    .sgpr_count:     0
    .sgpr_spill_count: 0
    .symbol:         _ZN7rocprim17ROCPRIM_400000_NS6detail17trampoline_kernelINS0_14default_configENS1_21merge_config_selectorINS0_5tupleIJssEEENS0_10empty_typeEEEZNS1_10merge_implIS3_NS0_12zip_iteratorINS5_IJN6thrust23THRUST_200600_302600_NS6detail15normal_iteratorINSC_10device_ptrIKsEEEESI_EEEEESK_NSA_INS5_IJNSE_INSF_IsEEEESM_EEEEEPS7_SP_SP_NSC_11hip_rocprim7__merge17predicate_wrapperIssNSC_7greaterIsEEEEEE10hipError_tPvRmT0_T1_T2_T3_T4_T5_mmT6_P12ihipStream_tbEUlT_E_NS1_11comp_targetILNS1_3genE5ELNS1_11target_archE942ELNS1_3gpuE9ELNS1_3repE0EEENS1_30default_config_static_selectorELNS0_4arch9wavefront6targetE0EEEvS10_.kd
    .uniform_work_group_size: 1
    .uses_dynamic_stack: false
    .vgpr_count:     0
    .vgpr_spill_count: 0
    .wavefront_size: 32
  - .args:
      - .offset:         0
        .size:           64
        .value_kind:     by_value
    .group_segment_fixed_size: 0
    .kernarg_segment_align: 8
    .kernarg_segment_size: 64
    .language:       OpenCL C
    .language_version:
      - 2
      - 0
    .max_flat_workgroup_size: 256
    .name:           _ZN7rocprim17ROCPRIM_400000_NS6detail17trampoline_kernelINS0_14default_configENS1_21merge_config_selectorINS0_5tupleIJssEEENS0_10empty_typeEEEZNS1_10merge_implIS3_NS0_12zip_iteratorINS5_IJN6thrust23THRUST_200600_302600_NS6detail15normal_iteratorINSC_10device_ptrIKsEEEESI_EEEEESK_NSA_INS5_IJNSE_INSF_IsEEEESM_EEEEEPS7_SP_SP_NSC_11hip_rocprim7__merge17predicate_wrapperIssNSC_7greaterIsEEEEEE10hipError_tPvRmT0_T1_T2_T3_T4_T5_mmT6_P12ihipStream_tbEUlT_E_NS1_11comp_targetILNS1_3genE4ELNS1_11target_archE910ELNS1_3gpuE8ELNS1_3repE0EEENS1_30default_config_static_selectorELNS0_4arch9wavefront6targetE0EEEvS10_
    .private_segment_fixed_size: 0
    .sgpr_count:     0
    .sgpr_spill_count: 0
    .symbol:         _ZN7rocprim17ROCPRIM_400000_NS6detail17trampoline_kernelINS0_14default_configENS1_21merge_config_selectorINS0_5tupleIJssEEENS0_10empty_typeEEEZNS1_10merge_implIS3_NS0_12zip_iteratorINS5_IJN6thrust23THRUST_200600_302600_NS6detail15normal_iteratorINSC_10device_ptrIKsEEEESI_EEEEESK_NSA_INS5_IJNSE_INSF_IsEEEESM_EEEEEPS7_SP_SP_NSC_11hip_rocprim7__merge17predicate_wrapperIssNSC_7greaterIsEEEEEE10hipError_tPvRmT0_T1_T2_T3_T4_T5_mmT6_P12ihipStream_tbEUlT_E_NS1_11comp_targetILNS1_3genE4ELNS1_11target_archE910ELNS1_3gpuE8ELNS1_3repE0EEENS1_30default_config_static_selectorELNS0_4arch9wavefront6targetE0EEEvS10_.kd
    .uniform_work_group_size: 1
    .uses_dynamic_stack: false
    .vgpr_count:     0
    .vgpr_spill_count: 0
    .wavefront_size: 32
  - .args:
      - .offset:         0
        .size:           64
        .value_kind:     by_value
    .group_segment_fixed_size: 0
    .kernarg_segment_align: 8
    .kernarg_segment_size: 64
    .language:       OpenCL C
    .language_version:
      - 2
      - 0
    .max_flat_workgroup_size: 256
    .name:           _ZN7rocprim17ROCPRIM_400000_NS6detail17trampoline_kernelINS0_14default_configENS1_21merge_config_selectorINS0_5tupleIJssEEENS0_10empty_typeEEEZNS1_10merge_implIS3_NS0_12zip_iteratorINS5_IJN6thrust23THRUST_200600_302600_NS6detail15normal_iteratorINSC_10device_ptrIKsEEEESI_EEEEESK_NSA_INS5_IJNSE_INSF_IsEEEESM_EEEEEPS7_SP_SP_NSC_11hip_rocprim7__merge17predicate_wrapperIssNSC_7greaterIsEEEEEE10hipError_tPvRmT0_T1_T2_T3_T4_T5_mmT6_P12ihipStream_tbEUlT_E_NS1_11comp_targetILNS1_3genE3ELNS1_11target_archE908ELNS1_3gpuE7ELNS1_3repE0EEENS1_30default_config_static_selectorELNS0_4arch9wavefront6targetE0EEEvS10_
    .private_segment_fixed_size: 0
    .sgpr_count:     0
    .sgpr_spill_count: 0
    .symbol:         _ZN7rocprim17ROCPRIM_400000_NS6detail17trampoline_kernelINS0_14default_configENS1_21merge_config_selectorINS0_5tupleIJssEEENS0_10empty_typeEEEZNS1_10merge_implIS3_NS0_12zip_iteratorINS5_IJN6thrust23THRUST_200600_302600_NS6detail15normal_iteratorINSC_10device_ptrIKsEEEESI_EEEEESK_NSA_INS5_IJNSE_INSF_IsEEEESM_EEEEEPS7_SP_SP_NSC_11hip_rocprim7__merge17predicate_wrapperIssNSC_7greaterIsEEEEEE10hipError_tPvRmT0_T1_T2_T3_T4_T5_mmT6_P12ihipStream_tbEUlT_E_NS1_11comp_targetILNS1_3genE3ELNS1_11target_archE908ELNS1_3gpuE7ELNS1_3repE0EEENS1_30default_config_static_selectorELNS0_4arch9wavefront6targetE0EEEvS10_.kd
    .uniform_work_group_size: 1
    .uses_dynamic_stack: false
    .vgpr_count:     0
    .vgpr_spill_count: 0
    .wavefront_size: 32
  - .args:
      - .offset:         0
        .size:           64
        .value_kind:     by_value
    .group_segment_fixed_size: 0
    .kernarg_segment_align: 8
    .kernarg_segment_size: 64
    .language:       OpenCL C
    .language_version:
      - 2
      - 0
    .max_flat_workgroup_size: 256
    .name:           _ZN7rocprim17ROCPRIM_400000_NS6detail17trampoline_kernelINS0_14default_configENS1_21merge_config_selectorINS0_5tupleIJssEEENS0_10empty_typeEEEZNS1_10merge_implIS3_NS0_12zip_iteratorINS5_IJN6thrust23THRUST_200600_302600_NS6detail15normal_iteratorINSC_10device_ptrIKsEEEESI_EEEEESK_NSA_INS5_IJNSE_INSF_IsEEEESM_EEEEEPS7_SP_SP_NSC_11hip_rocprim7__merge17predicate_wrapperIssNSC_7greaterIsEEEEEE10hipError_tPvRmT0_T1_T2_T3_T4_T5_mmT6_P12ihipStream_tbEUlT_E_NS1_11comp_targetILNS1_3genE2ELNS1_11target_archE906ELNS1_3gpuE6ELNS1_3repE0EEENS1_30default_config_static_selectorELNS0_4arch9wavefront6targetE0EEEvS10_
    .private_segment_fixed_size: 0
    .sgpr_count:     0
    .sgpr_spill_count: 0
    .symbol:         _ZN7rocprim17ROCPRIM_400000_NS6detail17trampoline_kernelINS0_14default_configENS1_21merge_config_selectorINS0_5tupleIJssEEENS0_10empty_typeEEEZNS1_10merge_implIS3_NS0_12zip_iteratorINS5_IJN6thrust23THRUST_200600_302600_NS6detail15normal_iteratorINSC_10device_ptrIKsEEEESI_EEEEESK_NSA_INS5_IJNSE_INSF_IsEEEESM_EEEEEPS7_SP_SP_NSC_11hip_rocprim7__merge17predicate_wrapperIssNSC_7greaterIsEEEEEE10hipError_tPvRmT0_T1_T2_T3_T4_T5_mmT6_P12ihipStream_tbEUlT_E_NS1_11comp_targetILNS1_3genE2ELNS1_11target_archE906ELNS1_3gpuE6ELNS1_3repE0EEENS1_30default_config_static_selectorELNS0_4arch9wavefront6targetE0EEEvS10_.kd
    .uniform_work_group_size: 1
    .uses_dynamic_stack: false
    .vgpr_count:     0
    .vgpr_spill_count: 0
    .wavefront_size: 32
  - .args:
      - .offset:         0
        .size:           64
        .value_kind:     by_value
    .group_segment_fixed_size: 0
    .kernarg_segment_align: 8
    .kernarg_segment_size: 64
    .language:       OpenCL C
    .language_version:
      - 2
      - 0
    .max_flat_workgroup_size: 1024
    .name:           _ZN7rocprim17ROCPRIM_400000_NS6detail17trampoline_kernelINS0_14default_configENS1_21merge_config_selectorINS0_5tupleIJssEEENS0_10empty_typeEEEZNS1_10merge_implIS3_NS0_12zip_iteratorINS5_IJN6thrust23THRUST_200600_302600_NS6detail15normal_iteratorINSC_10device_ptrIKsEEEESI_EEEEESK_NSA_INS5_IJNSE_INSF_IsEEEESM_EEEEEPS7_SP_SP_NSC_11hip_rocprim7__merge17predicate_wrapperIssNSC_7greaterIsEEEEEE10hipError_tPvRmT0_T1_T2_T3_T4_T5_mmT6_P12ihipStream_tbEUlT_E_NS1_11comp_targetILNS1_3genE10ELNS1_11target_archE1201ELNS1_3gpuE5ELNS1_3repE0EEENS1_30default_config_static_selectorELNS0_4arch9wavefront6targetE0EEEvS10_
    .private_segment_fixed_size: 0
    .sgpr_count:     0
    .sgpr_spill_count: 0
    .symbol:         _ZN7rocprim17ROCPRIM_400000_NS6detail17trampoline_kernelINS0_14default_configENS1_21merge_config_selectorINS0_5tupleIJssEEENS0_10empty_typeEEEZNS1_10merge_implIS3_NS0_12zip_iteratorINS5_IJN6thrust23THRUST_200600_302600_NS6detail15normal_iteratorINSC_10device_ptrIKsEEEESI_EEEEESK_NSA_INS5_IJNSE_INSF_IsEEEESM_EEEEEPS7_SP_SP_NSC_11hip_rocprim7__merge17predicate_wrapperIssNSC_7greaterIsEEEEEE10hipError_tPvRmT0_T1_T2_T3_T4_T5_mmT6_P12ihipStream_tbEUlT_E_NS1_11comp_targetILNS1_3genE10ELNS1_11target_archE1201ELNS1_3gpuE5ELNS1_3repE0EEENS1_30default_config_static_selectorELNS0_4arch9wavefront6targetE0EEEvS10_.kd
    .uniform_work_group_size: 1
    .uses_dynamic_stack: false
    .vgpr_count:     0
    .vgpr_spill_count: 0
    .wavefront_size: 32
  - .args:
      - .offset:         0
        .size:           64
        .value_kind:     by_value
    .group_segment_fixed_size: 0
    .kernarg_segment_align: 8
    .kernarg_segment_size: 64
    .language:       OpenCL C
    .language_version:
      - 2
      - 0
    .max_flat_workgroup_size: 1024
    .name:           _ZN7rocprim17ROCPRIM_400000_NS6detail17trampoline_kernelINS0_14default_configENS1_21merge_config_selectorINS0_5tupleIJssEEENS0_10empty_typeEEEZNS1_10merge_implIS3_NS0_12zip_iteratorINS5_IJN6thrust23THRUST_200600_302600_NS6detail15normal_iteratorINSC_10device_ptrIKsEEEESI_EEEEESK_NSA_INS5_IJNSE_INSF_IsEEEESM_EEEEEPS7_SP_SP_NSC_11hip_rocprim7__merge17predicate_wrapperIssNSC_7greaterIsEEEEEE10hipError_tPvRmT0_T1_T2_T3_T4_T5_mmT6_P12ihipStream_tbEUlT_E_NS1_11comp_targetILNS1_3genE10ELNS1_11target_archE1200ELNS1_3gpuE4ELNS1_3repE0EEENS1_30default_config_static_selectorELNS0_4arch9wavefront6targetE0EEEvS10_
    .private_segment_fixed_size: 0
    .sgpr_count:     0
    .sgpr_spill_count: 0
    .symbol:         _ZN7rocprim17ROCPRIM_400000_NS6detail17trampoline_kernelINS0_14default_configENS1_21merge_config_selectorINS0_5tupleIJssEEENS0_10empty_typeEEEZNS1_10merge_implIS3_NS0_12zip_iteratorINS5_IJN6thrust23THRUST_200600_302600_NS6detail15normal_iteratorINSC_10device_ptrIKsEEEESI_EEEEESK_NSA_INS5_IJNSE_INSF_IsEEEESM_EEEEEPS7_SP_SP_NSC_11hip_rocprim7__merge17predicate_wrapperIssNSC_7greaterIsEEEEEE10hipError_tPvRmT0_T1_T2_T3_T4_T5_mmT6_P12ihipStream_tbEUlT_E_NS1_11comp_targetILNS1_3genE10ELNS1_11target_archE1200ELNS1_3gpuE4ELNS1_3repE0EEENS1_30default_config_static_selectorELNS0_4arch9wavefront6targetE0EEEvS10_.kd
    .uniform_work_group_size: 1
    .uses_dynamic_stack: false
    .vgpr_count:     0
    .vgpr_spill_count: 0
    .wavefront_size: 32
  - .args:
      - .offset:         0
        .size:           64
        .value_kind:     by_value
    .group_segment_fixed_size: 0
    .kernarg_segment_align: 8
    .kernarg_segment_size: 64
    .language:       OpenCL C
    .language_version:
      - 2
      - 0
    .max_flat_workgroup_size: 1024
    .name:           _ZN7rocprim17ROCPRIM_400000_NS6detail17trampoline_kernelINS0_14default_configENS1_21merge_config_selectorINS0_5tupleIJssEEENS0_10empty_typeEEEZNS1_10merge_implIS3_NS0_12zip_iteratorINS5_IJN6thrust23THRUST_200600_302600_NS6detail15normal_iteratorINSC_10device_ptrIKsEEEESI_EEEEESK_NSA_INS5_IJNSE_INSF_IsEEEESM_EEEEEPS7_SP_SP_NSC_11hip_rocprim7__merge17predicate_wrapperIssNSC_7greaterIsEEEEEE10hipError_tPvRmT0_T1_T2_T3_T4_T5_mmT6_P12ihipStream_tbEUlT_E_NS1_11comp_targetILNS1_3genE9ELNS1_11target_archE1100ELNS1_3gpuE3ELNS1_3repE0EEENS1_30default_config_static_selectorELNS0_4arch9wavefront6targetE0EEEvS10_
    .private_segment_fixed_size: 0
    .sgpr_count:     0
    .sgpr_spill_count: 0
    .symbol:         _ZN7rocprim17ROCPRIM_400000_NS6detail17trampoline_kernelINS0_14default_configENS1_21merge_config_selectorINS0_5tupleIJssEEENS0_10empty_typeEEEZNS1_10merge_implIS3_NS0_12zip_iteratorINS5_IJN6thrust23THRUST_200600_302600_NS6detail15normal_iteratorINSC_10device_ptrIKsEEEESI_EEEEESK_NSA_INS5_IJNSE_INSF_IsEEEESM_EEEEEPS7_SP_SP_NSC_11hip_rocprim7__merge17predicate_wrapperIssNSC_7greaterIsEEEEEE10hipError_tPvRmT0_T1_T2_T3_T4_T5_mmT6_P12ihipStream_tbEUlT_E_NS1_11comp_targetILNS1_3genE9ELNS1_11target_archE1100ELNS1_3gpuE3ELNS1_3repE0EEENS1_30default_config_static_selectorELNS0_4arch9wavefront6targetE0EEEvS10_.kd
    .uniform_work_group_size: 1
    .uses_dynamic_stack: false
    .vgpr_count:     0
    .vgpr_spill_count: 0
    .wavefront_size: 32
  - .args:
      - .offset:         0
        .size:           64
        .value_kind:     by_value
    .group_segment_fixed_size: 0
    .kernarg_segment_align: 8
    .kernarg_segment_size: 64
    .language:       OpenCL C
    .language_version:
      - 2
      - 0
    .max_flat_workgroup_size: 1024
    .name:           _ZN7rocprim17ROCPRIM_400000_NS6detail17trampoline_kernelINS0_14default_configENS1_21merge_config_selectorINS0_5tupleIJssEEENS0_10empty_typeEEEZNS1_10merge_implIS3_NS0_12zip_iteratorINS5_IJN6thrust23THRUST_200600_302600_NS6detail15normal_iteratorINSC_10device_ptrIKsEEEESI_EEEEESK_NSA_INS5_IJNSE_INSF_IsEEEESM_EEEEEPS7_SP_SP_NSC_11hip_rocprim7__merge17predicate_wrapperIssNSC_7greaterIsEEEEEE10hipError_tPvRmT0_T1_T2_T3_T4_T5_mmT6_P12ihipStream_tbEUlT_E_NS1_11comp_targetILNS1_3genE8ELNS1_11target_archE1030ELNS1_3gpuE2ELNS1_3repE0EEENS1_30default_config_static_selectorELNS0_4arch9wavefront6targetE0EEEvS10_
    .private_segment_fixed_size: 0
    .sgpr_count:     0
    .sgpr_spill_count: 0
    .symbol:         _ZN7rocprim17ROCPRIM_400000_NS6detail17trampoline_kernelINS0_14default_configENS1_21merge_config_selectorINS0_5tupleIJssEEENS0_10empty_typeEEEZNS1_10merge_implIS3_NS0_12zip_iteratorINS5_IJN6thrust23THRUST_200600_302600_NS6detail15normal_iteratorINSC_10device_ptrIKsEEEESI_EEEEESK_NSA_INS5_IJNSE_INSF_IsEEEESM_EEEEEPS7_SP_SP_NSC_11hip_rocprim7__merge17predicate_wrapperIssNSC_7greaterIsEEEEEE10hipError_tPvRmT0_T1_T2_T3_T4_T5_mmT6_P12ihipStream_tbEUlT_E_NS1_11comp_targetILNS1_3genE8ELNS1_11target_archE1030ELNS1_3gpuE2ELNS1_3repE0EEENS1_30default_config_static_selectorELNS0_4arch9wavefront6targetE0EEEvS10_.kd
    .uniform_work_group_size: 1
    .uses_dynamic_stack: false
    .vgpr_count:     0
    .vgpr_spill_count: 0
    .wavefront_size: 32
  - .args:
      - .offset:         0
        .size:           112
        .value_kind:     by_value
    .group_segment_fixed_size: 10256
    .kernarg_segment_align: 8
    .kernarg_segment_size: 112
    .language:       OpenCL C
    .language_version:
      - 2
      - 0
    .max_flat_workgroup_size: 256
    .name:           _ZN7rocprim17ROCPRIM_400000_NS6detail17trampoline_kernelINS0_14default_configENS1_21merge_config_selectorINS0_5tupleIJssEEENS0_10empty_typeEEEZNS1_10merge_implIS3_NS0_12zip_iteratorINS5_IJN6thrust23THRUST_200600_302600_NS6detail15normal_iteratorINSC_10device_ptrIKsEEEESI_EEEEESK_NSA_INS5_IJNSE_INSF_IsEEEESM_EEEEEPS7_SP_SP_NSC_11hip_rocprim7__merge17predicate_wrapperIssNSC_7greaterIsEEEEEE10hipError_tPvRmT0_T1_T2_T3_T4_T5_mmT6_P12ihipStream_tbEUlT_E0_NS1_11comp_targetILNS1_3genE0ELNS1_11target_archE4294967295ELNS1_3gpuE0ELNS1_3repE0EEENS1_30default_config_static_selectorELNS0_4arch9wavefront6targetE0EEEvS10_
    .private_segment_fixed_size: 0
    .sgpr_count:     28
    .sgpr_spill_count: 0
    .symbol:         _ZN7rocprim17ROCPRIM_400000_NS6detail17trampoline_kernelINS0_14default_configENS1_21merge_config_selectorINS0_5tupleIJssEEENS0_10empty_typeEEEZNS1_10merge_implIS3_NS0_12zip_iteratorINS5_IJN6thrust23THRUST_200600_302600_NS6detail15normal_iteratorINSC_10device_ptrIKsEEEESI_EEEEESK_NSA_INS5_IJNSE_INSF_IsEEEESM_EEEEEPS7_SP_SP_NSC_11hip_rocprim7__merge17predicate_wrapperIssNSC_7greaterIsEEEEEE10hipError_tPvRmT0_T1_T2_T3_T4_T5_mmT6_P12ihipStream_tbEUlT_E0_NS1_11comp_targetILNS1_3genE0ELNS1_11target_archE4294967295ELNS1_3gpuE0ELNS1_3repE0EEENS1_30default_config_static_selectorELNS0_4arch9wavefront6targetE0EEEvS10_.kd
    .uniform_work_group_size: 1
    .uses_dynamic_stack: false
    .vgpr_count:     43
    .vgpr_spill_count: 0
    .wavefront_size: 32
  - .args:
      - .offset:         0
        .size:           112
        .value_kind:     by_value
    .group_segment_fixed_size: 0
    .kernarg_segment_align: 8
    .kernarg_segment_size: 112
    .language:       OpenCL C
    .language_version:
      - 2
      - 0
    .max_flat_workgroup_size: 256
    .name:           _ZN7rocprim17ROCPRIM_400000_NS6detail17trampoline_kernelINS0_14default_configENS1_21merge_config_selectorINS0_5tupleIJssEEENS0_10empty_typeEEEZNS1_10merge_implIS3_NS0_12zip_iteratorINS5_IJN6thrust23THRUST_200600_302600_NS6detail15normal_iteratorINSC_10device_ptrIKsEEEESI_EEEEESK_NSA_INS5_IJNSE_INSF_IsEEEESM_EEEEEPS7_SP_SP_NSC_11hip_rocprim7__merge17predicate_wrapperIssNSC_7greaterIsEEEEEE10hipError_tPvRmT0_T1_T2_T3_T4_T5_mmT6_P12ihipStream_tbEUlT_E0_NS1_11comp_targetILNS1_3genE5ELNS1_11target_archE942ELNS1_3gpuE9ELNS1_3repE0EEENS1_30default_config_static_selectorELNS0_4arch9wavefront6targetE0EEEvS10_
    .private_segment_fixed_size: 0
    .sgpr_count:     0
    .sgpr_spill_count: 0
    .symbol:         _ZN7rocprim17ROCPRIM_400000_NS6detail17trampoline_kernelINS0_14default_configENS1_21merge_config_selectorINS0_5tupleIJssEEENS0_10empty_typeEEEZNS1_10merge_implIS3_NS0_12zip_iteratorINS5_IJN6thrust23THRUST_200600_302600_NS6detail15normal_iteratorINSC_10device_ptrIKsEEEESI_EEEEESK_NSA_INS5_IJNSE_INSF_IsEEEESM_EEEEEPS7_SP_SP_NSC_11hip_rocprim7__merge17predicate_wrapperIssNSC_7greaterIsEEEEEE10hipError_tPvRmT0_T1_T2_T3_T4_T5_mmT6_P12ihipStream_tbEUlT_E0_NS1_11comp_targetILNS1_3genE5ELNS1_11target_archE942ELNS1_3gpuE9ELNS1_3repE0EEENS1_30default_config_static_selectorELNS0_4arch9wavefront6targetE0EEEvS10_.kd
    .uniform_work_group_size: 1
    .uses_dynamic_stack: false
    .vgpr_count:     0
    .vgpr_spill_count: 0
    .wavefront_size: 32
  - .args:
      - .offset:         0
        .size:           112
        .value_kind:     by_value
    .group_segment_fixed_size: 0
    .kernarg_segment_align: 8
    .kernarg_segment_size: 112
    .language:       OpenCL C
    .language_version:
      - 2
      - 0
    .max_flat_workgroup_size: 256
    .name:           _ZN7rocprim17ROCPRIM_400000_NS6detail17trampoline_kernelINS0_14default_configENS1_21merge_config_selectorINS0_5tupleIJssEEENS0_10empty_typeEEEZNS1_10merge_implIS3_NS0_12zip_iteratorINS5_IJN6thrust23THRUST_200600_302600_NS6detail15normal_iteratorINSC_10device_ptrIKsEEEESI_EEEEESK_NSA_INS5_IJNSE_INSF_IsEEEESM_EEEEEPS7_SP_SP_NSC_11hip_rocprim7__merge17predicate_wrapperIssNSC_7greaterIsEEEEEE10hipError_tPvRmT0_T1_T2_T3_T4_T5_mmT6_P12ihipStream_tbEUlT_E0_NS1_11comp_targetILNS1_3genE4ELNS1_11target_archE910ELNS1_3gpuE8ELNS1_3repE0EEENS1_30default_config_static_selectorELNS0_4arch9wavefront6targetE0EEEvS10_
    .private_segment_fixed_size: 0
    .sgpr_count:     0
    .sgpr_spill_count: 0
    .symbol:         _ZN7rocprim17ROCPRIM_400000_NS6detail17trampoline_kernelINS0_14default_configENS1_21merge_config_selectorINS0_5tupleIJssEEENS0_10empty_typeEEEZNS1_10merge_implIS3_NS0_12zip_iteratorINS5_IJN6thrust23THRUST_200600_302600_NS6detail15normal_iteratorINSC_10device_ptrIKsEEEESI_EEEEESK_NSA_INS5_IJNSE_INSF_IsEEEESM_EEEEEPS7_SP_SP_NSC_11hip_rocprim7__merge17predicate_wrapperIssNSC_7greaterIsEEEEEE10hipError_tPvRmT0_T1_T2_T3_T4_T5_mmT6_P12ihipStream_tbEUlT_E0_NS1_11comp_targetILNS1_3genE4ELNS1_11target_archE910ELNS1_3gpuE8ELNS1_3repE0EEENS1_30default_config_static_selectorELNS0_4arch9wavefront6targetE0EEEvS10_.kd
    .uniform_work_group_size: 1
    .uses_dynamic_stack: false
    .vgpr_count:     0
    .vgpr_spill_count: 0
    .wavefront_size: 32
  - .args:
      - .offset:         0
        .size:           112
        .value_kind:     by_value
    .group_segment_fixed_size: 0
    .kernarg_segment_align: 8
    .kernarg_segment_size: 112
    .language:       OpenCL C
    .language_version:
      - 2
      - 0
    .max_flat_workgroup_size: 256
    .name:           _ZN7rocprim17ROCPRIM_400000_NS6detail17trampoline_kernelINS0_14default_configENS1_21merge_config_selectorINS0_5tupleIJssEEENS0_10empty_typeEEEZNS1_10merge_implIS3_NS0_12zip_iteratorINS5_IJN6thrust23THRUST_200600_302600_NS6detail15normal_iteratorINSC_10device_ptrIKsEEEESI_EEEEESK_NSA_INS5_IJNSE_INSF_IsEEEESM_EEEEEPS7_SP_SP_NSC_11hip_rocprim7__merge17predicate_wrapperIssNSC_7greaterIsEEEEEE10hipError_tPvRmT0_T1_T2_T3_T4_T5_mmT6_P12ihipStream_tbEUlT_E0_NS1_11comp_targetILNS1_3genE3ELNS1_11target_archE908ELNS1_3gpuE7ELNS1_3repE0EEENS1_30default_config_static_selectorELNS0_4arch9wavefront6targetE0EEEvS10_
    .private_segment_fixed_size: 0
    .sgpr_count:     0
    .sgpr_spill_count: 0
    .symbol:         _ZN7rocprim17ROCPRIM_400000_NS6detail17trampoline_kernelINS0_14default_configENS1_21merge_config_selectorINS0_5tupleIJssEEENS0_10empty_typeEEEZNS1_10merge_implIS3_NS0_12zip_iteratorINS5_IJN6thrust23THRUST_200600_302600_NS6detail15normal_iteratorINSC_10device_ptrIKsEEEESI_EEEEESK_NSA_INS5_IJNSE_INSF_IsEEEESM_EEEEEPS7_SP_SP_NSC_11hip_rocprim7__merge17predicate_wrapperIssNSC_7greaterIsEEEEEE10hipError_tPvRmT0_T1_T2_T3_T4_T5_mmT6_P12ihipStream_tbEUlT_E0_NS1_11comp_targetILNS1_3genE3ELNS1_11target_archE908ELNS1_3gpuE7ELNS1_3repE0EEENS1_30default_config_static_selectorELNS0_4arch9wavefront6targetE0EEEvS10_.kd
    .uniform_work_group_size: 1
    .uses_dynamic_stack: false
    .vgpr_count:     0
    .vgpr_spill_count: 0
    .wavefront_size: 32
  - .args:
      - .offset:         0
        .size:           112
        .value_kind:     by_value
    .group_segment_fixed_size: 0
    .kernarg_segment_align: 8
    .kernarg_segment_size: 112
    .language:       OpenCL C
    .language_version:
      - 2
      - 0
    .max_flat_workgroup_size: 256
    .name:           _ZN7rocprim17ROCPRIM_400000_NS6detail17trampoline_kernelINS0_14default_configENS1_21merge_config_selectorINS0_5tupleIJssEEENS0_10empty_typeEEEZNS1_10merge_implIS3_NS0_12zip_iteratorINS5_IJN6thrust23THRUST_200600_302600_NS6detail15normal_iteratorINSC_10device_ptrIKsEEEESI_EEEEESK_NSA_INS5_IJNSE_INSF_IsEEEESM_EEEEEPS7_SP_SP_NSC_11hip_rocprim7__merge17predicate_wrapperIssNSC_7greaterIsEEEEEE10hipError_tPvRmT0_T1_T2_T3_T4_T5_mmT6_P12ihipStream_tbEUlT_E0_NS1_11comp_targetILNS1_3genE2ELNS1_11target_archE906ELNS1_3gpuE6ELNS1_3repE0EEENS1_30default_config_static_selectorELNS0_4arch9wavefront6targetE0EEEvS10_
    .private_segment_fixed_size: 0
    .sgpr_count:     0
    .sgpr_spill_count: 0
    .symbol:         _ZN7rocprim17ROCPRIM_400000_NS6detail17trampoline_kernelINS0_14default_configENS1_21merge_config_selectorINS0_5tupleIJssEEENS0_10empty_typeEEEZNS1_10merge_implIS3_NS0_12zip_iteratorINS5_IJN6thrust23THRUST_200600_302600_NS6detail15normal_iteratorINSC_10device_ptrIKsEEEESI_EEEEESK_NSA_INS5_IJNSE_INSF_IsEEEESM_EEEEEPS7_SP_SP_NSC_11hip_rocprim7__merge17predicate_wrapperIssNSC_7greaterIsEEEEEE10hipError_tPvRmT0_T1_T2_T3_T4_T5_mmT6_P12ihipStream_tbEUlT_E0_NS1_11comp_targetILNS1_3genE2ELNS1_11target_archE906ELNS1_3gpuE6ELNS1_3repE0EEENS1_30default_config_static_selectorELNS0_4arch9wavefront6targetE0EEEvS10_.kd
    .uniform_work_group_size: 1
    .uses_dynamic_stack: false
    .vgpr_count:     0
    .vgpr_spill_count: 0
    .wavefront_size: 32
  - .args:
      - .offset:         0
        .size:           112
        .value_kind:     by_value
    .group_segment_fixed_size: 0
    .kernarg_segment_align: 8
    .kernarg_segment_size: 112
    .language:       OpenCL C
    .language_version:
      - 2
      - 0
    .max_flat_workgroup_size: 1024
    .name:           _ZN7rocprim17ROCPRIM_400000_NS6detail17trampoline_kernelINS0_14default_configENS1_21merge_config_selectorINS0_5tupleIJssEEENS0_10empty_typeEEEZNS1_10merge_implIS3_NS0_12zip_iteratorINS5_IJN6thrust23THRUST_200600_302600_NS6detail15normal_iteratorINSC_10device_ptrIKsEEEESI_EEEEESK_NSA_INS5_IJNSE_INSF_IsEEEESM_EEEEEPS7_SP_SP_NSC_11hip_rocprim7__merge17predicate_wrapperIssNSC_7greaterIsEEEEEE10hipError_tPvRmT0_T1_T2_T3_T4_T5_mmT6_P12ihipStream_tbEUlT_E0_NS1_11comp_targetILNS1_3genE10ELNS1_11target_archE1201ELNS1_3gpuE5ELNS1_3repE0EEENS1_30default_config_static_selectorELNS0_4arch9wavefront6targetE0EEEvS10_
    .private_segment_fixed_size: 0
    .sgpr_count:     0
    .sgpr_spill_count: 0
    .symbol:         _ZN7rocprim17ROCPRIM_400000_NS6detail17trampoline_kernelINS0_14default_configENS1_21merge_config_selectorINS0_5tupleIJssEEENS0_10empty_typeEEEZNS1_10merge_implIS3_NS0_12zip_iteratorINS5_IJN6thrust23THRUST_200600_302600_NS6detail15normal_iteratorINSC_10device_ptrIKsEEEESI_EEEEESK_NSA_INS5_IJNSE_INSF_IsEEEESM_EEEEEPS7_SP_SP_NSC_11hip_rocprim7__merge17predicate_wrapperIssNSC_7greaterIsEEEEEE10hipError_tPvRmT0_T1_T2_T3_T4_T5_mmT6_P12ihipStream_tbEUlT_E0_NS1_11comp_targetILNS1_3genE10ELNS1_11target_archE1201ELNS1_3gpuE5ELNS1_3repE0EEENS1_30default_config_static_selectorELNS0_4arch9wavefront6targetE0EEEvS10_.kd
    .uniform_work_group_size: 1
    .uses_dynamic_stack: false
    .vgpr_count:     0
    .vgpr_spill_count: 0
    .wavefront_size: 32
  - .args:
      - .offset:         0
        .size:           112
        .value_kind:     by_value
    .group_segment_fixed_size: 0
    .kernarg_segment_align: 8
    .kernarg_segment_size: 112
    .language:       OpenCL C
    .language_version:
      - 2
      - 0
    .max_flat_workgroup_size: 1024
    .name:           _ZN7rocprim17ROCPRIM_400000_NS6detail17trampoline_kernelINS0_14default_configENS1_21merge_config_selectorINS0_5tupleIJssEEENS0_10empty_typeEEEZNS1_10merge_implIS3_NS0_12zip_iteratorINS5_IJN6thrust23THRUST_200600_302600_NS6detail15normal_iteratorINSC_10device_ptrIKsEEEESI_EEEEESK_NSA_INS5_IJNSE_INSF_IsEEEESM_EEEEEPS7_SP_SP_NSC_11hip_rocprim7__merge17predicate_wrapperIssNSC_7greaterIsEEEEEE10hipError_tPvRmT0_T1_T2_T3_T4_T5_mmT6_P12ihipStream_tbEUlT_E0_NS1_11comp_targetILNS1_3genE10ELNS1_11target_archE1200ELNS1_3gpuE4ELNS1_3repE0EEENS1_30default_config_static_selectorELNS0_4arch9wavefront6targetE0EEEvS10_
    .private_segment_fixed_size: 0
    .sgpr_count:     0
    .sgpr_spill_count: 0
    .symbol:         _ZN7rocprim17ROCPRIM_400000_NS6detail17trampoline_kernelINS0_14default_configENS1_21merge_config_selectorINS0_5tupleIJssEEENS0_10empty_typeEEEZNS1_10merge_implIS3_NS0_12zip_iteratorINS5_IJN6thrust23THRUST_200600_302600_NS6detail15normal_iteratorINSC_10device_ptrIKsEEEESI_EEEEESK_NSA_INS5_IJNSE_INSF_IsEEEESM_EEEEEPS7_SP_SP_NSC_11hip_rocprim7__merge17predicate_wrapperIssNSC_7greaterIsEEEEEE10hipError_tPvRmT0_T1_T2_T3_T4_T5_mmT6_P12ihipStream_tbEUlT_E0_NS1_11comp_targetILNS1_3genE10ELNS1_11target_archE1200ELNS1_3gpuE4ELNS1_3repE0EEENS1_30default_config_static_selectorELNS0_4arch9wavefront6targetE0EEEvS10_.kd
    .uniform_work_group_size: 1
    .uses_dynamic_stack: false
    .vgpr_count:     0
    .vgpr_spill_count: 0
    .wavefront_size: 32
  - .args:
      - .offset:         0
        .size:           112
        .value_kind:     by_value
    .group_segment_fixed_size: 0
    .kernarg_segment_align: 8
    .kernarg_segment_size: 112
    .language:       OpenCL C
    .language_version:
      - 2
      - 0
    .max_flat_workgroup_size: 1024
    .name:           _ZN7rocprim17ROCPRIM_400000_NS6detail17trampoline_kernelINS0_14default_configENS1_21merge_config_selectorINS0_5tupleIJssEEENS0_10empty_typeEEEZNS1_10merge_implIS3_NS0_12zip_iteratorINS5_IJN6thrust23THRUST_200600_302600_NS6detail15normal_iteratorINSC_10device_ptrIKsEEEESI_EEEEESK_NSA_INS5_IJNSE_INSF_IsEEEESM_EEEEEPS7_SP_SP_NSC_11hip_rocprim7__merge17predicate_wrapperIssNSC_7greaterIsEEEEEE10hipError_tPvRmT0_T1_T2_T3_T4_T5_mmT6_P12ihipStream_tbEUlT_E0_NS1_11comp_targetILNS1_3genE9ELNS1_11target_archE1100ELNS1_3gpuE3ELNS1_3repE0EEENS1_30default_config_static_selectorELNS0_4arch9wavefront6targetE0EEEvS10_
    .private_segment_fixed_size: 0
    .sgpr_count:     0
    .sgpr_spill_count: 0
    .symbol:         _ZN7rocprim17ROCPRIM_400000_NS6detail17trampoline_kernelINS0_14default_configENS1_21merge_config_selectorINS0_5tupleIJssEEENS0_10empty_typeEEEZNS1_10merge_implIS3_NS0_12zip_iteratorINS5_IJN6thrust23THRUST_200600_302600_NS6detail15normal_iteratorINSC_10device_ptrIKsEEEESI_EEEEESK_NSA_INS5_IJNSE_INSF_IsEEEESM_EEEEEPS7_SP_SP_NSC_11hip_rocprim7__merge17predicate_wrapperIssNSC_7greaterIsEEEEEE10hipError_tPvRmT0_T1_T2_T3_T4_T5_mmT6_P12ihipStream_tbEUlT_E0_NS1_11comp_targetILNS1_3genE9ELNS1_11target_archE1100ELNS1_3gpuE3ELNS1_3repE0EEENS1_30default_config_static_selectorELNS0_4arch9wavefront6targetE0EEEvS10_.kd
    .uniform_work_group_size: 1
    .uses_dynamic_stack: false
    .vgpr_count:     0
    .vgpr_spill_count: 0
    .wavefront_size: 32
  - .args:
      - .offset:         0
        .size:           112
        .value_kind:     by_value
    .group_segment_fixed_size: 0
    .kernarg_segment_align: 8
    .kernarg_segment_size: 112
    .language:       OpenCL C
    .language_version:
      - 2
      - 0
    .max_flat_workgroup_size: 1024
    .name:           _ZN7rocprim17ROCPRIM_400000_NS6detail17trampoline_kernelINS0_14default_configENS1_21merge_config_selectorINS0_5tupleIJssEEENS0_10empty_typeEEEZNS1_10merge_implIS3_NS0_12zip_iteratorINS5_IJN6thrust23THRUST_200600_302600_NS6detail15normal_iteratorINSC_10device_ptrIKsEEEESI_EEEEESK_NSA_INS5_IJNSE_INSF_IsEEEESM_EEEEEPS7_SP_SP_NSC_11hip_rocprim7__merge17predicate_wrapperIssNSC_7greaterIsEEEEEE10hipError_tPvRmT0_T1_T2_T3_T4_T5_mmT6_P12ihipStream_tbEUlT_E0_NS1_11comp_targetILNS1_3genE8ELNS1_11target_archE1030ELNS1_3gpuE2ELNS1_3repE0EEENS1_30default_config_static_selectorELNS0_4arch9wavefront6targetE0EEEvS10_
    .private_segment_fixed_size: 0
    .sgpr_count:     0
    .sgpr_spill_count: 0
    .symbol:         _ZN7rocprim17ROCPRIM_400000_NS6detail17trampoline_kernelINS0_14default_configENS1_21merge_config_selectorINS0_5tupleIJssEEENS0_10empty_typeEEEZNS1_10merge_implIS3_NS0_12zip_iteratorINS5_IJN6thrust23THRUST_200600_302600_NS6detail15normal_iteratorINSC_10device_ptrIKsEEEESI_EEEEESK_NSA_INS5_IJNSE_INSF_IsEEEESM_EEEEEPS7_SP_SP_NSC_11hip_rocprim7__merge17predicate_wrapperIssNSC_7greaterIsEEEEEE10hipError_tPvRmT0_T1_T2_T3_T4_T5_mmT6_P12ihipStream_tbEUlT_E0_NS1_11comp_targetILNS1_3genE8ELNS1_11target_archE1030ELNS1_3gpuE2ELNS1_3repE0EEENS1_30default_config_static_selectorELNS0_4arch9wavefront6targetE0EEEvS10_.kd
    .uniform_work_group_size: 1
    .uses_dynamic_stack: false
    .vgpr_count:     0
    .vgpr_spill_count: 0
    .wavefront_size: 32
  - .args:
      - .offset:         0
        .size:           64
        .value_kind:     by_value
      - .offset:         64
        .size:           4
        .value_kind:     hidden_block_count_x
      - .offset:         68
        .size:           4
        .value_kind:     hidden_block_count_y
      - .offset:         72
        .size:           4
        .value_kind:     hidden_block_count_z
      - .offset:         76
        .size:           2
        .value_kind:     hidden_group_size_x
      - .offset:         78
        .size:           2
        .value_kind:     hidden_group_size_y
      - .offset:         80
        .size:           2
        .value_kind:     hidden_group_size_z
      - .offset:         82
        .size:           2
        .value_kind:     hidden_remainder_x
      - .offset:         84
        .size:           2
        .value_kind:     hidden_remainder_y
      - .offset:         86
        .size:           2
        .value_kind:     hidden_remainder_z
      - .offset:         104
        .size:           8
        .value_kind:     hidden_global_offset_x
      - .offset:         112
        .size:           8
        .value_kind:     hidden_global_offset_y
      - .offset:         120
        .size:           8
        .value_kind:     hidden_global_offset_z
      - .offset:         128
        .size:           2
        .value_kind:     hidden_grid_dims
    .group_segment_fixed_size: 0
    .kernarg_segment_align: 8
    .kernarg_segment_size: 320
    .language:       OpenCL C
    .language_version:
      - 2
      - 0
    .max_flat_workgroup_size: 512
    .name:           _ZN7rocprim17ROCPRIM_400000_NS6detail17trampoline_kernelINS0_14default_configENS1_21merge_config_selectorINS0_5tupleIJyyEEENS0_10empty_typeEEEZNS1_10merge_implIS3_NS0_12zip_iteratorINS5_IJN6thrust23THRUST_200600_302600_NS6detail15normal_iteratorINSC_10device_ptrIKyEEEESI_EEEEESK_NSA_INS5_IJNSE_INSF_IyEEEESM_EEEEEPS7_SP_SP_NSC_11hip_rocprim7__merge17predicate_wrapperIyyNSC_4lessImEEEEEE10hipError_tPvRmT0_T1_T2_T3_T4_T5_mmT6_P12ihipStream_tbEUlT_E_NS1_11comp_targetILNS1_3genE0ELNS1_11target_archE4294967295ELNS1_3gpuE0ELNS1_3repE0EEENS1_30default_config_static_selectorELNS0_4arch9wavefront6targetE0EEEvS10_
    .private_segment_fixed_size: 0
    .sgpr_count:     16
    .sgpr_spill_count: 0
    .symbol:         _ZN7rocprim17ROCPRIM_400000_NS6detail17trampoline_kernelINS0_14default_configENS1_21merge_config_selectorINS0_5tupleIJyyEEENS0_10empty_typeEEEZNS1_10merge_implIS3_NS0_12zip_iteratorINS5_IJN6thrust23THRUST_200600_302600_NS6detail15normal_iteratorINSC_10device_ptrIKyEEEESI_EEEEESK_NSA_INS5_IJNSE_INSF_IyEEEESM_EEEEEPS7_SP_SP_NSC_11hip_rocprim7__merge17predicate_wrapperIyyNSC_4lessImEEEEEE10hipError_tPvRmT0_T1_T2_T3_T4_T5_mmT6_P12ihipStream_tbEUlT_E_NS1_11comp_targetILNS1_3genE0ELNS1_11target_archE4294967295ELNS1_3gpuE0ELNS1_3repE0EEENS1_30default_config_static_selectorELNS0_4arch9wavefront6targetE0EEEvS10_.kd
    .uniform_work_group_size: 1
    .uses_dynamic_stack: false
    .vgpr_count:     18
    .vgpr_spill_count: 0
    .wavefront_size: 32
  - .args:
      - .offset:         0
        .size:           64
        .value_kind:     by_value
    .group_segment_fixed_size: 0
    .kernarg_segment_align: 8
    .kernarg_segment_size: 64
    .language:       OpenCL C
    .language_version:
      - 2
      - 0
    .max_flat_workgroup_size: 256
    .name:           _ZN7rocprim17ROCPRIM_400000_NS6detail17trampoline_kernelINS0_14default_configENS1_21merge_config_selectorINS0_5tupleIJyyEEENS0_10empty_typeEEEZNS1_10merge_implIS3_NS0_12zip_iteratorINS5_IJN6thrust23THRUST_200600_302600_NS6detail15normal_iteratorINSC_10device_ptrIKyEEEESI_EEEEESK_NSA_INS5_IJNSE_INSF_IyEEEESM_EEEEEPS7_SP_SP_NSC_11hip_rocprim7__merge17predicate_wrapperIyyNSC_4lessImEEEEEE10hipError_tPvRmT0_T1_T2_T3_T4_T5_mmT6_P12ihipStream_tbEUlT_E_NS1_11comp_targetILNS1_3genE5ELNS1_11target_archE942ELNS1_3gpuE9ELNS1_3repE0EEENS1_30default_config_static_selectorELNS0_4arch9wavefront6targetE0EEEvS10_
    .private_segment_fixed_size: 0
    .sgpr_count:     0
    .sgpr_spill_count: 0
    .symbol:         _ZN7rocprim17ROCPRIM_400000_NS6detail17trampoline_kernelINS0_14default_configENS1_21merge_config_selectorINS0_5tupleIJyyEEENS0_10empty_typeEEEZNS1_10merge_implIS3_NS0_12zip_iteratorINS5_IJN6thrust23THRUST_200600_302600_NS6detail15normal_iteratorINSC_10device_ptrIKyEEEESI_EEEEESK_NSA_INS5_IJNSE_INSF_IyEEEESM_EEEEEPS7_SP_SP_NSC_11hip_rocprim7__merge17predicate_wrapperIyyNSC_4lessImEEEEEE10hipError_tPvRmT0_T1_T2_T3_T4_T5_mmT6_P12ihipStream_tbEUlT_E_NS1_11comp_targetILNS1_3genE5ELNS1_11target_archE942ELNS1_3gpuE9ELNS1_3repE0EEENS1_30default_config_static_selectorELNS0_4arch9wavefront6targetE0EEEvS10_.kd
    .uniform_work_group_size: 1
    .uses_dynamic_stack: false
    .vgpr_count:     0
    .vgpr_spill_count: 0
    .wavefront_size: 32
  - .args:
      - .offset:         0
        .size:           64
        .value_kind:     by_value
    .group_segment_fixed_size: 0
    .kernarg_segment_align: 8
    .kernarg_segment_size: 64
    .language:       OpenCL C
    .language_version:
      - 2
      - 0
    .max_flat_workgroup_size: 512
    .name:           _ZN7rocprim17ROCPRIM_400000_NS6detail17trampoline_kernelINS0_14default_configENS1_21merge_config_selectorINS0_5tupleIJyyEEENS0_10empty_typeEEEZNS1_10merge_implIS3_NS0_12zip_iteratorINS5_IJN6thrust23THRUST_200600_302600_NS6detail15normal_iteratorINSC_10device_ptrIKyEEEESI_EEEEESK_NSA_INS5_IJNSE_INSF_IyEEEESM_EEEEEPS7_SP_SP_NSC_11hip_rocprim7__merge17predicate_wrapperIyyNSC_4lessImEEEEEE10hipError_tPvRmT0_T1_T2_T3_T4_T5_mmT6_P12ihipStream_tbEUlT_E_NS1_11comp_targetILNS1_3genE4ELNS1_11target_archE910ELNS1_3gpuE8ELNS1_3repE0EEENS1_30default_config_static_selectorELNS0_4arch9wavefront6targetE0EEEvS10_
    .private_segment_fixed_size: 0
    .sgpr_count:     0
    .sgpr_spill_count: 0
    .symbol:         _ZN7rocprim17ROCPRIM_400000_NS6detail17trampoline_kernelINS0_14default_configENS1_21merge_config_selectorINS0_5tupleIJyyEEENS0_10empty_typeEEEZNS1_10merge_implIS3_NS0_12zip_iteratorINS5_IJN6thrust23THRUST_200600_302600_NS6detail15normal_iteratorINSC_10device_ptrIKyEEEESI_EEEEESK_NSA_INS5_IJNSE_INSF_IyEEEESM_EEEEEPS7_SP_SP_NSC_11hip_rocprim7__merge17predicate_wrapperIyyNSC_4lessImEEEEEE10hipError_tPvRmT0_T1_T2_T3_T4_T5_mmT6_P12ihipStream_tbEUlT_E_NS1_11comp_targetILNS1_3genE4ELNS1_11target_archE910ELNS1_3gpuE8ELNS1_3repE0EEENS1_30default_config_static_selectorELNS0_4arch9wavefront6targetE0EEEvS10_.kd
    .uniform_work_group_size: 1
    .uses_dynamic_stack: false
    .vgpr_count:     0
    .vgpr_spill_count: 0
    .wavefront_size: 32
  - .args:
      - .offset:         0
        .size:           64
        .value_kind:     by_value
    .group_segment_fixed_size: 0
    .kernarg_segment_align: 8
    .kernarg_segment_size: 64
    .language:       OpenCL C
    .language_version:
      - 2
      - 0
    .max_flat_workgroup_size: 512
    .name:           _ZN7rocprim17ROCPRIM_400000_NS6detail17trampoline_kernelINS0_14default_configENS1_21merge_config_selectorINS0_5tupleIJyyEEENS0_10empty_typeEEEZNS1_10merge_implIS3_NS0_12zip_iteratorINS5_IJN6thrust23THRUST_200600_302600_NS6detail15normal_iteratorINSC_10device_ptrIKyEEEESI_EEEEESK_NSA_INS5_IJNSE_INSF_IyEEEESM_EEEEEPS7_SP_SP_NSC_11hip_rocprim7__merge17predicate_wrapperIyyNSC_4lessImEEEEEE10hipError_tPvRmT0_T1_T2_T3_T4_T5_mmT6_P12ihipStream_tbEUlT_E_NS1_11comp_targetILNS1_3genE3ELNS1_11target_archE908ELNS1_3gpuE7ELNS1_3repE0EEENS1_30default_config_static_selectorELNS0_4arch9wavefront6targetE0EEEvS10_
    .private_segment_fixed_size: 0
    .sgpr_count:     0
    .sgpr_spill_count: 0
    .symbol:         _ZN7rocprim17ROCPRIM_400000_NS6detail17trampoline_kernelINS0_14default_configENS1_21merge_config_selectorINS0_5tupleIJyyEEENS0_10empty_typeEEEZNS1_10merge_implIS3_NS0_12zip_iteratorINS5_IJN6thrust23THRUST_200600_302600_NS6detail15normal_iteratorINSC_10device_ptrIKyEEEESI_EEEEESK_NSA_INS5_IJNSE_INSF_IyEEEESM_EEEEEPS7_SP_SP_NSC_11hip_rocprim7__merge17predicate_wrapperIyyNSC_4lessImEEEEEE10hipError_tPvRmT0_T1_T2_T3_T4_T5_mmT6_P12ihipStream_tbEUlT_E_NS1_11comp_targetILNS1_3genE3ELNS1_11target_archE908ELNS1_3gpuE7ELNS1_3repE0EEENS1_30default_config_static_selectorELNS0_4arch9wavefront6targetE0EEEvS10_.kd
    .uniform_work_group_size: 1
    .uses_dynamic_stack: false
    .vgpr_count:     0
    .vgpr_spill_count: 0
    .wavefront_size: 32
  - .args:
      - .offset:         0
        .size:           64
        .value_kind:     by_value
    .group_segment_fixed_size: 0
    .kernarg_segment_align: 8
    .kernarg_segment_size: 64
    .language:       OpenCL C
    .language_version:
      - 2
      - 0
    .max_flat_workgroup_size: 512
    .name:           _ZN7rocprim17ROCPRIM_400000_NS6detail17trampoline_kernelINS0_14default_configENS1_21merge_config_selectorINS0_5tupleIJyyEEENS0_10empty_typeEEEZNS1_10merge_implIS3_NS0_12zip_iteratorINS5_IJN6thrust23THRUST_200600_302600_NS6detail15normal_iteratorINSC_10device_ptrIKyEEEESI_EEEEESK_NSA_INS5_IJNSE_INSF_IyEEEESM_EEEEEPS7_SP_SP_NSC_11hip_rocprim7__merge17predicate_wrapperIyyNSC_4lessImEEEEEE10hipError_tPvRmT0_T1_T2_T3_T4_T5_mmT6_P12ihipStream_tbEUlT_E_NS1_11comp_targetILNS1_3genE2ELNS1_11target_archE906ELNS1_3gpuE6ELNS1_3repE0EEENS1_30default_config_static_selectorELNS0_4arch9wavefront6targetE0EEEvS10_
    .private_segment_fixed_size: 0
    .sgpr_count:     0
    .sgpr_spill_count: 0
    .symbol:         _ZN7rocprim17ROCPRIM_400000_NS6detail17trampoline_kernelINS0_14default_configENS1_21merge_config_selectorINS0_5tupleIJyyEEENS0_10empty_typeEEEZNS1_10merge_implIS3_NS0_12zip_iteratorINS5_IJN6thrust23THRUST_200600_302600_NS6detail15normal_iteratorINSC_10device_ptrIKyEEEESI_EEEEESK_NSA_INS5_IJNSE_INSF_IyEEEESM_EEEEEPS7_SP_SP_NSC_11hip_rocprim7__merge17predicate_wrapperIyyNSC_4lessImEEEEEE10hipError_tPvRmT0_T1_T2_T3_T4_T5_mmT6_P12ihipStream_tbEUlT_E_NS1_11comp_targetILNS1_3genE2ELNS1_11target_archE906ELNS1_3gpuE6ELNS1_3repE0EEENS1_30default_config_static_selectorELNS0_4arch9wavefront6targetE0EEEvS10_.kd
    .uniform_work_group_size: 1
    .uses_dynamic_stack: false
    .vgpr_count:     0
    .vgpr_spill_count: 0
    .wavefront_size: 32
  - .args:
      - .offset:         0
        .size:           64
        .value_kind:     by_value
    .group_segment_fixed_size: 0
    .kernarg_segment_align: 8
    .kernarg_segment_size: 64
    .language:       OpenCL C
    .language_version:
      - 2
      - 0
    .max_flat_workgroup_size: 512
    .name:           _ZN7rocprim17ROCPRIM_400000_NS6detail17trampoline_kernelINS0_14default_configENS1_21merge_config_selectorINS0_5tupleIJyyEEENS0_10empty_typeEEEZNS1_10merge_implIS3_NS0_12zip_iteratorINS5_IJN6thrust23THRUST_200600_302600_NS6detail15normal_iteratorINSC_10device_ptrIKyEEEESI_EEEEESK_NSA_INS5_IJNSE_INSF_IyEEEESM_EEEEEPS7_SP_SP_NSC_11hip_rocprim7__merge17predicate_wrapperIyyNSC_4lessImEEEEEE10hipError_tPvRmT0_T1_T2_T3_T4_T5_mmT6_P12ihipStream_tbEUlT_E_NS1_11comp_targetILNS1_3genE10ELNS1_11target_archE1201ELNS1_3gpuE5ELNS1_3repE0EEENS1_30default_config_static_selectorELNS0_4arch9wavefront6targetE0EEEvS10_
    .private_segment_fixed_size: 0
    .sgpr_count:     0
    .sgpr_spill_count: 0
    .symbol:         _ZN7rocprim17ROCPRIM_400000_NS6detail17trampoline_kernelINS0_14default_configENS1_21merge_config_selectorINS0_5tupleIJyyEEENS0_10empty_typeEEEZNS1_10merge_implIS3_NS0_12zip_iteratorINS5_IJN6thrust23THRUST_200600_302600_NS6detail15normal_iteratorINSC_10device_ptrIKyEEEESI_EEEEESK_NSA_INS5_IJNSE_INSF_IyEEEESM_EEEEEPS7_SP_SP_NSC_11hip_rocprim7__merge17predicate_wrapperIyyNSC_4lessImEEEEEE10hipError_tPvRmT0_T1_T2_T3_T4_T5_mmT6_P12ihipStream_tbEUlT_E_NS1_11comp_targetILNS1_3genE10ELNS1_11target_archE1201ELNS1_3gpuE5ELNS1_3repE0EEENS1_30default_config_static_selectorELNS0_4arch9wavefront6targetE0EEEvS10_.kd
    .uniform_work_group_size: 1
    .uses_dynamic_stack: false
    .vgpr_count:     0
    .vgpr_spill_count: 0
    .wavefront_size: 32
  - .args:
      - .offset:         0
        .size:           64
        .value_kind:     by_value
    .group_segment_fixed_size: 0
    .kernarg_segment_align: 8
    .kernarg_segment_size: 64
    .language:       OpenCL C
    .language_version:
      - 2
      - 0
    .max_flat_workgroup_size: 256
    .name:           _ZN7rocprim17ROCPRIM_400000_NS6detail17trampoline_kernelINS0_14default_configENS1_21merge_config_selectorINS0_5tupleIJyyEEENS0_10empty_typeEEEZNS1_10merge_implIS3_NS0_12zip_iteratorINS5_IJN6thrust23THRUST_200600_302600_NS6detail15normal_iteratorINSC_10device_ptrIKyEEEESI_EEEEESK_NSA_INS5_IJNSE_INSF_IyEEEESM_EEEEEPS7_SP_SP_NSC_11hip_rocprim7__merge17predicate_wrapperIyyNSC_4lessImEEEEEE10hipError_tPvRmT0_T1_T2_T3_T4_T5_mmT6_P12ihipStream_tbEUlT_E_NS1_11comp_targetILNS1_3genE10ELNS1_11target_archE1200ELNS1_3gpuE4ELNS1_3repE0EEENS1_30default_config_static_selectorELNS0_4arch9wavefront6targetE0EEEvS10_
    .private_segment_fixed_size: 0
    .sgpr_count:     0
    .sgpr_spill_count: 0
    .symbol:         _ZN7rocprim17ROCPRIM_400000_NS6detail17trampoline_kernelINS0_14default_configENS1_21merge_config_selectorINS0_5tupleIJyyEEENS0_10empty_typeEEEZNS1_10merge_implIS3_NS0_12zip_iteratorINS5_IJN6thrust23THRUST_200600_302600_NS6detail15normal_iteratorINSC_10device_ptrIKyEEEESI_EEEEESK_NSA_INS5_IJNSE_INSF_IyEEEESM_EEEEEPS7_SP_SP_NSC_11hip_rocprim7__merge17predicate_wrapperIyyNSC_4lessImEEEEEE10hipError_tPvRmT0_T1_T2_T3_T4_T5_mmT6_P12ihipStream_tbEUlT_E_NS1_11comp_targetILNS1_3genE10ELNS1_11target_archE1200ELNS1_3gpuE4ELNS1_3repE0EEENS1_30default_config_static_selectorELNS0_4arch9wavefront6targetE0EEEvS10_.kd
    .uniform_work_group_size: 1
    .uses_dynamic_stack: false
    .vgpr_count:     0
    .vgpr_spill_count: 0
    .wavefront_size: 32
  - .args:
      - .offset:         0
        .size:           64
        .value_kind:     by_value
    .group_segment_fixed_size: 0
    .kernarg_segment_align: 8
    .kernarg_segment_size: 64
    .language:       OpenCL C
    .language_version:
      - 2
      - 0
    .max_flat_workgroup_size: 1024
    .name:           _ZN7rocprim17ROCPRIM_400000_NS6detail17trampoline_kernelINS0_14default_configENS1_21merge_config_selectorINS0_5tupleIJyyEEENS0_10empty_typeEEEZNS1_10merge_implIS3_NS0_12zip_iteratorINS5_IJN6thrust23THRUST_200600_302600_NS6detail15normal_iteratorINSC_10device_ptrIKyEEEESI_EEEEESK_NSA_INS5_IJNSE_INSF_IyEEEESM_EEEEEPS7_SP_SP_NSC_11hip_rocprim7__merge17predicate_wrapperIyyNSC_4lessImEEEEEE10hipError_tPvRmT0_T1_T2_T3_T4_T5_mmT6_P12ihipStream_tbEUlT_E_NS1_11comp_targetILNS1_3genE9ELNS1_11target_archE1100ELNS1_3gpuE3ELNS1_3repE0EEENS1_30default_config_static_selectorELNS0_4arch9wavefront6targetE0EEEvS10_
    .private_segment_fixed_size: 0
    .sgpr_count:     0
    .sgpr_spill_count: 0
    .symbol:         _ZN7rocprim17ROCPRIM_400000_NS6detail17trampoline_kernelINS0_14default_configENS1_21merge_config_selectorINS0_5tupleIJyyEEENS0_10empty_typeEEEZNS1_10merge_implIS3_NS0_12zip_iteratorINS5_IJN6thrust23THRUST_200600_302600_NS6detail15normal_iteratorINSC_10device_ptrIKyEEEESI_EEEEESK_NSA_INS5_IJNSE_INSF_IyEEEESM_EEEEEPS7_SP_SP_NSC_11hip_rocprim7__merge17predicate_wrapperIyyNSC_4lessImEEEEEE10hipError_tPvRmT0_T1_T2_T3_T4_T5_mmT6_P12ihipStream_tbEUlT_E_NS1_11comp_targetILNS1_3genE9ELNS1_11target_archE1100ELNS1_3gpuE3ELNS1_3repE0EEENS1_30default_config_static_selectorELNS0_4arch9wavefront6targetE0EEEvS10_.kd
    .uniform_work_group_size: 1
    .uses_dynamic_stack: false
    .vgpr_count:     0
    .vgpr_spill_count: 0
    .wavefront_size: 32
  - .args:
      - .offset:         0
        .size:           64
        .value_kind:     by_value
    .group_segment_fixed_size: 0
    .kernarg_segment_align: 8
    .kernarg_segment_size: 64
    .language:       OpenCL C
    .language_version:
      - 2
      - 0
    .max_flat_workgroup_size: 256
    .name:           _ZN7rocprim17ROCPRIM_400000_NS6detail17trampoline_kernelINS0_14default_configENS1_21merge_config_selectorINS0_5tupleIJyyEEENS0_10empty_typeEEEZNS1_10merge_implIS3_NS0_12zip_iteratorINS5_IJN6thrust23THRUST_200600_302600_NS6detail15normal_iteratorINSC_10device_ptrIKyEEEESI_EEEEESK_NSA_INS5_IJNSE_INSF_IyEEEESM_EEEEEPS7_SP_SP_NSC_11hip_rocprim7__merge17predicate_wrapperIyyNSC_4lessImEEEEEE10hipError_tPvRmT0_T1_T2_T3_T4_T5_mmT6_P12ihipStream_tbEUlT_E_NS1_11comp_targetILNS1_3genE8ELNS1_11target_archE1030ELNS1_3gpuE2ELNS1_3repE0EEENS1_30default_config_static_selectorELNS0_4arch9wavefront6targetE0EEEvS10_
    .private_segment_fixed_size: 0
    .sgpr_count:     0
    .sgpr_spill_count: 0
    .symbol:         _ZN7rocprim17ROCPRIM_400000_NS6detail17trampoline_kernelINS0_14default_configENS1_21merge_config_selectorINS0_5tupleIJyyEEENS0_10empty_typeEEEZNS1_10merge_implIS3_NS0_12zip_iteratorINS5_IJN6thrust23THRUST_200600_302600_NS6detail15normal_iteratorINSC_10device_ptrIKyEEEESI_EEEEESK_NSA_INS5_IJNSE_INSF_IyEEEESM_EEEEEPS7_SP_SP_NSC_11hip_rocprim7__merge17predicate_wrapperIyyNSC_4lessImEEEEEE10hipError_tPvRmT0_T1_T2_T3_T4_T5_mmT6_P12ihipStream_tbEUlT_E_NS1_11comp_targetILNS1_3genE8ELNS1_11target_archE1030ELNS1_3gpuE2ELNS1_3repE0EEENS1_30default_config_static_selectorELNS0_4arch9wavefront6targetE0EEEvS10_.kd
    .uniform_work_group_size: 1
    .uses_dynamic_stack: false
    .vgpr_count:     0
    .vgpr_spill_count: 0
    .wavefront_size: 32
  - .args:
      - .offset:         0
        .size:           112
        .value_kind:     by_value
    .group_segment_fixed_size: 16896
    .kernarg_segment_align: 8
    .kernarg_segment_size: 112
    .language:       OpenCL C
    .language_version:
      - 2
      - 0
    .max_flat_workgroup_size: 512
    .name:           _ZN7rocprim17ROCPRIM_400000_NS6detail17trampoline_kernelINS0_14default_configENS1_21merge_config_selectorINS0_5tupleIJyyEEENS0_10empty_typeEEEZNS1_10merge_implIS3_NS0_12zip_iteratorINS5_IJN6thrust23THRUST_200600_302600_NS6detail15normal_iteratorINSC_10device_ptrIKyEEEESI_EEEEESK_NSA_INS5_IJNSE_INSF_IyEEEESM_EEEEEPS7_SP_SP_NSC_11hip_rocprim7__merge17predicate_wrapperIyyNSC_4lessImEEEEEE10hipError_tPvRmT0_T1_T2_T3_T4_T5_mmT6_P12ihipStream_tbEUlT_E0_NS1_11comp_targetILNS1_3genE0ELNS1_11target_archE4294967295ELNS1_3gpuE0ELNS1_3repE0EEENS1_30default_config_static_selectorELNS0_4arch9wavefront6targetE0EEEvS10_
    .private_segment_fixed_size: 0
    .sgpr_count:     27
    .sgpr_spill_count: 0
    .symbol:         _ZN7rocprim17ROCPRIM_400000_NS6detail17trampoline_kernelINS0_14default_configENS1_21merge_config_selectorINS0_5tupleIJyyEEENS0_10empty_typeEEEZNS1_10merge_implIS3_NS0_12zip_iteratorINS5_IJN6thrust23THRUST_200600_302600_NS6detail15normal_iteratorINSC_10device_ptrIKyEEEESI_EEEEESK_NSA_INS5_IJNSE_INSF_IyEEEESM_EEEEEPS7_SP_SP_NSC_11hip_rocprim7__merge17predicate_wrapperIyyNSC_4lessImEEEEEE10hipError_tPvRmT0_T1_T2_T3_T4_T5_mmT6_P12ihipStream_tbEUlT_E0_NS1_11comp_targetILNS1_3genE0ELNS1_11target_archE4294967295ELNS1_3gpuE0ELNS1_3repE0EEENS1_30default_config_static_selectorELNS0_4arch9wavefront6targetE0EEEvS10_.kd
    .uniform_work_group_size: 1
    .uses_dynamic_stack: false
    .vgpr_count:     23
    .vgpr_spill_count: 0
    .wavefront_size: 32
  - .args:
      - .offset:         0
        .size:           112
        .value_kind:     by_value
    .group_segment_fixed_size: 0
    .kernarg_segment_align: 8
    .kernarg_segment_size: 112
    .language:       OpenCL C
    .language_version:
      - 2
      - 0
    .max_flat_workgroup_size: 256
    .name:           _ZN7rocprim17ROCPRIM_400000_NS6detail17trampoline_kernelINS0_14default_configENS1_21merge_config_selectorINS0_5tupleIJyyEEENS0_10empty_typeEEEZNS1_10merge_implIS3_NS0_12zip_iteratorINS5_IJN6thrust23THRUST_200600_302600_NS6detail15normal_iteratorINSC_10device_ptrIKyEEEESI_EEEEESK_NSA_INS5_IJNSE_INSF_IyEEEESM_EEEEEPS7_SP_SP_NSC_11hip_rocprim7__merge17predicate_wrapperIyyNSC_4lessImEEEEEE10hipError_tPvRmT0_T1_T2_T3_T4_T5_mmT6_P12ihipStream_tbEUlT_E0_NS1_11comp_targetILNS1_3genE5ELNS1_11target_archE942ELNS1_3gpuE9ELNS1_3repE0EEENS1_30default_config_static_selectorELNS0_4arch9wavefront6targetE0EEEvS10_
    .private_segment_fixed_size: 0
    .sgpr_count:     0
    .sgpr_spill_count: 0
    .symbol:         _ZN7rocprim17ROCPRIM_400000_NS6detail17trampoline_kernelINS0_14default_configENS1_21merge_config_selectorINS0_5tupleIJyyEEENS0_10empty_typeEEEZNS1_10merge_implIS3_NS0_12zip_iteratorINS5_IJN6thrust23THRUST_200600_302600_NS6detail15normal_iteratorINSC_10device_ptrIKyEEEESI_EEEEESK_NSA_INS5_IJNSE_INSF_IyEEEESM_EEEEEPS7_SP_SP_NSC_11hip_rocprim7__merge17predicate_wrapperIyyNSC_4lessImEEEEEE10hipError_tPvRmT0_T1_T2_T3_T4_T5_mmT6_P12ihipStream_tbEUlT_E0_NS1_11comp_targetILNS1_3genE5ELNS1_11target_archE942ELNS1_3gpuE9ELNS1_3repE0EEENS1_30default_config_static_selectorELNS0_4arch9wavefront6targetE0EEEvS10_.kd
    .uniform_work_group_size: 1
    .uses_dynamic_stack: false
    .vgpr_count:     0
    .vgpr_spill_count: 0
    .wavefront_size: 32
  - .args:
      - .offset:         0
        .size:           112
        .value_kind:     by_value
    .group_segment_fixed_size: 0
    .kernarg_segment_align: 8
    .kernarg_segment_size: 112
    .language:       OpenCL C
    .language_version:
      - 2
      - 0
    .max_flat_workgroup_size: 512
    .name:           _ZN7rocprim17ROCPRIM_400000_NS6detail17trampoline_kernelINS0_14default_configENS1_21merge_config_selectorINS0_5tupleIJyyEEENS0_10empty_typeEEEZNS1_10merge_implIS3_NS0_12zip_iteratorINS5_IJN6thrust23THRUST_200600_302600_NS6detail15normal_iteratorINSC_10device_ptrIKyEEEESI_EEEEESK_NSA_INS5_IJNSE_INSF_IyEEEESM_EEEEEPS7_SP_SP_NSC_11hip_rocprim7__merge17predicate_wrapperIyyNSC_4lessImEEEEEE10hipError_tPvRmT0_T1_T2_T3_T4_T5_mmT6_P12ihipStream_tbEUlT_E0_NS1_11comp_targetILNS1_3genE4ELNS1_11target_archE910ELNS1_3gpuE8ELNS1_3repE0EEENS1_30default_config_static_selectorELNS0_4arch9wavefront6targetE0EEEvS10_
    .private_segment_fixed_size: 0
    .sgpr_count:     0
    .sgpr_spill_count: 0
    .symbol:         _ZN7rocprim17ROCPRIM_400000_NS6detail17trampoline_kernelINS0_14default_configENS1_21merge_config_selectorINS0_5tupleIJyyEEENS0_10empty_typeEEEZNS1_10merge_implIS3_NS0_12zip_iteratorINS5_IJN6thrust23THRUST_200600_302600_NS6detail15normal_iteratorINSC_10device_ptrIKyEEEESI_EEEEESK_NSA_INS5_IJNSE_INSF_IyEEEESM_EEEEEPS7_SP_SP_NSC_11hip_rocprim7__merge17predicate_wrapperIyyNSC_4lessImEEEEEE10hipError_tPvRmT0_T1_T2_T3_T4_T5_mmT6_P12ihipStream_tbEUlT_E0_NS1_11comp_targetILNS1_3genE4ELNS1_11target_archE910ELNS1_3gpuE8ELNS1_3repE0EEENS1_30default_config_static_selectorELNS0_4arch9wavefront6targetE0EEEvS10_.kd
    .uniform_work_group_size: 1
    .uses_dynamic_stack: false
    .vgpr_count:     0
    .vgpr_spill_count: 0
    .wavefront_size: 32
  - .args:
      - .offset:         0
        .size:           112
        .value_kind:     by_value
    .group_segment_fixed_size: 0
    .kernarg_segment_align: 8
    .kernarg_segment_size: 112
    .language:       OpenCL C
    .language_version:
      - 2
      - 0
    .max_flat_workgroup_size: 512
    .name:           _ZN7rocprim17ROCPRIM_400000_NS6detail17trampoline_kernelINS0_14default_configENS1_21merge_config_selectorINS0_5tupleIJyyEEENS0_10empty_typeEEEZNS1_10merge_implIS3_NS0_12zip_iteratorINS5_IJN6thrust23THRUST_200600_302600_NS6detail15normal_iteratorINSC_10device_ptrIKyEEEESI_EEEEESK_NSA_INS5_IJNSE_INSF_IyEEEESM_EEEEEPS7_SP_SP_NSC_11hip_rocprim7__merge17predicate_wrapperIyyNSC_4lessImEEEEEE10hipError_tPvRmT0_T1_T2_T3_T4_T5_mmT6_P12ihipStream_tbEUlT_E0_NS1_11comp_targetILNS1_3genE3ELNS1_11target_archE908ELNS1_3gpuE7ELNS1_3repE0EEENS1_30default_config_static_selectorELNS0_4arch9wavefront6targetE0EEEvS10_
    .private_segment_fixed_size: 0
    .sgpr_count:     0
    .sgpr_spill_count: 0
    .symbol:         _ZN7rocprim17ROCPRIM_400000_NS6detail17trampoline_kernelINS0_14default_configENS1_21merge_config_selectorINS0_5tupleIJyyEEENS0_10empty_typeEEEZNS1_10merge_implIS3_NS0_12zip_iteratorINS5_IJN6thrust23THRUST_200600_302600_NS6detail15normal_iteratorINSC_10device_ptrIKyEEEESI_EEEEESK_NSA_INS5_IJNSE_INSF_IyEEEESM_EEEEEPS7_SP_SP_NSC_11hip_rocprim7__merge17predicate_wrapperIyyNSC_4lessImEEEEEE10hipError_tPvRmT0_T1_T2_T3_T4_T5_mmT6_P12ihipStream_tbEUlT_E0_NS1_11comp_targetILNS1_3genE3ELNS1_11target_archE908ELNS1_3gpuE7ELNS1_3repE0EEENS1_30default_config_static_selectorELNS0_4arch9wavefront6targetE0EEEvS10_.kd
    .uniform_work_group_size: 1
    .uses_dynamic_stack: false
    .vgpr_count:     0
    .vgpr_spill_count: 0
    .wavefront_size: 32
  - .args:
      - .offset:         0
        .size:           112
        .value_kind:     by_value
    .group_segment_fixed_size: 0
    .kernarg_segment_align: 8
    .kernarg_segment_size: 112
    .language:       OpenCL C
    .language_version:
      - 2
      - 0
    .max_flat_workgroup_size: 512
    .name:           _ZN7rocprim17ROCPRIM_400000_NS6detail17trampoline_kernelINS0_14default_configENS1_21merge_config_selectorINS0_5tupleIJyyEEENS0_10empty_typeEEEZNS1_10merge_implIS3_NS0_12zip_iteratorINS5_IJN6thrust23THRUST_200600_302600_NS6detail15normal_iteratorINSC_10device_ptrIKyEEEESI_EEEEESK_NSA_INS5_IJNSE_INSF_IyEEEESM_EEEEEPS7_SP_SP_NSC_11hip_rocprim7__merge17predicate_wrapperIyyNSC_4lessImEEEEEE10hipError_tPvRmT0_T1_T2_T3_T4_T5_mmT6_P12ihipStream_tbEUlT_E0_NS1_11comp_targetILNS1_3genE2ELNS1_11target_archE906ELNS1_3gpuE6ELNS1_3repE0EEENS1_30default_config_static_selectorELNS0_4arch9wavefront6targetE0EEEvS10_
    .private_segment_fixed_size: 0
    .sgpr_count:     0
    .sgpr_spill_count: 0
    .symbol:         _ZN7rocprim17ROCPRIM_400000_NS6detail17trampoline_kernelINS0_14default_configENS1_21merge_config_selectorINS0_5tupleIJyyEEENS0_10empty_typeEEEZNS1_10merge_implIS3_NS0_12zip_iteratorINS5_IJN6thrust23THRUST_200600_302600_NS6detail15normal_iteratorINSC_10device_ptrIKyEEEESI_EEEEESK_NSA_INS5_IJNSE_INSF_IyEEEESM_EEEEEPS7_SP_SP_NSC_11hip_rocprim7__merge17predicate_wrapperIyyNSC_4lessImEEEEEE10hipError_tPvRmT0_T1_T2_T3_T4_T5_mmT6_P12ihipStream_tbEUlT_E0_NS1_11comp_targetILNS1_3genE2ELNS1_11target_archE906ELNS1_3gpuE6ELNS1_3repE0EEENS1_30default_config_static_selectorELNS0_4arch9wavefront6targetE0EEEvS10_.kd
    .uniform_work_group_size: 1
    .uses_dynamic_stack: false
    .vgpr_count:     0
    .vgpr_spill_count: 0
    .wavefront_size: 32
  - .args:
      - .offset:         0
        .size:           112
        .value_kind:     by_value
    .group_segment_fixed_size: 0
    .kernarg_segment_align: 8
    .kernarg_segment_size: 112
    .language:       OpenCL C
    .language_version:
      - 2
      - 0
    .max_flat_workgroup_size: 512
    .name:           _ZN7rocprim17ROCPRIM_400000_NS6detail17trampoline_kernelINS0_14default_configENS1_21merge_config_selectorINS0_5tupleIJyyEEENS0_10empty_typeEEEZNS1_10merge_implIS3_NS0_12zip_iteratorINS5_IJN6thrust23THRUST_200600_302600_NS6detail15normal_iteratorINSC_10device_ptrIKyEEEESI_EEEEESK_NSA_INS5_IJNSE_INSF_IyEEEESM_EEEEEPS7_SP_SP_NSC_11hip_rocprim7__merge17predicate_wrapperIyyNSC_4lessImEEEEEE10hipError_tPvRmT0_T1_T2_T3_T4_T5_mmT6_P12ihipStream_tbEUlT_E0_NS1_11comp_targetILNS1_3genE10ELNS1_11target_archE1201ELNS1_3gpuE5ELNS1_3repE0EEENS1_30default_config_static_selectorELNS0_4arch9wavefront6targetE0EEEvS10_
    .private_segment_fixed_size: 0
    .sgpr_count:     0
    .sgpr_spill_count: 0
    .symbol:         _ZN7rocprim17ROCPRIM_400000_NS6detail17trampoline_kernelINS0_14default_configENS1_21merge_config_selectorINS0_5tupleIJyyEEENS0_10empty_typeEEEZNS1_10merge_implIS3_NS0_12zip_iteratorINS5_IJN6thrust23THRUST_200600_302600_NS6detail15normal_iteratorINSC_10device_ptrIKyEEEESI_EEEEESK_NSA_INS5_IJNSE_INSF_IyEEEESM_EEEEEPS7_SP_SP_NSC_11hip_rocprim7__merge17predicate_wrapperIyyNSC_4lessImEEEEEE10hipError_tPvRmT0_T1_T2_T3_T4_T5_mmT6_P12ihipStream_tbEUlT_E0_NS1_11comp_targetILNS1_3genE10ELNS1_11target_archE1201ELNS1_3gpuE5ELNS1_3repE0EEENS1_30default_config_static_selectorELNS0_4arch9wavefront6targetE0EEEvS10_.kd
    .uniform_work_group_size: 1
    .uses_dynamic_stack: false
    .vgpr_count:     0
    .vgpr_spill_count: 0
    .wavefront_size: 32
  - .args:
      - .offset:         0
        .size:           112
        .value_kind:     by_value
    .group_segment_fixed_size: 0
    .kernarg_segment_align: 8
    .kernarg_segment_size: 112
    .language:       OpenCL C
    .language_version:
      - 2
      - 0
    .max_flat_workgroup_size: 256
    .name:           _ZN7rocprim17ROCPRIM_400000_NS6detail17trampoline_kernelINS0_14default_configENS1_21merge_config_selectorINS0_5tupleIJyyEEENS0_10empty_typeEEEZNS1_10merge_implIS3_NS0_12zip_iteratorINS5_IJN6thrust23THRUST_200600_302600_NS6detail15normal_iteratorINSC_10device_ptrIKyEEEESI_EEEEESK_NSA_INS5_IJNSE_INSF_IyEEEESM_EEEEEPS7_SP_SP_NSC_11hip_rocprim7__merge17predicate_wrapperIyyNSC_4lessImEEEEEE10hipError_tPvRmT0_T1_T2_T3_T4_T5_mmT6_P12ihipStream_tbEUlT_E0_NS1_11comp_targetILNS1_3genE10ELNS1_11target_archE1200ELNS1_3gpuE4ELNS1_3repE0EEENS1_30default_config_static_selectorELNS0_4arch9wavefront6targetE0EEEvS10_
    .private_segment_fixed_size: 0
    .sgpr_count:     0
    .sgpr_spill_count: 0
    .symbol:         _ZN7rocprim17ROCPRIM_400000_NS6detail17trampoline_kernelINS0_14default_configENS1_21merge_config_selectorINS0_5tupleIJyyEEENS0_10empty_typeEEEZNS1_10merge_implIS3_NS0_12zip_iteratorINS5_IJN6thrust23THRUST_200600_302600_NS6detail15normal_iteratorINSC_10device_ptrIKyEEEESI_EEEEESK_NSA_INS5_IJNSE_INSF_IyEEEESM_EEEEEPS7_SP_SP_NSC_11hip_rocprim7__merge17predicate_wrapperIyyNSC_4lessImEEEEEE10hipError_tPvRmT0_T1_T2_T3_T4_T5_mmT6_P12ihipStream_tbEUlT_E0_NS1_11comp_targetILNS1_3genE10ELNS1_11target_archE1200ELNS1_3gpuE4ELNS1_3repE0EEENS1_30default_config_static_selectorELNS0_4arch9wavefront6targetE0EEEvS10_.kd
    .uniform_work_group_size: 1
    .uses_dynamic_stack: false
    .vgpr_count:     0
    .vgpr_spill_count: 0
    .wavefront_size: 32
  - .args:
      - .offset:         0
        .size:           112
        .value_kind:     by_value
    .group_segment_fixed_size: 0
    .kernarg_segment_align: 8
    .kernarg_segment_size: 112
    .language:       OpenCL C
    .language_version:
      - 2
      - 0
    .max_flat_workgroup_size: 1024
    .name:           _ZN7rocprim17ROCPRIM_400000_NS6detail17trampoline_kernelINS0_14default_configENS1_21merge_config_selectorINS0_5tupleIJyyEEENS0_10empty_typeEEEZNS1_10merge_implIS3_NS0_12zip_iteratorINS5_IJN6thrust23THRUST_200600_302600_NS6detail15normal_iteratorINSC_10device_ptrIKyEEEESI_EEEEESK_NSA_INS5_IJNSE_INSF_IyEEEESM_EEEEEPS7_SP_SP_NSC_11hip_rocprim7__merge17predicate_wrapperIyyNSC_4lessImEEEEEE10hipError_tPvRmT0_T1_T2_T3_T4_T5_mmT6_P12ihipStream_tbEUlT_E0_NS1_11comp_targetILNS1_3genE9ELNS1_11target_archE1100ELNS1_3gpuE3ELNS1_3repE0EEENS1_30default_config_static_selectorELNS0_4arch9wavefront6targetE0EEEvS10_
    .private_segment_fixed_size: 0
    .sgpr_count:     0
    .sgpr_spill_count: 0
    .symbol:         _ZN7rocprim17ROCPRIM_400000_NS6detail17trampoline_kernelINS0_14default_configENS1_21merge_config_selectorINS0_5tupleIJyyEEENS0_10empty_typeEEEZNS1_10merge_implIS3_NS0_12zip_iteratorINS5_IJN6thrust23THRUST_200600_302600_NS6detail15normal_iteratorINSC_10device_ptrIKyEEEESI_EEEEESK_NSA_INS5_IJNSE_INSF_IyEEEESM_EEEEEPS7_SP_SP_NSC_11hip_rocprim7__merge17predicate_wrapperIyyNSC_4lessImEEEEEE10hipError_tPvRmT0_T1_T2_T3_T4_T5_mmT6_P12ihipStream_tbEUlT_E0_NS1_11comp_targetILNS1_3genE9ELNS1_11target_archE1100ELNS1_3gpuE3ELNS1_3repE0EEENS1_30default_config_static_selectorELNS0_4arch9wavefront6targetE0EEEvS10_.kd
    .uniform_work_group_size: 1
    .uses_dynamic_stack: false
    .vgpr_count:     0
    .vgpr_spill_count: 0
    .wavefront_size: 32
  - .args:
      - .offset:         0
        .size:           112
        .value_kind:     by_value
    .group_segment_fixed_size: 0
    .kernarg_segment_align: 8
    .kernarg_segment_size: 112
    .language:       OpenCL C
    .language_version:
      - 2
      - 0
    .max_flat_workgroup_size: 256
    .name:           _ZN7rocprim17ROCPRIM_400000_NS6detail17trampoline_kernelINS0_14default_configENS1_21merge_config_selectorINS0_5tupleIJyyEEENS0_10empty_typeEEEZNS1_10merge_implIS3_NS0_12zip_iteratorINS5_IJN6thrust23THRUST_200600_302600_NS6detail15normal_iteratorINSC_10device_ptrIKyEEEESI_EEEEESK_NSA_INS5_IJNSE_INSF_IyEEEESM_EEEEEPS7_SP_SP_NSC_11hip_rocprim7__merge17predicate_wrapperIyyNSC_4lessImEEEEEE10hipError_tPvRmT0_T1_T2_T3_T4_T5_mmT6_P12ihipStream_tbEUlT_E0_NS1_11comp_targetILNS1_3genE8ELNS1_11target_archE1030ELNS1_3gpuE2ELNS1_3repE0EEENS1_30default_config_static_selectorELNS0_4arch9wavefront6targetE0EEEvS10_
    .private_segment_fixed_size: 0
    .sgpr_count:     0
    .sgpr_spill_count: 0
    .symbol:         _ZN7rocprim17ROCPRIM_400000_NS6detail17trampoline_kernelINS0_14default_configENS1_21merge_config_selectorINS0_5tupleIJyyEEENS0_10empty_typeEEEZNS1_10merge_implIS3_NS0_12zip_iteratorINS5_IJN6thrust23THRUST_200600_302600_NS6detail15normal_iteratorINSC_10device_ptrIKyEEEESI_EEEEESK_NSA_INS5_IJNSE_INSF_IyEEEESM_EEEEEPS7_SP_SP_NSC_11hip_rocprim7__merge17predicate_wrapperIyyNSC_4lessImEEEEEE10hipError_tPvRmT0_T1_T2_T3_T4_T5_mmT6_P12ihipStream_tbEUlT_E0_NS1_11comp_targetILNS1_3genE8ELNS1_11target_archE1030ELNS1_3gpuE2ELNS1_3repE0EEENS1_30default_config_static_selectorELNS0_4arch9wavefront6targetE0EEEvS10_.kd
    .uniform_work_group_size: 1
    .uses_dynamic_stack: false
    .vgpr_count:     0
    .vgpr_spill_count: 0
    .wavefront_size: 32
  - .args:
      - .offset:         0
        .size:           64
        .value_kind:     by_value
      - .offset:         64
        .size:           4
        .value_kind:     hidden_block_count_x
      - .offset:         68
        .size:           4
        .value_kind:     hidden_block_count_y
      - .offset:         72
        .size:           4
        .value_kind:     hidden_block_count_z
      - .offset:         76
        .size:           2
        .value_kind:     hidden_group_size_x
      - .offset:         78
        .size:           2
        .value_kind:     hidden_group_size_y
      - .offset:         80
        .size:           2
        .value_kind:     hidden_group_size_z
      - .offset:         82
        .size:           2
        .value_kind:     hidden_remainder_x
      - .offset:         84
        .size:           2
        .value_kind:     hidden_remainder_y
      - .offset:         86
        .size:           2
        .value_kind:     hidden_remainder_z
      - .offset:         104
        .size:           8
        .value_kind:     hidden_global_offset_x
      - .offset:         112
        .size:           8
        .value_kind:     hidden_global_offset_y
      - .offset:         120
        .size:           8
        .value_kind:     hidden_global_offset_z
      - .offset:         128
        .size:           2
        .value_kind:     hidden_grid_dims
    .group_segment_fixed_size: 0
    .kernarg_segment_align: 8
    .kernarg_segment_size: 320
    .language:       OpenCL C
    .language_version:
      - 2
      - 0
    .max_flat_workgroup_size: 512
    .name:           _ZN7rocprim17ROCPRIM_400000_NS6detail17trampoline_kernelINS0_14default_configENS1_21merge_config_selectorINS0_5tupleIJddEEENS0_10empty_typeEEEZNS1_10merge_implIS3_NS0_12zip_iteratorINS5_IJN6thrust23THRUST_200600_302600_NS6detail15normal_iteratorINSC_10device_ptrIKdEEEESI_EEEEESK_NSA_INS5_IJNSC_16discard_iteratorINSC_11use_defaultEEESN_EEEEEPS7_SQ_SQ_NSC_11hip_rocprim7__merge17predicate_wrapperIddNSC_4lessIdEEEEEE10hipError_tPvRmT0_T1_T2_T3_T4_T5_mmT6_P12ihipStream_tbEUlT_E_NS1_11comp_targetILNS1_3genE0ELNS1_11target_archE4294967295ELNS1_3gpuE0ELNS1_3repE0EEENS1_30default_config_static_selectorELNS0_4arch9wavefront6targetE0EEEvS11_
    .private_segment_fixed_size: 0
    .sgpr_count:     16
    .sgpr_spill_count: 0
    .symbol:         _ZN7rocprim17ROCPRIM_400000_NS6detail17trampoline_kernelINS0_14default_configENS1_21merge_config_selectorINS0_5tupleIJddEEENS0_10empty_typeEEEZNS1_10merge_implIS3_NS0_12zip_iteratorINS5_IJN6thrust23THRUST_200600_302600_NS6detail15normal_iteratorINSC_10device_ptrIKdEEEESI_EEEEESK_NSA_INS5_IJNSC_16discard_iteratorINSC_11use_defaultEEESN_EEEEEPS7_SQ_SQ_NSC_11hip_rocprim7__merge17predicate_wrapperIddNSC_4lessIdEEEEEE10hipError_tPvRmT0_T1_T2_T3_T4_T5_mmT6_P12ihipStream_tbEUlT_E_NS1_11comp_targetILNS1_3genE0ELNS1_11target_archE4294967295ELNS1_3gpuE0ELNS1_3repE0EEENS1_30default_config_static_selectorELNS0_4arch9wavefront6targetE0EEEvS11_.kd
    .uniform_work_group_size: 1
    .uses_dynamic_stack: false
    .vgpr_count:     18
    .vgpr_spill_count: 0
    .wavefront_size: 32
  - .args:
      - .offset:         0
        .size:           64
        .value_kind:     by_value
    .group_segment_fixed_size: 0
    .kernarg_segment_align: 8
    .kernarg_segment_size: 64
    .language:       OpenCL C
    .language_version:
      - 2
      - 0
    .max_flat_workgroup_size: 256
    .name:           _ZN7rocprim17ROCPRIM_400000_NS6detail17trampoline_kernelINS0_14default_configENS1_21merge_config_selectorINS0_5tupleIJddEEENS0_10empty_typeEEEZNS1_10merge_implIS3_NS0_12zip_iteratorINS5_IJN6thrust23THRUST_200600_302600_NS6detail15normal_iteratorINSC_10device_ptrIKdEEEESI_EEEEESK_NSA_INS5_IJNSC_16discard_iteratorINSC_11use_defaultEEESN_EEEEEPS7_SQ_SQ_NSC_11hip_rocprim7__merge17predicate_wrapperIddNSC_4lessIdEEEEEE10hipError_tPvRmT0_T1_T2_T3_T4_T5_mmT6_P12ihipStream_tbEUlT_E_NS1_11comp_targetILNS1_3genE5ELNS1_11target_archE942ELNS1_3gpuE9ELNS1_3repE0EEENS1_30default_config_static_selectorELNS0_4arch9wavefront6targetE0EEEvS11_
    .private_segment_fixed_size: 0
    .sgpr_count:     0
    .sgpr_spill_count: 0
    .symbol:         _ZN7rocprim17ROCPRIM_400000_NS6detail17trampoline_kernelINS0_14default_configENS1_21merge_config_selectorINS0_5tupleIJddEEENS0_10empty_typeEEEZNS1_10merge_implIS3_NS0_12zip_iteratorINS5_IJN6thrust23THRUST_200600_302600_NS6detail15normal_iteratorINSC_10device_ptrIKdEEEESI_EEEEESK_NSA_INS5_IJNSC_16discard_iteratorINSC_11use_defaultEEESN_EEEEEPS7_SQ_SQ_NSC_11hip_rocprim7__merge17predicate_wrapperIddNSC_4lessIdEEEEEE10hipError_tPvRmT0_T1_T2_T3_T4_T5_mmT6_P12ihipStream_tbEUlT_E_NS1_11comp_targetILNS1_3genE5ELNS1_11target_archE942ELNS1_3gpuE9ELNS1_3repE0EEENS1_30default_config_static_selectorELNS0_4arch9wavefront6targetE0EEEvS11_.kd
    .uniform_work_group_size: 1
    .uses_dynamic_stack: false
    .vgpr_count:     0
    .vgpr_spill_count: 0
    .wavefront_size: 32
  - .args:
      - .offset:         0
        .size:           64
        .value_kind:     by_value
    .group_segment_fixed_size: 0
    .kernarg_segment_align: 8
    .kernarg_segment_size: 64
    .language:       OpenCL C
    .language_version:
      - 2
      - 0
    .max_flat_workgroup_size: 512
    .name:           _ZN7rocprim17ROCPRIM_400000_NS6detail17trampoline_kernelINS0_14default_configENS1_21merge_config_selectorINS0_5tupleIJddEEENS0_10empty_typeEEEZNS1_10merge_implIS3_NS0_12zip_iteratorINS5_IJN6thrust23THRUST_200600_302600_NS6detail15normal_iteratorINSC_10device_ptrIKdEEEESI_EEEEESK_NSA_INS5_IJNSC_16discard_iteratorINSC_11use_defaultEEESN_EEEEEPS7_SQ_SQ_NSC_11hip_rocprim7__merge17predicate_wrapperIddNSC_4lessIdEEEEEE10hipError_tPvRmT0_T1_T2_T3_T4_T5_mmT6_P12ihipStream_tbEUlT_E_NS1_11comp_targetILNS1_3genE4ELNS1_11target_archE910ELNS1_3gpuE8ELNS1_3repE0EEENS1_30default_config_static_selectorELNS0_4arch9wavefront6targetE0EEEvS11_
    .private_segment_fixed_size: 0
    .sgpr_count:     0
    .sgpr_spill_count: 0
    .symbol:         _ZN7rocprim17ROCPRIM_400000_NS6detail17trampoline_kernelINS0_14default_configENS1_21merge_config_selectorINS0_5tupleIJddEEENS0_10empty_typeEEEZNS1_10merge_implIS3_NS0_12zip_iteratorINS5_IJN6thrust23THRUST_200600_302600_NS6detail15normal_iteratorINSC_10device_ptrIKdEEEESI_EEEEESK_NSA_INS5_IJNSC_16discard_iteratorINSC_11use_defaultEEESN_EEEEEPS7_SQ_SQ_NSC_11hip_rocprim7__merge17predicate_wrapperIddNSC_4lessIdEEEEEE10hipError_tPvRmT0_T1_T2_T3_T4_T5_mmT6_P12ihipStream_tbEUlT_E_NS1_11comp_targetILNS1_3genE4ELNS1_11target_archE910ELNS1_3gpuE8ELNS1_3repE0EEENS1_30default_config_static_selectorELNS0_4arch9wavefront6targetE0EEEvS11_.kd
    .uniform_work_group_size: 1
    .uses_dynamic_stack: false
    .vgpr_count:     0
    .vgpr_spill_count: 0
    .wavefront_size: 32
  - .args:
      - .offset:         0
        .size:           64
        .value_kind:     by_value
    .group_segment_fixed_size: 0
    .kernarg_segment_align: 8
    .kernarg_segment_size: 64
    .language:       OpenCL C
    .language_version:
      - 2
      - 0
    .max_flat_workgroup_size: 512
    .name:           _ZN7rocprim17ROCPRIM_400000_NS6detail17trampoline_kernelINS0_14default_configENS1_21merge_config_selectorINS0_5tupleIJddEEENS0_10empty_typeEEEZNS1_10merge_implIS3_NS0_12zip_iteratorINS5_IJN6thrust23THRUST_200600_302600_NS6detail15normal_iteratorINSC_10device_ptrIKdEEEESI_EEEEESK_NSA_INS5_IJNSC_16discard_iteratorINSC_11use_defaultEEESN_EEEEEPS7_SQ_SQ_NSC_11hip_rocprim7__merge17predicate_wrapperIddNSC_4lessIdEEEEEE10hipError_tPvRmT0_T1_T2_T3_T4_T5_mmT6_P12ihipStream_tbEUlT_E_NS1_11comp_targetILNS1_3genE3ELNS1_11target_archE908ELNS1_3gpuE7ELNS1_3repE0EEENS1_30default_config_static_selectorELNS0_4arch9wavefront6targetE0EEEvS11_
    .private_segment_fixed_size: 0
    .sgpr_count:     0
    .sgpr_spill_count: 0
    .symbol:         _ZN7rocprim17ROCPRIM_400000_NS6detail17trampoline_kernelINS0_14default_configENS1_21merge_config_selectorINS0_5tupleIJddEEENS0_10empty_typeEEEZNS1_10merge_implIS3_NS0_12zip_iteratorINS5_IJN6thrust23THRUST_200600_302600_NS6detail15normal_iteratorINSC_10device_ptrIKdEEEESI_EEEEESK_NSA_INS5_IJNSC_16discard_iteratorINSC_11use_defaultEEESN_EEEEEPS7_SQ_SQ_NSC_11hip_rocprim7__merge17predicate_wrapperIddNSC_4lessIdEEEEEE10hipError_tPvRmT0_T1_T2_T3_T4_T5_mmT6_P12ihipStream_tbEUlT_E_NS1_11comp_targetILNS1_3genE3ELNS1_11target_archE908ELNS1_3gpuE7ELNS1_3repE0EEENS1_30default_config_static_selectorELNS0_4arch9wavefront6targetE0EEEvS11_.kd
    .uniform_work_group_size: 1
    .uses_dynamic_stack: false
    .vgpr_count:     0
    .vgpr_spill_count: 0
    .wavefront_size: 32
  - .args:
      - .offset:         0
        .size:           64
        .value_kind:     by_value
    .group_segment_fixed_size: 0
    .kernarg_segment_align: 8
    .kernarg_segment_size: 64
    .language:       OpenCL C
    .language_version:
      - 2
      - 0
    .max_flat_workgroup_size: 512
    .name:           _ZN7rocprim17ROCPRIM_400000_NS6detail17trampoline_kernelINS0_14default_configENS1_21merge_config_selectorINS0_5tupleIJddEEENS0_10empty_typeEEEZNS1_10merge_implIS3_NS0_12zip_iteratorINS5_IJN6thrust23THRUST_200600_302600_NS6detail15normal_iteratorINSC_10device_ptrIKdEEEESI_EEEEESK_NSA_INS5_IJNSC_16discard_iteratorINSC_11use_defaultEEESN_EEEEEPS7_SQ_SQ_NSC_11hip_rocprim7__merge17predicate_wrapperIddNSC_4lessIdEEEEEE10hipError_tPvRmT0_T1_T2_T3_T4_T5_mmT6_P12ihipStream_tbEUlT_E_NS1_11comp_targetILNS1_3genE2ELNS1_11target_archE906ELNS1_3gpuE6ELNS1_3repE0EEENS1_30default_config_static_selectorELNS0_4arch9wavefront6targetE0EEEvS11_
    .private_segment_fixed_size: 0
    .sgpr_count:     0
    .sgpr_spill_count: 0
    .symbol:         _ZN7rocprim17ROCPRIM_400000_NS6detail17trampoline_kernelINS0_14default_configENS1_21merge_config_selectorINS0_5tupleIJddEEENS0_10empty_typeEEEZNS1_10merge_implIS3_NS0_12zip_iteratorINS5_IJN6thrust23THRUST_200600_302600_NS6detail15normal_iteratorINSC_10device_ptrIKdEEEESI_EEEEESK_NSA_INS5_IJNSC_16discard_iteratorINSC_11use_defaultEEESN_EEEEEPS7_SQ_SQ_NSC_11hip_rocprim7__merge17predicate_wrapperIddNSC_4lessIdEEEEEE10hipError_tPvRmT0_T1_T2_T3_T4_T5_mmT6_P12ihipStream_tbEUlT_E_NS1_11comp_targetILNS1_3genE2ELNS1_11target_archE906ELNS1_3gpuE6ELNS1_3repE0EEENS1_30default_config_static_selectorELNS0_4arch9wavefront6targetE0EEEvS11_.kd
    .uniform_work_group_size: 1
    .uses_dynamic_stack: false
    .vgpr_count:     0
    .vgpr_spill_count: 0
    .wavefront_size: 32
  - .args:
      - .offset:         0
        .size:           64
        .value_kind:     by_value
    .group_segment_fixed_size: 0
    .kernarg_segment_align: 8
    .kernarg_segment_size: 64
    .language:       OpenCL C
    .language_version:
      - 2
      - 0
    .max_flat_workgroup_size: 512
    .name:           _ZN7rocprim17ROCPRIM_400000_NS6detail17trampoline_kernelINS0_14default_configENS1_21merge_config_selectorINS0_5tupleIJddEEENS0_10empty_typeEEEZNS1_10merge_implIS3_NS0_12zip_iteratorINS5_IJN6thrust23THRUST_200600_302600_NS6detail15normal_iteratorINSC_10device_ptrIKdEEEESI_EEEEESK_NSA_INS5_IJNSC_16discard_iteratorINSC_11use_defaultEEESN_EEEEEPS7_SQ_SQ_NSC_11hip_rocprim7__merge17predicate_wrapperIddNSC_4lessIdEEEEEE10hipError_tPvRmT0_T1_T2_T3_T4_T5_mmT6_P12ihipStream_tbEUlT_E_NS1_11comp_targetILNS1_3genE10ELNS1_11target_archE1201ELNS1_3gpuE5ELNS1_3repE0EEENS1_30default_config_static_selectorELNS0_4arch9wavefront6targetE0EEEvS11_
    .private_segment_fixed_size: 0
    .sgpr_count:     0
    .sgpr_spill_count: 0
    .symbol:         _ZN7rocprim17ROCPRIM_400000_NS6detail17trampoline_kernelINS0_14default_configENS1_21merge_config_selectorINS0_5tupleIJddEEENS0_10empty_typeEEEZNS1_10merge_implIS3_NS0_12zip_iteratorINS5_IJN6thrust23THRUST_200600_302600_NS6detail15normal_iteratorINSC_10device_ptrIKdEEEESI_EEEEESK_NSA_INS5_IJNSC_16discard_iteratorINSC_11use_defaultEEESN_EEEEEPS7_SQ_SQ_NSC_11hip_rocprim7__merge17predicate_wrapperIddNSC_4lessIdEEEEEE10hipError_tPvRmT0_T1_T2_T3_T4_T5_mmT6_P12ihipStream_tbEUlT_E_NS1_11comp_targetILNS1_3genE10ELNS1_11target_archE1201ELNS1_3gpuE5ELNS1_3repE0EEENS1_30default_config_static_selectorELNS0_4arch9wavefront6targetE0EEEvS11_.kd
    .uniform_work_group_size: 1
    .uses_dynamic_stack: false
    .vgpr_count:     0
    .vgpr_spill_count: 0
    .wavefront_size: 32
  - .args:
      - .offset:         0
        .size:           64
        .value_kind:     by_value
    .group_segment_fixed_size: 0
    .kernarg_segment_align: 8
    .kernarg_segment_size: 64
    .language:       OpenCL C
    .language_version:
      - 2
      - 0
    .max_flat_workgroup_size: 256
    .name:           _ZN7rocprim17ROCPRIM_400000_NS6detail17trampoline_kernelINS0_14default_configENS1_21merge_config_selectorINS0_5tupleIJddEEENS0_10empty_typeEEEZNS1_10merge_implIS3_NS0_12zip_iteratorINS5_IJN6thrust23THRUST_200600_302600_NS6detail15normal_iteratorINSC_10device_ptrIKdEEEESI_EEEEESK_NSA_INS5_IJNSC_16discard_iteratorINSC_11use_defaultEEESN_EEEEEPS7_SQ_SQ_NSC_11hip_rocprim7__merge17predicate_wrapperIddNSC_4lessIdEEEEEE10hipError_tPvRmT0_T1_T2_T3_T4_T5_mmT6_P12ihipStream_tbEUlT_E_NS1_11comp_targetILNS1_3genE10ELNS1_11target_archE1200ELNS1_3gpuE4ELNS1_3repE0EEENS1_30default_config_static_selectorELNS0_4arch9wavefront6targetE0EEEvS11_
    .private_segment_fixed_size: 0
    .sgpr_count:     0
    .sgpr_spill_count: 0
    .symbol:         _ZN7rocprim17ROCPRIM_400000_NS6detail17trampoline_kernelINS0_14default_configENS1_21merge_config_selectorINS0_5tupleIJddEEENS0_10empty_typeEEEZNS1_10merge_implIS3_NS0_12zip_iteratorINS5_IJN6thrust23THRUST_200600_302600_NS6detail15normal_iteratorINSC_10device_ptrIKdEEEESI_EEEEESK_NSA_INS5_IJNSC_16discard_iteratorINSC_11use_defaultEEESN_EEEEEPS7_SQ_SQ_NSC_11hip_rocprim7__merge17predicate_wrapperIddNSC_4lessIdEEEEEE10hipError_tPvRmT0_T1_T2_T3_T4_T5_mmT6_P12ihipStream_tbEUlT_E_NS1_11comp_targetILNS1_3genE10ELNS1_11target_archE1200ELNS1_3gpuE4ELNS1_3repE0EEENS1_30default_config_static_selectorELNS0_4arch9wavefront6targetE0EEEvS11_.kd
    .uniform_work_group_size: 1
    .uses_dynamic_stack: false
    .vgpr_count:     0
    .vgpr_spill_count: 0
    .wavefront_size: 32
  - .args:
      - .offset:         0
        .size:           64
        .value_kind:     by_value
    .group_segment_fixed_size: 0
    .kernarg_segment_align: 8
    .kernarg_segment_size: 64
    .language:       OpenCL C
    .language_version:
      - 2
      - 0
    .max_flat_workgroup_size: 1024
    .name:           _ZN7rocprim17ROCPRIM_400000_NS6detail17trampoline_kernelINS0_14default_configENS1_21merge_config_selectorINS0_5tupleIJddEEENS0_10empty_typeEEEZNS1_10merge_implIS3_NS0_12zip_iteratorINS5_IJN6thrust23THRUST_200600_302600_NS6detail15normal_iteratorINSC_10device_ptrIKdEEEESI_EEEEESK_NSA_INS5_IJNSC_16discard_iteratorINSC_11use_defaultEEESN_EEEEEPS7_SQ_SQ_NSC_11hip_rocprim7__merge17predicate_wrapperIddNSC_4lessIdEEEEEE10hipError_tPvRmT0_T1_T2_T3_T4_T5_mmT6_P12ihipStream_tbEUlT_E_NS1_11comp_targetILNS1_3genE9ELNS1_11target_archE1100ELNS1_3gpuE3ELNS1_3repE0EEENS1_30default_config_static_selectorELNS0_4arch9wavefront6targetE0EEEvS11_
    .private_segment_fixed_size: 0
    .sgpr_count:     0
    .sgpr_spill_count: 0
    .symbol:         _ZN7rocprim17ROCPRIM_400000_NS6detail17trampoline_kernelINS0_14default_configENS1_21merge_config_selectorINS0_5tupleIJddEEENS0_10empty_typeEEEZNS1_10merge_implIS3_NS0_12zip_iteratorINS5_IJN6thrust23THRUST_200600_302600_NS6detail15normal_iteratorINSC_10device_ptrIKdEEEESI_EEEEESK_NSA_INS5_IJNSC_16discard_iteratorINSC_11use_defaultEEESN_EEEEEPS7_SQ_SQ_NSC_11hip_rocprim7__merge17predicate_wrapperIddNSC_4lessIdEEEEEE10hipError_tPvRmT0_T1_T2_T3_T4_T5_mmT6_P12ihipStream_tbEUlT_E_NS1_11comp_targetILNS1_3genE9ELNS1_11target_archE1100ELNS1_3gpuE3ELNS1_3repE0EEENS1_30default_config_static_selectorELNS0_4arch9wavefront6targetE0EEEvS11_.kd
    .uniform_work_group_size: 1
    .uses_dynamic_stack: false
    .vgpr_count:     0
    .vgpr_spill_count: 0
    .wavefront_size: 32
  - .args:
      - .offset:         0
        .size:           64
        .value_kind:     by_value
    .group_segment_fixed_size: 0
    .kernarg_segment_align: 8
    .kernarg_segment_size: 64
    .language:       OpenCL C
    .language_version:
      - 2
      - 0
    .max_flat_workgroup_size: 256
    .name:           _ZN7rocprim17ROCPRIM_400000_NS6detail17trampoline_kernelINS0_14default_configENS1_21merge_config_selectorINS0_5tupleIJddEEENS0_10empty_typeEEEZNS1_10merge_implIS3_NS0_12zip_iteratorINS5_IJN6thrust23THRUST_200600_302600_NS6detail15normal_iteratorINSC_10device_ptrIKdEEEESI_EEEEESK_NSA_INS5_IJNSC_16discard_iteratorINSC_11use_defaultEEESN_EEEEEPS7_SQ_SQ_NSC_11hip_rocprim7__merge17predicate_wrapperIddNSC_4lessIdEEEEEE10hipError_tPvRmT0_T1_T2_T3_T4_T5_mmT6_P12ihipStream_tbEUlT_E_NS1_11comp_targetILNS1_3genE8ELNS1_11target_archE1030ELNS1_3gpuE2ELNS1_3repE0EEENS1_30default_config_static_selectorELNS0_4arch9wavefront6targetE0EEEvS11_
    .private_segment_fixed_size: 0
    .sgpr_count:     0
    .sgpr_spill_count: 0
    .symbol:         _ZN7rocprim17ROCPRIM_400000_NS6detail17trampoline_kernelINS0_14default_configENS1_21merge_config_selectorINS0_5tupleIJddEEENS0_10empty_typeEEEZNS1_10merge_implIS3_NS0_12zip_iteratorINS5_IJN6thrust23THRUST_200600_302600_NS6detail15normal_iteratorINSC_10device_ptrIKdEEEESI_EEEEESK_NSA_INS5_IJNSC_16discard_iteratorINSC_11use_defaultEEESN_EEEEEPS7_SQ_SQ_NSC_11hip_rocprim7__merge17predicate_wrapperIddNSC_4lessIdEEEEEE10hipError_tPvRmT0_T1_T2_T3_T4_T5_mmT6_P12ihipStream_tbEUlT_E_NS1_11comp_targetILNS1_3genE8ELNS1_11target_archE1030ELNS1_3gpuE2ELNS1_3repE0EEENS1_30default_config_static_selectorELNS0_4arch9wavefront6targetE0EEEvS11_.kd
    .uniform_work_group_size: 1
    .uses_dynamic_stack: false
    .vgpr_count:     0
    .vgpr_spill_count: 0
    .wavefront_size: 32
  - .args:
      - .offset:         0
        .size:           128
        .value_kind:     by_value
    .group_segment_fixed_size: 16896
    .kernarg_segment_align: 8
    .kernarg_segment_size: 128
    .language:       OpenCL C
    .language_version:
      - 2
      - 0
    .max_flat_workgroup_size: 512
    .name:           _ZN7rocprim17ROCPRIM_400000_NS6detail17trampoline_kernelINS0_14default_configENS1_21merge_config_selectorINS0_5tupleIJddEEENS0_10empty_typeEEEZNS1_10merge_implIS3_NS0_12zip_iteratorINS5_IJN6thrust23THRUST_200600_302600_NS6detail15normal_iteratorINSC_10device_ptrIKdEEEESI_EEEEESK_NSA_INS5_IJNSC_16discard_iteratorINSC_11use_defaultEEESN_EEEEEPS7_SQ_SQ_NSC_11hip_rocprim7__merge17predicate_wrapperIddNSC_4lessIdEEEEEE10hipError_tPvRmT0_T1_T2_T3_T4_T5_mmT6_P12ihipStream_tbEUlT_E0_NS1_11comp_targetILNS1_3genE0ELNS1_11target_archE4294967295ELNS1_3gpuE0ELNS1_3repE0EEENS1_30default_config_static_selectorELNS0_4arch9wavefront6targetE0EEEvS11_
    .private_segment_fixed_size: 0
    .sgpr_count:     24
    .sgpr_spill_count: 0
    .symbol:         _ZN7rocprim17ROCPRIM_400000_NS6detail17trampoline_kernelINS0_14default_configENS1_21merge_config_selectorINS0_5tupleIJddEEENS0_10empty_typeEEEZNS1_10merge_implIS3_NS0_12zip_iteratorINS5_IJN6thrust23THRUST_200600_302600_NS6detail15normal_iteratorINSC_10device_ptrIKdEEEESI_EEEEESK_NSA_INS5_IJNSC_16discard_iteratorINSC_11use_defaultEEESN_EEEEEPS7_SQ_SQ_NSC_11hip_rocprim7__merge17predicate_wrapperIddNSC_4lessIdEEEEEE10hipError_tPvRmT0_T1_T2_T3_T4_T5_mmT6_P12ihipStream_tbEUlT_E0_NS1_11comp_targetILNS1_3genE0ELNS1_11target_archE4294967295ELNS1_3gpuE0ELNS1_3repE0EEENS1_30default_config_static_selectorELNS0_4arch9wavefront6targetE0EEEvS11_.kd
    .uniform_work_group_size: 1
    .uses_dynamic_stack: false
    .vgpr_count:     22
    .vgpr_spill_count: 0
    .wavefront_size: 32
  - .args:
      - .offset:         0
        .size:           128
        .value_kind:     by_value
    .group_segment_fixed_size: 0
    .kernarg_segment_align: 8
    .kernarg_segment_size: 128
    .language:       OpenCL C
    .language_version:
      - 2
      - 0
    .max_flat_workgroup_size: 256
    .name:           _ZN7rocprim17ROCPRIM_400000_NS6detail17trampoline_kernelINS0_14default_configENS1_21merge_config_selectorINS0_5tupleIJddEEENS0_10empty_typeEEEZNS1_10merge_implIS3_NS0_12zip_iteratorINS5_IJN6thrust23THRUST_200600_302600_NS6detail15normal_iteratorINSC_10device_ptrIKdEEEESI_EEEEESK_NSA_INS5_IJNSC_16discard_iteratorINSC_11use_defaultEEESN_EEEEEPS7_SQ_SQ_NSC_11hip_rocprim7__merge17predicate_wrapperIddNSC_4lessIdEEEEEE10hipError_tPvRmT0_T1_T2_T3_T4_T5_mmT6_P12ihipStream_tbEUlT_E0_NS1_11comp_targetILNS1_3genE5ELNS1_11target_archE942ELNS1_3gpuE9ELNS1_3repE0EEENS1_30default_config_static_selectorELNS0_4arch9wavefront6targetE0EEEvS11_
    .private_segment_fixed_size: 0
    .sgpr_count:     0
    .sgpr_spill_count: 0
    .symbol:         _ZN7rocprim17ROCPRIM_400000_NS6detail17trampoline_kernelINS0_14default_configENS1_21merge_config_selectorINS0_5tupleIJddEEENS0_10empty_typeEEEZNS1_10merge_implIS3_NS0_12zip_iteratorINS5_IJN6thrust23THRUST_200600_302600_NS6detail15normal_iteratorINSC_10device_ptrIKdEEEESI_EEEEESK_NSA_INS5_IJNSC_16discard_iteratorINSC_11use_defaultEEESN_EEEEEPS7_SQ_SQ_NSC_11hip_rocprim7__merge17predicate_wrapperIddNSC_4lessIdEEEEEE10hipError_tPvRmT0_T1_T2_T3_T4_T5_mmT6_P12ihipStream_tbEUlT_E0_NS1_11comp_targetILNS1_3genE5ELNS1_11target_archE942ELNS1_3gpuE9ELNS1_3repE0EEENS1_30default_config_static_selectorELNS0_4arch9wavefront6targetE0EEEvS11_.kd
    .uniform_work_group_size: 1
    .uses_dynamic_stack: false
    .vgpr_count:     0
    .vgpr_spill_count: 0
    .wavefront_size: 32
  - .args:
      - .offset:         0
        .size:           128
        .value_kind:     by_value
    .group_segment_fixed_size: 0
    .kernarg_segment_align: 8
    .kernarg_segment_size: 128
    .language:       OpenCL C
    .language_version:
      - 2
      - 0
    .max_flat_workgroup_size: 512
    .name:           _ZN7rocprim17ROCPRIM_400000_NS6detail17trampoline_kernelINS0_14default_configENS1_21merge_config_selectorINS0_5tupleIJddEEENS0_10empty_typeEEEZNS1_10merge_implIS3_NS0_12zip_iteratorINS5_IJN6thrust23THRUST_200600_302600_NS6detail15normal_iteratorINSC_10device_ptrIKdEEEESI_EEEEESK_NSA_INS5_IJNSC_16discard_iteratorINSC_11use_defaultEEESN_EEEEEPS7_SQ_SQ_NSC_11hip_rocprim7__merge17predicate_wrapperIddNSC_4lessIdEEEEEE10hipError_tPvRmT0_T1_T2_T3_T4_T5_mmT6_P12ihipStream_tbEUlT_E0_NS1_11comp_targetILNS1_3genE4ELNS1_11target_archE910ELNS1_3gpuE8ELNS1_3repE0EEENS1_30default_config_static_selectorELNS0_4arch9wavefront6targetE0EEEvS11_
    .private_segment_fixed_size: 0
    .sgpr_count:     0
    .sgpr_spill_count: 0
    .symbol:         _ZN7rocprim17ROCPRIM_400000_NS6detail17trampoline_kernelINS0_14default_configENS1_21merge_config_selectorINS0_5tupleIJddEEENS0_10empty_typeEEEZNS1_10merge_implIS3_NS0_12zip_iteratorINS5_IJN6thrust23THRUST_200600_302600_NS6detail15normal_iteratorINSC_10device_ptrIKdEEEESI_EEEEESK_NSA_INS5_IJNSC_16discard_iteratorINSC_11use_defaultEEESN_EEEEEPS7_SQ_SQ_NSC_11hip_rocprim7__merge17predicate_wrapperIddNSC_4lessIdEEEEEE10hipError_tPvRmT0_T1_T2_T3_T4_T5_mmT6_P12ihipStream_tbEUlT_E0_NS1_11comp_targetILNS1_3genE4ELNS1_11target_archE910ELNS1_3gpuE8ELNS1_3repE0EEENS1_30default_config_static_selectorELNS0_4arch9wavefront6targetE0EEEvS11_.kd
    .uniform_work_group_size: 1
    .uses_dynamic_stack: false
    .vgpr_count:     0
    .vgpr_spill_count: 0
    .wavefront_size: 32
  - .args:
      - .offset:         0
        .size:           128
        .value_kind:     by_value
    .group_segment_fixed_size: 0
    .kernarg_segment_align: 8
    .kernarg_segment_size: 128
    .language:       OpenCL C
    .language_version:
      - 2
      - 0
    .max_flat_workgroup_size: 512
    .name:           _ZN7rocprim17ROCPRIM_400000_NS6detail17trampoline_kernelINS0_14default_configENS1_21merge_config_selectorINS0_5tupleIJddEEENS0_10empty_typeEEEZNS1_10merge_implIS3_NS0_12zip_iteratorINS5_IJN6thrust23THRUST_200600_302600_NS6detail15normal_iteratorINSC_10device_ptrIKdEEEESI_EEEEESK_NSA_INS5_IJNSC_16discard_iteratorINSC_11use_defaultEEESN_EEEEEPS7_SQ_SQ_NSC_11hip_rocprim7__merge17predicate_wrapperIddNSC_4lessIdEEEEEE10hipError_tPvRmT0_T1_T2_T3_T4_T5_mmT6_P12ihipStream_tbEUlT_E0_NS1_11comp_targetILNS1_3genE3ELNS1_11target_archE908ELNS1_3gpuE7ELNS1_3repE0EEENS1_30default_config_static_selectorELNS0_4arch9wavefront6targetE0EEEvS11_
    .private_segment_fixed_size: 0
    .sgpr_count:     0
    .sgpr_spill_count: 0
    .symbol:         _ZN7rocprim17ROCPRIM_400000_NS6detail17trampoline_kernelINS0_14default_configENS1_21merge_config_selectorINS0_5tupleIJddEEENS0_10empty_typeEEEZNS1_10merge_implIS3_NS0_12zip_iteratorINS5_IJN6thrust23THRUST_200600_302600_NS6detail15normal_iteratorINSC_10device_ptrIKdEEEESI_EEEEESK_NSA_INS5_IJNSC_16discard_iteratorINSC_11use_defaultEEESN_EEEEEPS7_SQ_SQ_NSC_11hip_rocprim7__merge17predicate_wrapperIddNSC_4lessIdEEEEEE10hipError_tPvRmT0_T1_T2_T3_T4_T5_mmT6_P12ihipStream_tbEUlT_E0_NS1_11comp_targetILNS1_3genE3ELNS1_11target_archE908ELNS1_3gpuE7ELNS1_3repE0EEENS1_30default_config_static_selectorELNS0_4arch9wavefront6targetE0EEEvS11_.kd
    .uniform_work_group_size: 1
    .uses_dynamic_stack: false
    .vgpr_count:     0
    .vgpr_spill_count: 0
    .wavefront_size: 32
  - .args:
      - .offset:         0
        .size:           128
        .value_kind:     by_value
    .group_segment_fixed_size: 0
    .kernarg_segment_align: 8
    .kernarg_segment_size: 128
    .language:       OpenCL C
    .language_version:
      - 2
      - 0
    .max_flat_workgroup_size: 512
    .name:           _ZN7rocprim17ROCPRIM_400000_NS6detail17trampoline_kernelINS0_14default_configENS1_21merge_config_selectorINS0_5tupleIJddEEENS0_10empty_typeEEEZNS1_10merge_implIS3_NS0_12zip_iteratorINS5_IJN6thrust23THRUST_200600_302600_NS6detail15normal_iteratorINSC_10device_ptrIKdEEEESI_EEEEESK_NSA_INS5_IJNSC_16discard_iteratorINSC_11use_defaultEEESN_EEEEEPS7_SQ_SQ_NSC_11hip_rocprim7__merge17predicate_wrapperIddNSC_4lessIdEEEEEE10hipError_tPvRmT0_T1_T2_T3_T4_T5_mmT6_P12ihipStream_tbEUlT_E0_NS1_11comp_targetILNS1_3genE2ELNS1_11target_archE906ELNS1_3gpuE6ELNS1_3repE0EEENS1_30default_config_static_selectorELNS0_4arch9wavefront6targetE0EEEvS11_
    .private_segment_fixed_size: 0
    .sgpr_count:     0
    .sgpr_spill_count: 0
    .symbol:         _ZN7rocprim17ROCPRIM_400000_NS6detail17trampoline_kernelINS0_14default_configENS1_21merge_config_selectorINS0_5tupleIJddEEENS0_10empty_typeEEEZNS1_10merge_implIS3_NS0_12zip_iteratorINS5_IJN6thrust23THRUST_200600_302600_NS6detail15normal_iteratorINSC_10device_ptrIKdEEEESI_EEEEESK_NSA_INS5_IJNSC_16discard_iteratorINSC_11use_defaultEEESN_EEEEEPS7_SQ_SQ_NSC_11hip_rocprim7__merge17predicate_wrapperIddNSC_4lessIdEEEEEE10hipError_tPvRmT0_T1_T2_T3_T4_T5_mmT6_P12ihipStream_tbEUlT_E0_NS1_11comp_targetILNS1_3genE2ELNS1_11target_archE906ELNS1_3gpuE6ELNS1_3repE0EEENS1_30default_config_static_selectorELNS0_4arch9wavefront6targetE0EEEvS11_.kd
    .uniform_work_group_size: 1
    .uses_dynamic_stack: false
    .vgpr_count:     0
    .vgpr_spill_count: 0
    .wavefront_size: 32
  - .args:
      - .offset:         0
        .size:           128
        .value_kind:     by_value
    .group_segment_fixed_size: 0
    .kernarg_segment_align: 8
    .kernarg_segment_size: 128
    .language:       OpenCL C
    .language_version:
      - 2
      - 0
    .max_flat_workgroup_size: 512
    .name:           _ZN7rocprim17ROCPRIM_400000_NS6detail17trampoline_kernelINS0_14default_configENS1_21merge_config_selectorINS0_5tupleIJddEEENS0_10empty_typeEEEZNS1_10merge_implIS3_NS0_12zip_iteratorINS5_IJN6thrust23THRUST_200600_302600_NS6detail15normal_iteratorINSC_10device_ptrIKdEEEESI_EEEEESK_NSA_INS5_IJNSC_16discard_iteratorINSC_11use_defaultEEESN_EEEEEPS7_SQ_SQ_NSC_11hip_rocprim7__merge17predicate_wrapperIddNSC_4lessIdEEEEEE10hipError_tPvRmT0_T1_T2_T3_T4_T5_mmT6_P12ihipStream_tbEUlT_E0_NS1_11comp_targetILNS1_3genE10ELNS1_11target_archE1201ELNS1_3gpuE5ELNS1_3repE0EEENS1_30default_config_static_selectorELNS0_4arch9wavefront6targetE0EEEvS11_
    .private_segment_fixed_size: 0
    .sgpr_count:     0
    .sgpr_spill_count: 0
    .symbol:         _ZN7rocprim17ROCPRIM_400000_NS6detail17trampoline_kernelINS0_14default_configENS1_21merge_config_selectorINS0_5tupleIJddEEENS0_10empty_typeEEEZNS1_10merge_implIS3_NS0_12zip_iteratorINS5_IJN6thrust23THRUST_200600_302600_NS6detail15normal_iteratorINSC_10device_ptrIKdEEEESI_EEEEESK_NSA_INS5_IJNSC_16discard_iteratorINSC_11use_defaultEEESN_EEEEEPS7_SQ_SQ_NSC_11hip_rocprim7__merge17predicate_wrapperIddNSC_4lessIdEEEEEE10hipError_tPvRmT0_T1_T2_T3_T4_T5_mmT6_P12ihipStream_tbEUlT_E0_NS1_11comp_targetILNS1_3genE10ELNS1_11target_archE1201ELNS1_3gpuE5ELNS1_3repE0EEENS1_30default_config_static_selectorELNS0_4arch9wavefront6targetE0EEEvS11_.kd
    .uniform_work_group_size: 1
    .uses_dynamic_stack: false
    .vgpr_count:     0
    .vgpr_spill_count: 0
    .wavefront_size: 32
  - .args:
      - .offset:         0
        .size:           128
        .value_kind:     by_value
    .group_segment_fixed_size: 0
    .kernarg_segment_align: 8
    .kernarg_segment_size: 128
    .language:       OpenCL C
    .language_version:
      - 2
      - 0
    .max_flat_workgroup_size: 256
    .name:           _ZN7rocprim17ROCPRIM_400000_NS6detail17trampoline_kernelINS0_14default_configENS1_21merge_config_selectorINS0_5tupleIJddEEENS0_10empty_typeEEEZNS1_10merge_implIS3_NS0_12zip_iteratorINS5_IJN6thrust23THRUST_200600_302600_NS6detail15normal_iteratorINSC_10device_ptrIKdEEEESI_EEEEESK_NSA_INS5_IJNSC_16discard_iteratorINSC_11use_defaultEEESN_EEEEEPS7_SQ_SQ_NSC_11hip_rocprim7__merge17predicate_wrapperIddNSC_4lessIdEEEEEE10hipError_tPvRmT0_T1_T2_T3_T4_T5_mmT6_P12ihipStream_tbEUlT_E0_NS1_11comp_targetILNS1_3genE10ELNS1_11target_archE1200ELNS1_3gpuE4ELNS1_3repE0EEENS1_30default_config_static_selectorELNS0_4arch9wavefront6targetE0EEEvS11_
    .private_segment_fixed_size: 0
    .sgpr_count:     0
    .sgpr_spill_count: 0
    .symbol:         _ZN7rocprim17ROCPRIM_400000_NS6detail17trampoline_kernelINS0_14default_configENS1_21merge_config_selectorINS0_5tupleIJddEEENS0_10empty_typeEEEZNS1_10merge_implIS3_NS0_12zip_iteratorINS5_IJN6thrust23THRUST_200600_302600_NS6detail15normal_iteratorINSC_10device_ptrIKdEEEESI_EEEEESK_NSA_INS5_IJNSC_16discard_iteratorINSC_11use_defaultEEESN_EEEEEPS7_SQ_SQ_NSC_11hip_rocprim7__merge17predicate_wrapperIddNSC_4lessIdEEEEEE10hipError_tPvRmT0_T1_T2_T3_T4_T5_mmT6_P12ihipStream_tbEUlT_E0_NS1_11comp_targetILNS1_3genE10ELNS1_11target_archE1200ELNS1_3gpuE4ELNS1_3repE0EEENS1_30default_config_static_selectorELNS0_4arch9wavefront6targetE0EEEvS11_.kd
    .uniform_work_group_size: 1
    .uses_dynamic_stack: false
    .vgpr_count:     0
    .vgpr_spill_count: 0
    .wavefront_size: 32
  - .args:
      - .offset:         0
        .size:           128
        .value_kind:     by_value
    .group_segment_fixed_size: 0
    .kernarg_segment_align: 8
    .kernarg_segment_size: 128
    .language:       OpenCL C
    .language_version:
      - 2
      - 0
    .max_flat_workgroup_size: 1024
    .name:           _ZN7rocprim17ROCPRIM_400000_NS6detail17trampoline_kernelINS0_14default_configENS1_21merge_config_selectorINS0_5tupleIJddEEENS0_10empty_typeEEEZNS1_10merge_implIS3_NS0_12zip_iteratorINS5_IJN6thrust23THRUST_200600_302600_NS6detail15normal_iteratorINSC_10device_ptrIKdEEEESI_EEEEESK_NSA_INS5_IJNSC_16discard_iteratorINSC_11use_defaultEEESN_EEEEEPS7_SQ_SQ_NSC_11hip_rocprim7__merge17predicate_wrapperIddNSC_4lessIdEEEEEE10hipError_tPvRmT0_T1_T2_T3_T4_T5_mmT6_P12ihipStream_tbEUlT_E0_NS1_11comp_targetILNS1_3genE9ELNS1_11target_archE1100ELNS1_3gpuE3ELNS1_3repE0EEENS1_30default_config_static_selectorELNS0_4arch9wavefront6targetE0EEEvS11_
    .private_segment_fixed_size: 0
    .sgpr_count:     0
    .sgpr_spill_count: 0
    .symbol:         _ZN7rocprim17ROCPRIM_400000_NS6detail17trampoline_kernelINS0_14default_configENS1_21merge_config_selectorINS0_5tupleIJddEEENS0_10empty_typeEEEZNS1_10merge_implIS3_NS0_12zip_iteratorINS5_IJN6thrust23THRUST_200600_302600_NS6detail15normal_iteratorINSC_10device_ptrIKdEEEESI_EEEEESK_NSA_INS5_IJNSC_16discard_iteratorINSC_11use_defaultEEESN_EEEEEPS7_SQ_SQ_NSC_11hip_rocprim7__merge17predicate_wrapperIddNSC_4lessIdEEEEEE10hipError_tPvRmT0_T1_T2_T3_T4_T5_mmT6_P12ihipStream_tbEUlT_E0_NS1_11comp_targetILNS1_3genE9ELNS1_11target_archE1100ELNS1_3gpuE3ELNS1_3repE0EEENS1_30default_config_static_selectorELNS0_4arch9wavefront6targetE0EEEvS11_.kd
    .uniform_work_group_size: 1
    .uses_dynamic_stack: false
    .vgpr_count:     0
    .vgpr_spill_count: 0
    .wavefront_size: 32
  - .args:
      - .offset:         0
        .size:           128
        .value_kind:     by_value
    .group_segment_fixed_size: 0
    .kernarg_segment_align: 8
    .kernarg_segment_size: 128
    .language:       OpenCL C
    .language_version:
      - 2
      - 0
    .max_flat_workgroup_size: 256
    .name:           _ZN7rocprim17ROCPRIM_400000_NS6detail17trampoline_kernelINS0_14default_configENS1_21merge_config_selectorINS0_5tupleIJddEEENS0_10empty_typeEEEZNS1_10merge_implIS3_NS0_12zip_iteratorINS5_IJN6thrust23THRUST_200600_302600_NS6detail15normal_iteratorINSC_10device_ptrIKdEEEESI_EEEEESK_NSA_INS5_IJNSC_16discard_iteratorINSC_11use_defaultEEESN_EEEEEPS7_SQ_SQ_NSC_11hip_rocprim7__merge17predicate_wrapperIddNSC_4lessIdEEEEEE10hipError_tPvRmT0_T1_T2_T3_T4_T5_mmT6_P12ihipStream_tbEUlT_E0_NS1_11comp_targetILNS1_3genE8ELNS1_11target_archE1030ELNS1_3gpuE2ELNS1_3repE0EEENS1_30default_config_static_selectorELNS0_4arch9wavefront6targetE0EEEvS11_
    .private_segment_fixed_size: 0
    .sgpr_count:     0
    .sgpr_spill_count: 0
    .symbol:         _ZN7rocprim17ROCPRIM_400000_NS6detail17trampoline_kernelINS0_14default_configENS1_21merge_config_selectorINS0_5tupleIJddEEENS0_10empty_typeEEEZNS1_10merge_implIS3_NS0_12zip_iteratorINS5_IJN6thrust23THRUST_200600_302600_NS6detail15normal_iteratorINSC_10device_ptrIKdEEEESI_EEEEESK_NSA_INS5_IJNSC_16discard_iteratorINSC_11use_defaultEEESN_EEEEEPS7_SQ_SQ_NSC_11hip_rocprim7__merge17predicate_wrapperIddNSC_4lessIdEEEEEE10hipError_tPvRmT0_T1_T2_T3_T4_T5_mmT6_P12ihipStream_tbEUlT_E0_NS1_11comp_targetILNS1_3genE8ELNS1_11target_archE1030ELNS1_3gpuE2ELNS1_3repE0EEENS1_30default_config_static_selectorELNS0_4arch9wavefront6targetE0EEEvS11_.kd
    .uniform_work_group_size: 1
    .uses_dynamic_stack: false
    .vgpr_count:     0
    .vgpr_spill_count: 0
    .wavefront_size: 32
  - .args:
      - .offset:         0
        .size:           64
        .value_kind:     by_value
      - .offset:         64
        .size:           4
        .value_kind:     hidden_block_count_x
      - .offset:         68
        .size:           4
        .value_kind:     hidden_block_count_y
      - .offset:         72
        .size:           4
        .value_kind:     hidden_block_count_z
      - .offset:         76
        .size:           2
        .value_kind:     hidden_group_size_x
      - .offset:         78
        .size:           2
        .value_kind:     hidden_group_size_y
      - .offset:         80
        .size:           2
        .value_kind:     hidden_group_size_z
      - .offset:         82
        .size:           2
        .value_kind:     hidden_remainder_x
      - .offset:         84
        .size:           2
        .value_kind:     hidden_remainder_y
      - .offset:         86
        .size:           2
        .value_kind:     hidden_remainder_z
      - .offset:         104
        .size:           8
        .value_kind:     hidden_global_offset_x
      - .offset:         112
        .size:           8
        .value_kind:     hidden_global_offset_y
      - .offset:         120
        .size:           8
        .value_kind:     hidden_global_offset_z
      - .offset:         128
        .size:           2
        .value_kind:     hidden_grid_dims
    .group_segment_fixed_size: 0
    .kernarg_segment_align: 8
    .kernarg_segment_size: 320
    .language:       OpenCL C
    .language_version:
      - 2
      - 0
    .max_flat_workgroup_size: 256
    .name:           _ZN7rocprim17ROCPRIM_400000_NS6detail17trampoline_kernelINS0_14default_configENS1_21merge_config_selectorINS0_5tupleIJffEEENS0_10empty_typeEEEZNS1_10merge_implIS3_NS0_12zip_iteratorINS5_IJN6thrust23THRUST_200600_302600_NS6detail15normal_iteratorINSC_10device_ptrIKfEEEESI_EEEEESK_NSA_INS5_IJNSC_16discard_iteratorINSC_11use_defaultEEESN_EEEEEPS7_SQ_SQ_NSC_11hip_rocprim7__merge17predicate_wrapperIffNSC_4lessIfEEEEEE10hipError_tPvRmT0_T1_T2_T3_T4_T5_mmT6_P12ihipStream_tbEUlT_E_NS1_11comp_targetILNS1_3genE0ELNS1_11target_archE4294967295ELNS1_3gpuE0ELNS1_3repE0EEENS1_30default_config_static_selectorELNS0_4arch9wavefront6targetE0EEEvS11_
    .private_segment_fixed_size: 0
    .sgpr_count:     16
    .sgpr_spill_count: 0
    .symbol:         _ZN7rocprim17ROCPRIM_400000_NS6detail17trampoline_kernelINS0_14default_configENS1_21merge_config_selectorINS0_5tupleIJffEEENS0_10empty_typeEEEZNS1_10merge_implIS3_NS0_12zip_iteratorINS5_IJN6thrust23THRUST_200600_302600_NS6detail15normal_iteratorINSC_10device_ptrIKfEEEESI_EEEEESK_NSA_INS5_IJNSC_16discard_iteratorINSC_11use_defaultEEESN_EEEEEPS7_SQ_SQ_NSC_11hip_rocprim7__merge17predicate_wrapperIffNSC_4lessIfEEEEEE10hipError_tPvRmT0_T1_T2_T3_T4_T5_mmT6_P12ihipStream_tbEUlT_E_NS1_11comp_targetILNS1_3genE0ELNS1_11target_archE4294967295ELNS1_3gpuE0ELNS1_3repE0EEENS1_30default_config_static_selectorELNS0_4arch9wavefront6targetE0EEEvS11_.kd
    .uniform_work_group_size: 1
    .uses_dynamic_stack: false
    .vgpr_count:     15
    .vgpr_spill_count: 0
    .wavefront_size: 32
  - .args:
      - .offset:         0
        .size:           64
        .value_kind:     by_value
    .group_segment_fixed_size: 0
    .kernarg_segment_align: 8
    .kernarg_segment_size: 64
    .language:       OpenCL C
    .language_version:
      - 2
      - 0
    .max_flat_workgroup_size: 256
    .name:           _ZN7rocprim17ROCPRIM_400000_NS6detail17trampoline_kernelINS0_14default_configENS1_21merge_config_selectorINS0_5tupleIJffEEENS0_10empty_typeEEEZNS1_10merge_implIS3_NS0_12zip_iteratorINS5_IJN6thrust23THRUST_200600_302600_NS6detail15normal_iteratorINSC_10device_ptrIKfEEEESI_EEEEESK_NSA_INS5_IJNSC_16discard_iteratorINSC_11use_defaultEEESN_EEEEEPS7_SQ_SQ_NSC_11hip_rocprim7__merge17predicate_wrapperIffNSC_4lessIfEEEEEE10hipError_tPvRmT0_T1_T2_T3_T4_T5_mmT6_P12ihipStream_tbEUlT_E_NS1_11comp_targetILNS1_3genE5ELNS1_11target_archE942ELNS1_3gpuE9ELNS1_3repE0EEENS1_30default_config_static_selectorELNS0_4arch9wavefront6targetE0EEEvS11_
    .private_segment_fixed_size: 0
    .sgpr_count:     0
    .sgpr_spill_count: 0
    .symbol:         _ZN7rocprim17ROCPRIM_400000_NS6detail17trampoline_kernelINS0_14default_configENS1_21merge_config_selectorINS0_5tupleIJffEEENS0_10empty_typeEEEZNS1_10merge_implIS3_NS0_12zip_iteratorINS5_IJN6thrust23THRUST_200600_302600_NS6detail15normal_iteratorINSC_10device_ptrIKfEEEESI_EEEEESK_NSA_INS5_IJNSC_16discard_iteratorINSC_11use_defaultEEESN_EEEEEPS7_SQ_SQ_NSC_11hip_rocprim7__merge17predicate_wrapperIffNSC_4lessIfEEEEEE10hipError_tPvRmT0_T1_T2_T3_T4_T5_mmT6_P12ihipStream_tbEUlT_E_NS1_11comp_targetILNS1_3genE5ELNS1_11target_archE942ELNS1_3gpuE9ELNS1_3repE0EEENS1_30default_config_static_selectorELNS0_4arch9wavefront6targetE0EEEvS11_.kd
    .uniform_work_group_size: 1
    .uses_dynamic_stack: false
    .vgpr_count:     0
    .vgpr_spill_count: 0
    .wavefront_size: 32
  - .args:
      - .offset:         0
        .size:           64
        .value_kind:     by_value
    .group_segment_fixed_size: 0
    .kernarg_segment_align: 8
    .kernarg_segment_size: 64
    .language:       OpenCL C
    .language_version:
      - 2
      - 0
    .max_flat_workgroup_size: 256
    .name:           _ZN7rocprim17ROCPRIM_400000_NS6detail17trampoline_kernelINS0_14default_configENS1_21merge_config_selectorINS0_5tupleIJffEEENS0_10empty_typeEEEZNS1_10merge_implIS3_NS0_12zip_iteratorINS5_IJN6thrust23THRUST_200600_302600_NS6detail15normal_iteratorINSC_10device_ptrIKfEEEESI_EEEEESK_NSA_INS5_IJNSC_16discard_iteratorINSC_11use_defaultEEESN_EEEEEPS7_SQ_SQ_NSC_11hip_rocprim7__merge17predicate_wrapperIffNSC_4lessIfEEEEEE10hipError_tPvRmT0_T1_T2_T3_T4_T5_mmT6_P12ihipStream_tbEUlT_E_NS1_11comp_targetILNS1_3genE4ELNS1_11target_archE910ELNS1_3gpuE8ELNS1_3repE0EEENS1_30default_config_static_selectorELNS0_4arch9wavefront6targetE0EEEvS11_
    .private_segment_fixed_size: 0
    .sgpr_count:     0
    .sgpr_spill_count: 0
    .symbol:         _ZN7rocprim17ROCPRIM_400000_NS6detail17trampoline_kernelINS0_14default_configENS1_21merge_config_selectorINS0_5tupleIJffEEENS0_10empty_typeEEEZNS1_10merge_implIS3_NS0_12zip_iteratorINS5_IJN6thrust23THRUST_200600_302600_NS6detail15normal_iteratorINSC_10device_ptrIKfEEEESI_EEEEESK_NSA_INS5_IJNSC_16discard_iteratorINSC_11use_defaultEEESN_EEEEEPS7_SQ_SQ_NSC_11hip_rocprim7__merge17predicate_wrapperIffNSC_4lessIfEEEEEE10hipError_tPvRmT0_T1_T2_T3_T4_T5_mmT6_P12ihipStream_tbEUlT_E_NS1_11comp_targetILNS1_3genE4ELNS1_11target_archE910ELNS1_3gpuE8ELNS1_3repE0EEENS1_30default_config_static_selectorELNS0_4arch9wavefront6targetE0EEEvS11_.kd
    .uniform_work_group_size: 1
    .uses_dynamic_stack: false
    .vgpr_count:     0
    .vgpr_spill_count: 0
    .wavefront_size: 32
  - .args:
      - .offset:         0
        .size:           64
        .value_kind:     by_value
    .group_segment_fixed_size: 0
    .kernarg_segment_align: 8
    .kernarg_segment_size: 64
    .language:       OpenCL C
    .language_version:
      - 2
      - 0
    .max_flat_workgroup_size: 256
    .name:           _ZN7rocprim17ROCPRIM_400000_NS6detail17trampoline_kernelINS0_14default_configENS1_21merge_config_selectorINS0_5tupleIJffEEENS0_10empty_typeEEEZNS1_10merge_implIS3_NS0_12zip_iteratorINS5_IJN6thrust23THRUST_200600_302600_NS6detail15normal_iteratorINSC_10device_ptrIKfEEEESI_EEEEESK_NSA_INS5_IJNSC_16discard_iteratorINSC_11use_defaultEEESN_EEEEEPS7_SQ_SQ_NSC_11hip_rocprim7__merge17predicate_wrapperIffNSC_4lessIfEEEEEE10hipError_tPvRmT0_T1_T2_T3_T4_T5_mmT6_P12ihipStream_tbEUlT_E_NS1_11comp_targetILNS1_3genE3ELNS1_11target_archE908ELNS1_3gpuE7ELNS1_3repE0EEENS1_30default_config_static_selectorELNS0_4arch9wavefront6targetE0EEEvS11_
    .private_segment_fixed_size: 0
    .sgpr_count:     0
    .sgpr_spill_count: 0
    .symbol:         _ZN7rocprim17ROCPRIM_400000_NS6detail17trampoline_kernelINS0_14default_configENS1_21merge_config_selectorINS0_5tupleIJffEEENS0_10empty_typeEEEZNS1_10merge_implIS3_NS0_12zip_iteratorINS5_IJN6thrust23THRUST_200600_302600_NS6detail15normal_iteratorINSC_10device_ptrIKfEEEESI_EEEEESK_NSA_INS5_IJNSC_16discard_iteratorINSC_11use_defaultEEESN_EEEEEPS7_SQ_SQ_NSC_11hip_rocprim7__merge17predicate_wrapperIffNSC_4lessIfEEEEEE10hipError_tPvRmT0_T1_T2_T3_T4_T5_mmT6_P12ihipStream_tbEUlT_E_NS1_11comp_targetILNS1_3genE3ELNS1_11target_archE908ELNS1_3gpuE7ELNS1_3repE0EEENS1_30default_config_static_selectorELNS0_4arch9wavefront6targetE0EEEvS11_.kd
    .uniform_work_group_size: 1
    .uses_dynamic_stack: false
    .vgpr_count:     0
    .vgpr_spill_count: 0
    .wavefront_size: 32
  - .args:
      - .offset:         0
        .size:           64
        .value_kind:     by_value
    .group_segment_fixed_size: 0
    .kernarg_segment_align: 8
    .kernarg_segment_size: 64
    .language:       OpenCL C
    .language_version:
      - 2
      - 0
    .max_flat_workgroup_size: 256
    .name:           _ZN7rocprim17ROCPRIM_400000_NS6detail17trampoline_kernelINS0_14default_configENS1_21merge_config_selectorINS0_5tupleIJffEEENS0_10empty_typeEEEZNS1_10merge_implIS3_NS0_12zip_iteratorINS5_IJN6thrust23THRUST_200600_302600_NS6detail15normal_iteratorINSC_10device_ptrIKfEEEESI_EEEEESK_NSA_INS5_IJNSC_16discard_iteratorINSC_11use_defaultEEESN_EEEEEPS7_SQ_SQ_NSC_11hip_rocprim7__merge17predicate_wrapperIffNSC_4lessIfEEEEEE10hipError_tPvRmT0_T1_T2_T3_T4_T5_mmT6_P12ihipStream_tbEUlT_E_NS1_11comp_targetILNS1_3genE2ELNS1_11target_archE906ELNS1_3gpuE6ELNS1_3repE0EEENS1_30default_config_static_selectorELNS0_4arch9wavefront6targetE0EEEvS11_
    .private_segment_fixed_size: 0
    .sgpr_count:     0
    .sgpr_spill_count: 0
    .symbol:         _ZN7rocprim17ROCPRIM_400000_NS6detail17trampoline_kernelINS0_14default_configENS1_21merge_config_selectorINS0_5tupleIJffEEENS0_10empty_typeEEEZNS1_10merge_implIS3_NS0_12zip_iteratorINS5_IJN6thrust23THRUST_200600_302600_NS6detail15normal_iteratorINSC_10device_ptrIKfEEEESI_EEEEESK_NSA_INS5_IJNSC_16discard_iteratorINSC_11use_defaultEEESN_EEEEEPS7_SQ_SQ_NSC_11hip_rocprim7__merge17predicate_wrapperIffNSC_4lessIfEEEEEE10hipError_tPvRmT0_T1_T2_T3_T4_T5_mmT6_P12ihipStream_tbEUlT_E_NS1_11comp_targetILNS1_3genE2ELNS1_11target_archE906ELNS1_3gpuE6ELNS1_3repE0EEENS1_30default_config_static_selectorELNS0_4arch9wavefront6targetE0EEEvS11_.kd
    .uniform_work_group_size: 1
    .uses_dynamic_stack: false
    .vgpr_count:     0
    .vgpr_spill_count: 0
    .wavefront_size: 32
  - .args:
      - .offset:         0
        .size:           64
        .value_kind:     by_value
    .group_segment_fixed_size: 0
    .kernarg_segment_align: 8
    .kernarg_segment_size: 64
    .language:       OpenCL C
    .language_version:
      - 2
      - 0
    .max_flat_workgroup_size: 512
    .name:           _ZN7rocprim17ROCPRIM_400000_NS6detail17trampoline_kernelINS0_14default_configENS1_21merge_config_selectorINS0_5tupleIJffEEENS0_10empty_typeEEEZNS1_10merge_implIS3_NS0_12zip_iteratorINS5_IJN6thrust23THRUST_200600_302600_NS6detail15normal_iteratorINSC_10device_ptrIKfEEEESI_EEEEESK_NSA_INS5_IJNSC_16discard_iteratorINSC_11use_defaultEEESN_EEEEEPS7_SQ_SQ_NSC_11hip_rocprim7__merge17predicate_wrapperIffNSC_4lessIfEEEEEE10hipError_tPvRmT0_T1_T2_T3_T4_T5_mmT6_P12ihipStream_tbEUlT_E_NS1_11comp_targetILNS1_3genE10ELNS1_11target_archE1201ELNS1_3gpuE5ELNS1_3repE0EEENS1_30default_config_static_selectorELNS0_4arch9wavefront6targetE0EEEvS11_
    .private_segment_fixed_size: 0
    .sgpr_count:     0
    .sgpr_spill_count: 0
    .symbol:         _ZN7rocprim17ROCPRIM_400000_NS6detail17trampoline_kernelINS0_14default_configENS1_21merge_config_selectorINS0_5tupleIJffEEENS0_10empty_typeEEEZNS1_10merge_implIS3_NS0_12zip_iteratorINS5_IJN6thrust23THRUST_200600_302600_NS6detail15normal_iteratorINSC_10device_ptrIKfEEEESI_EEEEESK_NSA_INS5_IJNSC_16discard_iteratorINSC_11use_defaultEEESN_EEEEEPS7_SQ_SQ_NSC_11hip_rocprim7__merge17predicate_wrapperIffNSC_4lessIfEEEEEE10hipError_tPvRmT0_T1_T2_T3_T4_T5_mmT6_P12ihipStream_tbEUlT_E_NS1_11comp_targetILNS1_3genE10ELNS1_11target_archE1201ELNS1_3gpuE5ELNS1_3repE0EEENS1_30default_config_static_selectorELNS0_4arch9wavefront6targetE0EEEvS11_.kd
    .uniform_work_group_size: 1
    .uses_dynamic_stack: false
    .vgpr_count:     0
    .vgpr_spill_count: 0
    .wavefront_size: 32
  - .args:
      - .offset:         0
        .size:           64
        .value_kind:     by_value
    .group_segment_fixed_size: 0
    .kernarg_segment_align: 8
    .kernarg_segment_size: 64
    .language:       OpenCL C
    .language_version:
      - 2
      - 0
    .max_flat_workgroup_size: 1024
    .name:           _ZN7rocprim17ROCPRIM_400000_NS6detail17trampoline_kernelINS0_14default_configENS1_21merge_config_selectorINS0_5tupleIJffEEENS0_10empty_typeEEEZNS1_10merge_implIS3_NS0_12zip_iteratorINS5_IJN6thrust23THRUST_200600_302600_NS6detail15normal_iteratorINSC_10device_ptrIKfEEEESI_EEEEESK_NSA_INS5_IJNSC_16discard_iteratorINSC_11use_defaultEEESN_EEEEEPS7_SQ_SQ_NSC_11hip_rocprim7__merge17predicate_wrapperIffNSC_4lessIfEEEEEE10hipError_tPvRmT0_T1_T2_T3_T4_T5_mmT6_P12ihipStream_tbEUlT_E_NS1_11comp_targetILNS1_3genE10ELNS1_11target_archE1200ELNS1_3gpuE4ELNS1_3repE0EEENS1_30default_config_static_selectorELNS0_4arch9wavefront6targetE0EEEvS11_
    .private_segment_fixed_size: 0
    .sgpr_count:     0
    .sgpr_spill_count: 0
    .symbol:         _ZN7rocprim17ROCPRIM_400000_NS6detail17trampoline_kernelINS0_14default_configENS1_21merge_config_selectorINS0_5tupleIJffEEENS0_10empty_typeEEEZNS1_10merge_implIS3_NS0_12zip_iteratorINS5_IJN6thrust23THRUST_200600_302600_NS6detail15normal_iteratorINSC_10device_ptrIKfEEEESI_EEEEESK_NSA_INS5_IJNSC_16discard_iteratorINSC_11use_defaultEEESN_EEEEEPS7_SQ_SQ_NSC_11hip_rocprim7__merge17predicate_wrapperIffNSC_4lessIfEEEEEE10hipError_tPvRmT0_T1_T2_T3_T4_T5_mmT6_P12ihipStream_tbEUlT_E_NS1_11comp_targetILNS1_3genE10ELNS1_11target_archE1200ELNS1_3gpuE4ELNS1_3repE0EEENS1_30default_config_static_selectorELNS0_4arch9wavefront6targetE0EEEvS11_.kd
    .uniform_work_group_size: 1
    .uses_dynamic_stack: false
    .vgpr_count:     0
    .vgpr_spill_count: 0
    .wavefront_size: 32
  - .args:
      - .offset:         0
        .size:           64
        .value_kind:     by_value
    .group_segment_fixed_size: 0
    .kernarg_segment_align: 8
    .kernarg_segment_size: 64
    .language:       OpenCL C
    .language_version:
      - 2
      - 0
    .max_flat_workgroup_size: 1024
    .name:           _ZN7rocprim17ROCPRIM_400000_NS6detail17trampoline_kernelINS0_14default_configENS1_21merge_config_selectorINS0_5tupleIJffEEENS0_10empty_typeEEEZNS1_10merge_implIS3_NS0_12zip_iteratorINS5_IJN6thrust23THRUST_200600_302600_NS6detail15normal_iteratorINSC_10device_ptrIKfEEEESI_EEEEESK_NSA_INS5_IJNSC_16discard_iteratorINSC_11use_defaultEEESN_EEEEEPS7_SQ_SQ_NSC_11hip_rocprim7__merge17predicate_wrapperIffNSC_4lessIfEEEEEE10hipError_tPvRmT0_T1_T2_T3_T4_T5_mmT6_P12ihipStream_tbEUlT_E_NS1_11comp_targetILNS1_3genE9ELNS1_11target_archE1100ELNS1_3gpuE3ELNS1_3repE0EEENS1_30default_config_static_selectorELNS0_4arch9wavefront6targetE0EEEvS11_
    .private_segment_fixed_size: 0
    .sgpr_count:     0
    .sgpr_spill_count: 0
    .symbol:         _ZN7rocprim17ROCPRIM_400000_NS6detail17trampoline_kernelINS0_14default_configENS1_21merge_config_selectorINS0_5tupleIJffEEENS0_10empty_typeEEEZNS1_10merge_implIS3_NS0_12zip_iteratorINS5_IJN6thrust23THRUST_200600_302600_NS6detail15normal_iteratorINSC_10device_ptrIKfEEEESI_EEEEESK_NSA_INS5_IJNSC_16discard_iteratorINSC_11use_defaultEEESN_EEEEEPS7_SQ_SQ_NSC_11hip_rocprim7__merge17predicate_wrapperIffNSC_4lessIfEEEEEE10hipError_tPvRmT0_T1_T2_T3_T4_T5_mmT6_P12ihipStream_tbEUlT_E_NS1_11comp_targetILNS1_3genE9ELNS1_11target_archE1100ELNS1_3gpuE3ELNS1_3repE0EEENS1_30default_config_static_selectorELNS0_4arch9wavefront6targetE0EEEvS11_.kd
    .uniform_work_group_size: 1
    .uses_dynamic_stack: false
    .vgpr_count:     0
    .vgpr_spill_count: 0
    .wavefront_size: 32
  - .args:
      - .offset:         0
        .size:           64
        .value_kind:     by_value
    .group_segment_fixed_size: 0
    .kernarg_segment_align: 8
    .kernarg_segment_size: 64
    .language:       OpenCL C
    .language_version:
      - 2
      - 0
    .max_flat_workgroup_size: 256
    .name:           _ZN7rocprim17ROCPRIM_400000_NS6detail17trampoline_kernelINS0_14default_configENS1_21merge_config_selectorINS0_5tupleIJffEEENS0_10empty_typeEEEZNS1_10merge_implIS3_NS0_12zip_iteratorINS5_IJN6thrust23THRUST_200600_302600_NS6detail15normal_iteratorINSC_10device_ptrIKfEEEESI_EEEEESK_NSA_INS5_IJNSC_16discard_iteratorINSC_11use_defaultEEESN_EEEEEPS7_SQ_SQ_NSC_11hip_rocprim7__merge17predicate_wrapperIffNSC_4lessIfEEEEEE10hipError_tPvRmT0_T1_T2_T3_T4_T5_mmT6_P12ihipStream_tbEUlT_E_NS1_11comp_targetILNS1_3genE8ELNS1_11target_archE1030ELNS1_3gpuE2ELNS1_3repE0EEENS1_30default_config_static_selectorELNS0_4arch9wavefront6targetE0EEEvS11_
    .private_segment_fixed_size: 0
    .sgpr_count:     0
    .sgpr_spill_count: 0
    .symbol:         _ZN7rocprim17ROCPRIM_400000_NS6detail17trampoline_kernelINS0_14default_configENS1_21merge_config_selectorINS0_5tupleIJffEEENS0_10empty_typeEEEZNS1_10merge_implIS3_NS0_12zip_iteratorINS5_IJN6thrust23THRUST_200600_302600_NS6detail15normal_iteratorINSC_10device_ptrIKfEEEESI_EEEEESK_NSA_INS5_IJNSC_16discard_iteratorINSC_11use_defaultEEESN_EEEEEPS7_SQ_SQ_NSC_11hip_rocprim7__merge17predicate_wrapperIffNSC_4lessIfEEEEEE10hipError_tPvRmT0_T1_T2_T3_T4_T5_mmT6_P12ihipStream_tbEUlT_E_NS1_11comp_targetILNS1_3genE8ELNS1_11target_archE1030ELNS1_3gpuE2ELNS1_3repE0EEENS1_30default_config_static_selectorELNS0_4arch9wavefront6targetE0EEEvS11_.kd
    .uniform_work_group_size: 1
    .uses_dynamic_stack: false
    .vgpr_count:     0
    .vgpr_spill_count: 0
    .wavefront_size: 32
  - .args:
      - .offset:         0
        .size:           128
        .value_kind:     by_value
    .group_segment_fixed_size: 14352
    .kernarg_segment_align: 8
    .kernarg_segment_size: 128
    .language:       OpenCL C
    .language_version:
      - 2
      - 0
    .max_flat_workgroup_size: 256
    .name:           _ZN7rocprim17ROCPRIM_400000_NS6detail17trampoline_kernelINS0_14default_configENS1_21merge_config_selectorINS0_5tupleIJffEEENS0_10empty_typeEEEZNS1_10merge_implIS3_NS0_12zip_iteratorINS5_IJN6thrust23THRUST_200600_302600_NS6detail15normal_iteratorINSC_10device_ptrIKfEEEESI_EEEEESK_NSA_INS5_IJNSC_16discard_iteratorINSC_11use_defaultEEESN_EEEEEPS7_SQ_SQ_NSC_11hip_rocprim7__merge17predicate_wrapperIffNSC_4lessIfEEEEEE10hipError_tPvRmT0_T1_T2_T3_T4_T5_mmT6_P12ihipStream_tbEUlT_E0_NS1_11comp_targetILNS1_3genE0ELNS1_11target_archE4294967295ELNS1_3gpuE0ELNS1_3repE0EEENS1_30default_config_static_selectorELNS0_4arch9wavefront6targetE0EEEvS11_
    .private_segment_fixed_size: 0
    .sgpr_count:     24
    .sgpr_spill_count: 0
    .symbol:         _ZN7rocprim17ROCPRIM_400000_NS6detail17trampoline_kernelINS0_14default_configENS1_21merge_config_selectorINS0_5tupleIJffEEENS0_10empty_typeEEEZNS1_10merge_implIS3_NS0_12zip_iteratorINS5_IJN6thrust23THRUST_200600_302600_NS6detail15normal_iteratorINSC_10device_ptrIKfEEEESI_EEEEESK_NSA_INS5_IJNSC_16discard_iteratorINSC_11use_defaultEEESN_EEEEEPS7_SQ_SQ_NSC_11hip_rocprim7__merge17predicate_wrapperIffNSC_4lessIfEEEEEE10hipError_tPvRmT0_T1_T2_T3_T4_T5_mmT6_P12ihipStream_tbEUlT_E0_NS1_11comp_targetILNS1_3genE0ELNS1_11target_archE4294967295ELNS1_3gpuE0ELNS1_3repE0EEENS1_30default_config_static_selectorELNS0_4arch9wavefront6targetE0EEEvS11_.kd
    .uniform_work_group_size: 1
    .uses_dynamic_stack: false
    .vgpr_count:     30
    .vgpr_spill_count: 0
    .wavefront_size: 32
  - .args:
      - .offset:         0
        .size:           128
        .value_kind:     by_value
    .group_segment_fixed_size: 0
    .kernarg_segment_align: 8
    .kernarg_segment_size: 128
    .language:       OpenCL C
    .language_version:
      - 2
      - 0
    .max_flat_workgroup_size: 256
    .name:           _ZN7rocprim17ROCPRIM_400000_NS6detail17trampoline_kernelINS0_14default_configENS1_21merge_config_selectorINS0_5tupleIJffEEENS0_10empty_typeEEEZNS1_10merge_implIS3_NS0_12zip_iteratorINS5_IJN6thrust23THRUST_200600_302600_NS6detail15normal_iteratorINSC_10device_ptrIKfEEEESI_EEEEESK_NSA_INS5_IJNSC_16discard_iteratorINSC_11use_defaultEEESN_EEEEEPS7_SQ_SQ_NSC_11hip_rocprim7__merge17predicate_wrapperIffNSC_4lessIfEEEEEE10hipError_tPvRmT0_T1_T2_T3_T4_T5_mmT6_P12ihipStream_tbEUlT_E0_NS1_11comp_targetILNS1_3genE5ELNS1_11target_archE942ELNS1_3gpuE9ELNS1_3repE0EEENS1_30default_config_static_selectorELNS0_4arch9wavefront6targetE0EEEvS11_
    .private_segment_fixed_size: 0
    .sgpr_count:     0
    .sgpr_spill_count: 0
    .symbol:         _ZN7rocprim17ROCPRIM_400000_NS6detail17trampoline_kernelINS0_14default_configENS1_21merge_config_selectorINS0_5tupleIJffEEENS0_10empty_typeEEEZNS1_10merge_implIS3_NS0_12zip_iteratorINS5_IJN6thrust23THRUST_200600_302600_NS6detail15normal_iteratorINSC_10device_ptrIKfEEEESI_EEEEESK_NSA_INS5_IJNSC_16discard_iteratorINSC_11use_defaultEEESN_EEEEEPS7_SQ_SQ_NSC_11hip_rocprim7__merge17predicate_wrapperIffNSC_4lessIfEEEEEE10hipError_tPvRmT0_T1_T2_T3_T4_T5_mmT6_P12ihipStream_tbEUlT_E0_NS1_11comp_targetILNS1_3genE5ELNS1_11target_archE942ELNS1_3gpuE9ELNS1_3repE0EEENS1_30default_config_static_selectorELNS0_4arch9wavefront6targetE0EEEvS11_.kd
    .uniform_work_group_size: 1
    .uses_dynamic_stack: false
    .vgpr_count:     0
    .vgpr_spill_count: 0
    .wavefront_size: 32
  - .args:
      - .offset:         0
        .size:           128
        .value_kind:     by_value
    .group_segment_fixed_size: 0
    .kernarg_segment_align: 8
    .kernarg_segment_size: 128
    .language:       OpenCL C
    .language_version:
      - 2
      - 0
    .max_flat_workgroup_size: 256
    .name:           _ZN7rocprim17ROCPRIM_400000_NS6detail17trampoline_kernelINS0_14default_configENS1_21merge_config_selectorINS0_5tupleIJffEEENS0_10empty_typeEEEZNS1_10merge_implIS3_NS0_12zip_iteratorINS5_IJN6thrust23THRUST_200600_302600_NS6detail15normal_iteratorINSC_10device_ptrIKfEEEESI_EEEEESK_NSA_INS5_IJNSC_16discard_iteratorINSC_11use_defaultEEESN_EEEEEPS7_SQ_SQ_NSC_11hip_rocprim7__merge17predicate_wrapperIffNSC_4lessIfEEEEEE10hipError_tPvRmT0_T1_T2_T3_T4_T5_mmT6_P12ihipStream_tbEUlT_E0_NS1_11comp_targetILNS1_3genE4ELNS1_11target_archE910ELNS1_3gpuE8ELNS1_3repE0EEENS1_30default_config_static_selectorELNS0_4arch9wavefront6targetE0EEEvS11_
    .private_segment_fixed_size: 0
    .sgpr_count:     0
    .sgpr_spill_count: 0
    .symbol:         _ZN7rocprim17ROCPRIM_400000_NS6detail17trampoline_kernelINS0_14default_configENS1_21merge_config_selectorINS0_5tupleIJffEEENS0_10empty_typeEEEZNS1_10merge_implIS3_NS0_12zip_iteratorINS5_IJN6thrust23THRUST_200600_302600_NS6detail15normal_iteratorINSC_10device_ptrIKfEEEESI_EEEEESK_NSA_INS5_IJNSC_16discard_iteratorINSC_11use_defaultEEESN_EEEEEPS7_SQ_SQ_NSC_11hip_rocprim7__merge17predicate_wrapperIffNSC_4lessIfEEEEEE10hipError_tPvRmT0_T1_T2_T3_T4_T5_mmT6_P12ihipStream_tbEUlT_E0_NS1_11comp_targetILNS1_3genE4ELNS1_11target_archE910ELNS1_3gpuE8ELNS1_3repE0EEENS1_30default_config_static_selectorELNS0_4arch9wavefront6targetE0EEEvS11_.kd
    .uniform_work_group_size: 1
    .uses_dynamic_stack: false
    .vgpr_count:     0
    .vgpr_spill_count: 0
    .wavefront_size: 32
  - .args:
      - .offset:         0
        .size:           128
        .value_kind:     by_value
    .group_segment_fixed_size: 0
    .kernarg_segment_align: 8
    .kernarg_segment_size: 128
    .language:       OpenCL C
    .language_version:
      - 2
      - 0
    .max_flat_workgroup_size: 256
    .name:           _ZN7rocprim17ROCPRIM_400000_NS6detail17trampoline_kernelINS0_14default_configENS1_21merge_config_selectorINS0_5tupleIJffEEENS0_10empty_typeEEEZNS1_10merge_implIS3_NS0_12zip_iteratorINS5_IJN6thrust23THRUST_200600_302600_NS6detail15normal_iteratorINSC_10device_ptrIKfEEEESI_EEEEESK_NSA_INS5_IJNSC_16discard_iteratorINSC_11use_defaultEEESN_EEEEEPS7_SQ_SQ_NSC_11hip_rocprim7__merge17predicate_wrapperIffNSC_4lessIfEEEEEE10hipError_tPvRmT0_T1_T2_T3_T4_T5_mmT6_P12ihipStream_tbEUlT_E0_NS1_11comp_targetILNS1_3genE3ELNS1_11target_archE908ELNS1_3gpuE7ELNS1_3repE0EEENS1_30default_config_static_selectorELNS0_4arch9wavefront6targetE0EEEvS11_
    .private_segment_fixed_size: 0
    .sgpr_count:     0
    .sgpr_spill_count: 0
    .symbol:         _ZN7rocprim17ROCPRIM_400000_NS6detail17trampoline_kernelINS0_14default_configENS1_21merge_config_selectorINS0_5tupleIJffEEENS0_10empty_typeEEEZNS1_10merge_implIS3_NS0_12zip_iteratorINS5_IJN6thrust23THRUST_200600_302600_NS6detail15normal_iteratorINSC_10device_ptrIKfEEEESI_EEEEESK_NSA_INS5_IJNSC_16discard_iteratorINSC_11use_defaultEEESN_EEEEEPS7_SQ_SQ_NSC_11hip_rocprim7__merge17predicate_wrapperIffNSC_4lessIfEEEEEE10hipError_tPvRmT0_T1_T2_T3_T4_T5_mmT6_P12ihipStream_tbEUlT_E0_NS1_11comp_targetILNS1_3genE3ELNS1_11target_archE908ELNS1_3gpuE7ELNS1_3repE0EEENS1_30default_config_static_selectorELNS0_4arch9wavefront6targetE0EEEvS11_.kd
    .uniform_work_group_size: 1
    .uses_dynamic_stack: false
    .vgpr_count:     0
    .vgpr_spill_count: 0
    .wavefront_size: 32
  - .args:
      - .offset:         0
        .size:           128
        .value_kind:     by_value
    .group_segment_fixed_size: 0
    .kernarg_segment_align: 8
    .kernarg_segment_size: 128
    .language:       OpenCL C
    .language_version:
      - 2
      - 0
    .max_flat_workgroup_size: 256
    .name:           _ZN7rocprim17ROCPRIM_400000_NS6detail17trampoline_kernelINS0_14default_configENS1_21merge_config_selectorINS0_5tupleIJffEEENS0_10empty_typeEEEZNS1_10merge_implIS3_NS0_12zip_iteratorINS5_IJN6thrust23THRUST_200600_302600_NS6detail15normal_iteratorINSC_10device_ptrIKfEEEESI_EEEEESK_NSA_INS5_IJNSC_16discard_iteratorINSC_11use_defaultEEESN_EEEEEPS7_SQ_SQ_NSC_11hip_rocprim7__merge17predicate_wrapperIffNSC_4lessIfEEEEEE10hipError_tPvRmT0_T1_T2_T3_T4_T5_mmT6_P12ihipStream_tbEUlT_E0_NS1_11comp_targetILNS1_3genE2ELNS1_11target_archE906ELNS1_3gpuE6ELNS1_3repE0EEENS1_30default_config_static_selectorELNS0_4arch9wavefront6targetE0EEEvS11_
    .private_segment_fixed_size: 0
    .sgpr_count:     0
    .sgpr_spill_count: 0
    .symbol:         _ZN7rocprim17ROCPRIM_400000_NS6detail17trampoline_kernelINS0_14default_configENS1_21merge_config_selectorINS0_5tupleIJffEEENS0_10empty_typeEEEZNS1_10merge_implIS3_NS0_12zip_iteratorINS5_IJN6thrust23THRUST_200600_302600_NS6detail15normal_iteratorINSC_10device_ptrIKfEEEESI_EEEEESK_NSA_INS5_IJNSC_16discard_iteratorINSC_11use_defaultEEESN_EEEEEPS7_SQ_SQ_NSC_11hip_rocprim7__merge17predicate_wrapperIffNSC_4lessIfEEEEEE10hipError_tPvRmT0_T1_T2_T3_T4_T5_mmT6_P12ihipStream_tbEUlT_E0_NS1_11comp_targetILNS1_3genE2ELNS1_11target_archE906ELNS1_3gpuE6ELNS1_3repE0EEENS1_30default_config_static_selectorELNS0_4arch9wavefront6targetE0EEEvS11_.kd
    .uniform_work_group_size: 1
    .uses_dynamic_stack: false
    .vgpr_count:     0
    .vgpr_spill_count: 0
    .wavefront_size: 32
  - .args:
      - .offset:         0
        .size:           128
        .value_kind:     by_value
    .group_segment_fixed_size: 0
    .kernarg_segment_align: 8
    .kernarg_segment_size: 128
    .language:       OpenCL C
    .language_version:
      - 2
      - 0
    .max_flat_workgroup_size: 512
    .name:           _ZN7rocprim17ROCPRIM_400000_NS6detail17trampoline_kernelINS0_14default_configENS1_21merge_config_selectorINS0_5tupleIJffEEENS0_10empty_typeEEEZNS1_10merge_implIS3_NS0_12zip_iteratorINS5_IJN6thrust23THRUST_200600_302600_NS6detail15normal_iteratorINSC_10device_ptrIKfEEEESI_EEEEESK_NSA_INS5_IJNSC_16discard_iteratorINSC_11use_defaultEEESN_EEEEEPS7_SQ_SQ_NSC_11hip_rocprim7__merge17predicate_wrapperIffNSC_4lessIfEEEEEE10hipError_tPvRmT0_T1_T2_T3_T4_T5_mmT6_P12ihipStream_tbEUlT_E0_NS1_11comp_targetILNS1_3genE10ELNS1_11target_archE1201ELNS1_3gpuE5ELNS1_3repE0EEENS1_30default_config_static_selectorELNS0_4arch9wavefront6targetE0EEEvS11_
    .private_segment_fixed_size: 0
    .sgpr_count:     0
    .sgpr_spill_count: 0
    .symbol:         _ZN7rocprim17ROCPRIM_400000_NS6detail17trampoline_kernelINS0_14default_configENS1_21merge_config_selectorINS0_5tupleIJffEEENS0_10empty_typeEEEZNS1_10merge_implIS3_NS0_12zip_iteratorINS5_IJN6thrust23THRUST_200600_302600_NS6detail15normal_iteratorINSC_10device_ptrIKfEEEESI_EEEEESK_NSA_INS5_IJNSC_16discard_iteratorINSC_11use_defaultEEESN_EEEEEPS7_SQ_SQ_NSC_11hip_rocprim7__merge17predicate_wrapperIffNSC_4lessIfEEEEEE10hipError_tPvRmT0_T1_T2_T3_T4_T5_mmT6_P12ihipStream_tbEUlT_E0_NS1_11comp_targetILNS1_3genE10ELNS1_11target_archE1201ELNS1_3gpuE5ELNS1_3repE0EEENS1_30default_config_static_selectorELNS0_4arch9wavefront6targetE0EEEvS11_.kd
    .uniform_work_group_size: 1
    .uses_dynamic_stack: false
    .vgpr_count:     0
    .vgpr_spill_count: 0
    .wavefront_size: 32
  - .args:
      - .offset:         0
        .size:           128
        .value_kind:     by_value
    .group_segment_fixed_size: 0
    .kernarg_segment_align: 8
    .kernarg_segment_size: 128
    .language:       OpenCL C
    .language_version:
      - 2
      - 0
    .max_flat_workgroup_size: 1024
    .name:           _ZN7rocprim17ROCPRIM_400000_NS6detail17trampoline_kernelINS0_14default_configENS1_21merge_config_selectorINS0_5tupleIJffEEENS0_10empty_typeEEEZNS1_10merge_implIS3_NS0_12zip_iteratorINS5_IJN6thrust23THRUST_200600_302600_NS6detail15normal_iteratorINSC_10device_ptrIKfEEEESI_EEEEESK_NSA_INS5_IJNSC_16discard_iteratorINSC_11use_defaultEEESN_EEEEEPS7_SQ_SQ_NSC_11hip_rocprim7__merge17predicate_wrapperIffNSC_4lessIfEEEEEE10hipError_tPvRmT0_T1_T2_T3_T4_T5_mmT6_P12ihipStream_tbEUlT_E0_NS1_11comp_targetILNS1_3genE10ELNS1_11target_archE1200ELNS1_3gpuE4ELNS1_3repE0EEENS1_30default_config_static_selectorELNS0_4arch9wavefront6targetE0EEEvS11_
    .private_segment_fixed_size: 0
    .sgpr_count:     0
    .sgpr_spill_count: 0
    .symbol:         _ZN7rocprim17ROCPRIM_400000_NS6detail17trampoline_kernelINS0_14default_configENS1_21merge_config_selectorINS0_5tupleIJffEEENS0_10empty_typeEEEZNS1_10merge_implIS3_NS0_12zip_iteratorINS5_IJN6thrust23THRUST_200600_302600_NS6detail15normal_iteratorINSC_10device_ptrIKfEEEESI_EEEEESK_NSA_INS5_IJNSC_16discard_iteratorINSC_11use_defaultEEESN_EEEEEPS7_SQ_SQ_NSC_11hip_rocprim7__merge17predicate_wrapperIffNSC_4lessIfEEEEEE10hipError_tPvRmT0_T1_T2_T3_T4_T5_mmT6_P12ihipStream_tbEUlT_E0_NS1_11comp_targetILNS1_3genE10ELNS1_11target_archE1200ELNS1_3gpuE4ELNS1_3repE0EEENS1_30default_config_static_selectorELNS0_4arch9wavefront6targetE0EEEvS11_.kd
    .uniform_work_group_size: 1
    .uses_dynamic_stack: false
    .vgpr_count:     0
    .vgpr_spill_count: 0
    .wavefront_size: 32
  - .args:
      - .offset:         0
        .size:           128
        .value_kind:     by_value
    .group_segment_fixed_size: 0
    .kernarg_segment_align: 8
    .kernarg_segment_size: 128
    .language:       OpenCL C
    .language_version:
      - 2
      - 0
    .max_flat_workgroup_size: 1024
    .name:           _ZN7rocprim17ROCPRIM_400000_NS6detail17trampoline_kernelINS0_14default_configENS1_21merge_config_selectorINS0_5tupleIJffEEENS0_10empty_typeEEEZNS1_10merge_implIS3_NS0_12zip_iteratorINS5_IJN6thrust23THRUST_200600_302600_NS6detail15normal_iteratorINSC_10device_ptrIKfEEEESI_EEEEESK_NSA_INS5_IJNSC_16discard_iteratorINSC_11use_defaultEEESN_EEEEEPS7_SQ_SQ_NSC_11hip_rocprim7__merge17predicate_wrapperIffNSC_4lessIfEEEEEE10hipError_tPvRmT0_T1_T2_T3_T4_T5_mmT6_P12ihipStream_tbEUlT_E0_NS1_11comp_targetILNS1_3genE9ELNS1_11target_archE1100ELNS1_3gpuE3ELNS1_3repE0EEENS1_30default_config_static_selectorELNS0_4arch9wavefront6targetE0EEEvS11_
    .private_segment_fixed_size: 0
    .sgpr_count:     0
    .sgpr_spill_count: 0
    .symbol:         _ZN7rocprim17ROCPRIM_400000_NS6detail17trampoline_kernelINS0_14default_configENS1_21merge_config_selectorINS0_5tupleIJffEEENS0_10empty_typeEEEZNS1_10merge_implIS3_NS0_12zip_iteratorINS5_IJN6thrust23THRUST_200600_302600_NS6detail15normal_iteratorINSC_10device_ptrIKfEEEESI_EEEEESK_NSA_INS5_IJNSC_16discard_iteratorINSC_11use_defaultEEESN_EEEEEPS7_SQ_SQ_NSC_11hip_rocprim7__merge17predicate_wrapperIffNSC_4lessIfEEEEEE10hipError_tPvRmT0_T1_T2_T3_T4_T5_mmT6_P12ihipStream_tbEUlT_E0_NS1_11comp_targetILNS1_3genE9ELNS1_11target_archE1100ELNS1_3gpuE3ELNS1_3repE0EEENS1_30default_config_static_selectorELNS0_4arch9wavefront6targetE0EEEvS11_.kd
    .uniform_work_group_size: 1
    .uses_dynamic_stack: false
    .vgpr_count:     0
    .vgpr_spill_count: 0
    .wavefront_size: 32
  - .args:
      - .offset:         0
        .size:           128
        .value_kind:     by_value
    .group_segment_fixed_size: 0
    .kernarg_segment_align: 8
    .kernarg_segment_size: 128
    .language:       OpenCL C
    .language_version:
      - 2
      - 0
    .max_flat_workgroup_size: 256
    .name:           _ZN7rocprim17ROCPRIM_400000_NS6detail17trampoline_kernelINS0_14default_configENS1_21merge_config_selectorINS0_5tupleIJffEEENS0_10empty_typeEEEZNS1_10merge_implIS3_NS0_12zip_iteratorINS5_IJN6thrust23THRUST_200600_302600_NS6detail15normal_iteratorINSC_10device_ptrIKfEEEESI_EEEEESK_NSA_INS5_IJNSC_16discard_iteratorINSC_11use_defaultEEESN_EEEEEPS7_SQ_SQ_NSC_11hip_rocprim7__merge17predicate_wrapperIffNSC_4lessIfEEEEEE10hipError_tPvRmT0_T1_T2_T3_T4_T5_mmT6_P12ihipStream_tbEUlT_E0_NS1_11comp_targetILNS1_3genE8ELNS1_11target_archE1030ELNS1_3gpuE2ELNS1_3repE0EEENS1_30default_config_static_selectorELNS0_4arch9wavefront6targetE0EEEvS11_
    .private_segment_fixed_size: 0
    .sgpr_count:     0
    .sgpr_spill_count: 0
    .symbol:         _ZN7rocprim17ROCPRIM_400000_NS6detail17trampoline_kernelINS0_14default_configENS1_21merge_config_selectorINS0_5tupleIJffEEENS0_10empty_typeEEEZNS1_10merge_implIS3_NS0_12zip_iteratorINS5_IJN6thrust23THRUST_200600_302600_NS6detail15normal_iteratorINSC_10device_ptrIKfEEEESI_EEEEESK_NSA_INS5_IJNSC_16discard_iteratorINSC_11use_defaultEEESN_EEEEEPS7_SQ_SQ_NSC_11hip_rocprim7__merge17predicate_wrapperIffNSC_4lessIfEEEEEE10hipError_tPvRmT0_T1_T2_T3_T4_T5_mmT6_P12ihipStream_tbEUlT_E0_NS1_11comp_targetILNS1_3genE8ELNS1_11target_archE1030ELNS1_3gpuE2ELNS1_3repE0EEENS1_30default_config_static_selectorELNS0_4arch9wavefront6targetE0EEEvS11_.kd
    .uniform_work_group_size: 1
    .uses_dynamic_stack: false
    .vgpr_count:     0
    .vgpr_spill_count: 0
    .wavefront_size: 32
  - .args:
      - .offset:         0
        .size:           64
        .value_kind:     by_value
      - .offset:         64
        .size:           4
        .value_kind:     hidden_block_count_x
      - .offset:         68
        .size:           4
        .value_kind:     hidden_block_count_y
      - .offset:         72
        .size:           4
        .value_kind:     hidden_block_count_z
      - .offset:         76
        .size:           2
        .value_kind:     hidden_group_size_x
      - .offset:         78
        .size:           2
        .value_kind:     hidden_group_size_y
      - .offset:         80
        .size:           2
        .value_kind:     hidden_group_size_z
      - .offset:         82
        .size:           2
        .value_kind:     hidden_remainder_x
      - .offset:         84
        .size:           2
        .value_kind:     hidden_remainder_y
      - .offset:         86
        .size:           2
        .value_kind:     hidden_remainder_z
      - .offset:         104
        .size:           8
        .value_kind:     hidden_global_offset_x
      - .offset:         112
        .size:           8
        .value_kind:     hidden_global_offset_y
      - .offset:         120
        .size:           8
        .value_kind:     hidden_global_offset_z
      - .offset:         128
        .size:           2
        .value_kind:     hidden_grid_dims
    .group_segment_fixed_size: 0
    .kernarg_segment_align: 8
    .kernarg_segment_size: 320
    .language:       OpenCL C
    .language_version:
      - 2
      - 0
    .max_flat_workgroup_size: 512
    .name:           _ZN7rocprim17ROCPRIM_400000_NS6detail17trampoline_kernelINS0_14default_configENS1_21merge_config_selectorINS0_5tupleIJyyEEENS0_10empty_typeEEEZNS1_10merge_implIS3_NS0_12zip_iteratorINS5_IJN6thrust23THRUST_200600_302600_NS6detail15normal_iteratorINSC_10device_ptrIKyEEEESI_EEEEESK_NSA_INS5_IJNSC_16discard_iteratorINSC_11use_defaultEEESN_EEEEEPS7_SQ_SQ_NSC_11hip_rocprim7__merge17predicate_wrapperIyyNSC_4lessIyEEEEEE10hipError_tPvRmT0_T1_T2_T3_T4_T5_mmT6_P12ihipStream_tbEUlT_E_NS1_11comp_targetILNS1_3genE0ELNS1_11target_archE4294967295ELNS1_3gpuE0ELNS1_3repE0EEENS1_30default_config_static_selectorELNS0_4arch9wavefront6targetE0EEEvS11_
    .private_segment_fixed_size: 0
    .sgpr_count:     16
    .sgpr_spill_count: 0
    .symbol:         _ZN7rocprim17ROCPRIM_400000_NS6detail17trampoline_kernelINS0_14default_configENS1_21merge_config_selectorINS0_5tupleIJyyEEENS0_10empty_typeEEEZNS1_10merge_implIS3_NS0_12zip_iteratorINS5_IJN6thrust23THRUST_200600_302600_NS6detail15normal_iteratorINSC_10device_ptrIKyEEEESI_EEEEESK_NSA_INS5_IJNSC_16discard_iteratorINSC_11use_defaultEEESN_EEEEEPS7_SQ_SQ_NSC_11hip_rocprim7__merge17predicate_wrapperIyyNSC_4lessIyEEEEEE10hipError_tPvRmT0_T1_T2_T3_T4_T5_mmT6_P12ihipStream_tbEUlT_E_NS1_11comp_targetILNS1_3genE0ELNS1_11target_archE4294967295ELNS1_3gpuE0ELNS1_3repE0EEENS1_30default_config_static_selectorELNS0_4arch9wavefront6targetE0EEEvS11_.kd
    .uniform_work_group_size: 1
    .uses_dynamic_stack: false
    .vgpr_count:     18
    .vgpr_spill_count: 0
    .wavefront_size: 32
  - .args:
      - .offset:         0
        .size:           64
        .value_kind:     by_value
    .group_segment_fixed_size: 0
    .kernarg_segment_align: 8
    .kernarg_segment_size: 64
    .language:       OpenCL C
    .language_version:
      - 2
      - 0
    .max_flat_workgroup_size: 256
    .name:           _ZN7rocprim17ROCPRIM_400000_NS6detail17trampoline_kernelINS0_14default_configENS1_21merge_config_selectorINS0_5tupleIJyyEEENS0_10empty_typeEEEZNS1_10merge_implIS3_NS0_12zip_iteratorINS5_IJN6thrust23THRUST_200600_302600_NS6detail15normal_iteratorINSC_10device_ptrIKyEEEESI_EEEEESK_NSA_INS5_IJNSC_16discard_iteratorINSC_11use_defaultEEESN_EEEEEPS7_SQ_SQ_NSC_11hip_rocprim7__merge17predicate_wrapperIyyNSC_4lessIyEEEEEE10hipError_tPvRmT0_T1_T2_T3_T4_T5_mmT6_P12ihipStream_tbEUlT_E_NS1_11comp_targetILNS1_3genE5ELNS1_11target_archE942ELNS1_3gpuE9ELNS1_3repE0EEENS1_30default_config_static_selectorELNS0_4arch9wavefront6targetE0EEEvS11_
    .private_segment_fixed_size: 0
    .sgpr_count:     0
    .sgpr_spill_count: 0
    .symbol:         _ZN7rocprim17ROCPRIM_400000_NS6detail17trampoline_kernelINS0_14default_configENS1_21merge_config_selectorINS0_5tupleIJyyEEENS0_10empty_typeEEEZNS1_10merge_implIS3_NS0_12zip_iteratorINS5_IJN6thrust23THRUST_200600_302600_NS6detail15normal_iteratorINSC_10device_ptrIKyEEEESI_EEEEESK_NSA_INS5_IJNSC_16discard_iteratorINSC_11use_defaultEEESN_EEEEEPS7_SQ_SQ_NSC_11hip_rocprim7__merge17predicate_wrapperIyyNSC_4lessIyEEEEEE10hipError_tPvRmT0_T1_T2_T3_T4_T5_mmT6_P12ihipStream_tbEUlT_E_NS1_11comp_targetILNS1_3genE5ELNS1_11target_archE942ELNS1_3gpuE9ELNS1_3repE0EEENS1_30default_config_static_selectorELNS0_4arch9wavefront6targetE0EEEvS11_.kd
    .uniform_work_group_size: 1
    .uses_dynamic_stack: false
    .vgpr_count:     0
    .vgpr_spill_count: 0
    .wavefront_size: 32
  - .args:
      - .offset:         0
        .size:           64
        .value_kind:     by_value
    .group_segment_fixed_size: 0
    .kernarg_segment_align: 8
    .kernarg_segment_size: 64
    .language:       OpenCL C
    .language_version:
      - 2
      - 0
    .max_flat_workgroup_size: 512
    .name:           _ZN7rocprim17ROCPRIM_400000_NS6detail17trampoline_kernelINS0_14default_configENS1_21merge_config_selectorINS0_5tupleIJyyEEENS0_10empty_typeEEEZNS1_10merge_implIS3_NS0_12zip_iteratorINS5_IJN6thrust23THRUST_200600_302600_NS6detail15normal_iteratorINSC_10device_ptrIKyEEEESI_EEEEESK_NSA_INS5_IJNSC_16discard_iteratorINSC_11use_defaultEEESN_EEEEEPS7_SQ_SQ_NSC_11hip_rocprim7__merge17predicate_wrapperIyyNSC_4lessIyEEEEEE10hipError_tPvRmT0_T1_T2_T3_T4_T5_mmT6_P12ihipStream_tbEUlT_E_NS1_11comp_targetILNS1_3genE4ELNS1_11target_archE910ELNS1_3gpuE8ELNS1_3repE0EEENS1_30default_config_static_selectorELNS0_4arch9wavefront6targetE0EEEvS11_
    .private_segment_fixed_size: 0
    .sgpr_count:     0
    .sgpr_spill_count: 0
    .symbol:         _ZN7rocprim17ROCPRIM_400000_NS6detail17trampoline_kernelINS0_14default_configENS1_21merge_config_selectorINS0_5tupleIJyyEEENS0_10empty_typeEEEZNS1_10merge_implIS3_NS0_12zip_iteratorINS5_IJN6thrust23THRUST_200600_302600_NS6detail15normal_iteratorINSC_10device_ptrIKyEEEESI_EEEEESK_NSA_INS5_IJNSC_16discard_iteratorINSC_11use_defaultEEESN_EEEEEPS7_SQ_SQ_NSC_11hip_rocprim7__merge17predicate_wrapperIyyNSC_4lessIyEEEEEE10hipError_tPvRmT0_T1_T2_T3_T4_T5_mmT6_P12ihipStream_tbEUlT_E_NS1_11comp_targetILNS1_3genE4ELNS1_11target_archE910ELNS1_3gpuE8ELNS1_3repE0EEENS1_30default_config_static_selectorELNS0_4arch9wavefront6targetE0EEEvS11_.kd
    .uniform_work_group_size: 1
    .uses_dynamic_stack: false
    .vgpr_count:     0
    .vgpr_spill_count: 0
    .wavefront_size: 32
  - .args:
      - .offset:         0
        .size:           64
        .value_kind:     by_value
    .group_segment_fixed_size: 0
    .kernarg_segment_align: 8
    .kernarg_segment_size: 64
    .language:       OpenCL C
    .language_version:
      - 2
      - 0
    .max_flat_workgroup_size: 512
    .name:           _ZN7rocprim17ROCPRIM_400000_NS6detail17trampoline_kernelINS0_14default_configENS1_21merge_config_selectorINS0_5tupleIJyyEEENS0_10empty_typeEEEZNS1_10merge_implIS3_NS0_12zip_iteratorINS5_IJN6thrust23THRUST_200600_302600_NS6detail15normal_iteratorINSC_10device_ptrIKyEEEESI_EEEEESK_NSA_INS5_IJNSC_16discard_iteratorINSC_11use_defaultEEESN_EEEEEPS7_SQ_SQ_NSC_11hip_rocprim7__merge17predicate_wrapperIyyNSC_4lessIyEEEEEE10hipError_tPvRmT0_T1_T2_T3_T4_T5_mmT6_P12ihipStream_tbEUlT_E_NS1_11comp_targetILNS1_3genE3ELNS1_11target_archE908ELNS1_3gpuE7ELNS1_3repE0EEENS1_30default_config_static_selectorELNS0_4arch9wavefront6targetE0EEEvS11_
    .private_segment_fixed_size: 0
    .sgpr_count:     0
    .sgpr_spill_count: 0
    .symbol:         _ZN7rocprim17ROCPRIM_400000_NS6detail17trampoline_kernelINS0_14default_configENS1_21merge_config_selectorINS0_5tupleIJyyEEENS0_10empty_typeEEEZNS1_10merge_implIS3_NS0_12zip_iteratorINS5_IJN6thrust23THRUST_200600_302600_NS6detail15normal_iteratorINSC_10device_ptrIKyEEEESI_EEEEESK_NSA_INS5_IJNSC_16discard_iteratorINSC_11use_defaultEEESN_EEEEEPS7_SQ_SQ_NSC_11hip_rocprim7__merge17predicate_wrapperIyyNSC_4lessIyEEEEEE10hipError_tPvRmT0_T1_T2_T3_T4_T5_mmT6_P12ihipStream_tbEUlT_E_NS1_11comp_targetILNS1_3genE3ELNS1_11target_archE908ELNS1_3gpuE7ELNS1_3repE0EEENS1_30default_config_static_selectorELNS0_4arch9wavefront6targetE0EEEvS11_.kd
    .uniform_work_group_size: 1
    .uses_dynamic_stack: false
    .vgpr_count:     0
    .vgpr_spill_count: 0
    .wavefront_size: 32
  - .args:
      - .offset:         0
        .size:           64
        .value_kind:     by_value
    .group_segment_fixed_size: 0
    .kernarg_segment_align: 8
    .kernarg_segment_size: 64
    .language:       OpenCL C
    .language_version:
      - 2
      - 0
    .max_flat_workgroup_size: 512
    .name:           _ZN7rocprim17ROCPRIM_400000_NS6detail17trampoline_kernelINS0_14default_configENS1_21merge_config_selectorINS0_5tupleIJyyEEENS0_10empty_typeEEEZNS1_10merge_implIS3_NS0_12zip_iteratorINS5_IJN6thrust23THRUST_200600_302600_NS6detail15normal_iteratorINSC_10device_ptrIKyEEEESI_EEEEESK_NSA_INS5_IJNSC_16discard_iteratorINSC_11use_defaultEEESN_EEEEEPS7_SQ_SQ_NSC_11hip_rocprim7__merge17predicate_wrapperIyyNSC_4lessIyEEEEEE10hipError_tPvRmT0_T1_T2_T3_T4_T5_mmT6_P12ihipStream_tbEUlT_E_NS1_11comp_targetILNS1_3genE2ELNS1_11target_archE906ELNS1_3gpuE6ELNS1_3repE0EEENS1_30default_config_static_selectorELNS0_4arch9wavefront6targetE0EEEvS11_
    .private_segment_fixed_size: 0
    .sgpr_count:     0
    .sgpr_spill_count: 0
    .symbol:         _ZN7rocprim17ROCPRIM_400000_NS6detail17trampoline_kernelINS0_14default_configENS1_21merge_config_selectorINS0_5tupleIJyyEEENS0_10empty_typeEEEZNS1_10merge_implIS3_NS0_12zip_iteratorINS5_IJN6thrust23THRUST_200600_302600_NS6detail15normal_iteratorINSC_10device_ptrIKyEEEESI_EEEEESK_NSA_INS5_IJNSC_16discard_iteratorINSC_11use_defaultEEESN_EEEEEPS7_SQ_SQ_NSC_11hip_rocprim7__merge17predicate_wrapperIyyNSC_4lessIyEEEEEE10hipError_tPvRmT0_T1_T2_T3_T4_T5_mmT6_P12ihipStream_tbEUlT_E_NS1_11comp_targetILNS1_3genE2ELNS1_11target_archE906ELNS1_3gpuE6ELNS1_3repE0EEENS1_30default_config_static_selectorELNS0_4arch9wavefront6targetE0EEEvS11_.kd
    .uniform_work_group_size: 1
    .uses_dynamic_stack: false
    .vgpr_count:     0
    .vgpr_spill_count: 0
    .wavefront_size: 32
  - .args:
      - .offset:         0
        .size:           64
        .value_kind:     by_value
    .group_segment_fixed_size: 0
    .kernarg_segment_align: 8
    .kernarg_segment_size: 64
    .language:       OpenCL C
    .language_version:
      - 2
      - 0
    .max_flat_workgroup_size: 512
    .name:           _ZN7rocprim17ROCPRIM_400000_NS6detail17trampoline_kernelINS0_14default_configENS1_21merge_config_selectorINS0_5tupleIJyyEEENS0_10empty_typeEEEZNS1_10merge_implIS3_NS0_12zip_iteratorINS5_IJN6thrust23THRUST_200600_302600_NS6detail15normal_iteratorINSC_10device_ptrIKyEEEESI_EEEEESK_NSA_INS5_IJNSC_16discard_iteratorINSC_11use_defaultEEESN_EEEEEPS7_SQ_SQ_NSC_11hip_rocprim7__merge17predicate_wrapperIyyNSC_4lessIyEEEEEE10hipError_tPvRmT0_T1_T2_T3_T4_T5_mmT6_P12ihipStream_tbEUlT_E_NS1_11comp_targetILNS1_3genE10ELNS1_11target_archE1201ELNS1_3gpuE5ELNS1_3repE0EEENS1_30default_config_static_selectorELNS0_4arch9wavefront6targetE0EEEvS11_
    .private_segment_fixed_size: 0
    .sgpr_count:     0
    .sgpr_spill_count: 0
    .symbol:         _ZN7rocprim17ROCPRIM_400000_NS6detail17trampoline_kernelINS0_14default_configENS1_21merge_config_selectorINS0_5tupleIJyyEEENS0_10empty_typeEEEZNS1_10merge_implIS3_NS0_12zip_iteratorINS5_IJN6thrust23THRUST_200600_302600_NS6detail15normal_iteratorINSC_10device_ptrIKyEEEESI_EEEEESK_NSA_INS5_IJNSC_16discard_iteratorINSC_11use_defaultEEESN_EEEEEPS7_SQ_SQ_NSC_11hip_rocprim7__merge17predicate_wrapperIyyNSC_4lessIyEEEEEE10hipError_tPvRmT0_T1_T2_T3_T4_T5_mmT6_P12ihipStream_tbEUlT_E_NS1_11comp_targetILNS1_3genE10ELNS1_11target_archE1201ELNS1_3gpuE5ELNS1_3repE0EEENS1_30default_config_static_selectorELNS0_4arch9wavefront6targetE0EEEvS11_.kd
    .uniform_work_group_size: 1
    .uses_dynamic_stack: false
    .vgpr_count:     0
    .vgpr_spill_count: 0
    .wavefront_size: 32
  - .args:
      - .offset:         0
        .size:           64
        .value_kind:     by_value
    .group_segment_fixed_size: 0
    .kernarg_segment_align: 8
    .kernarg_segment_size: 64
    .language:       OpenCL C
    .language_version:
      - 2
      - 0
    .max_flat_workgroup_size: 256
    .name:           _ZN7rocprim17ROCPRIM_400000_NS6detail17trampoline_kernelINS0_14default_configENS1_21merge_config_selectorINS0_5tupleIJyyEEENS0_10empty_typeEEEZNS1_10merge_implIS3_NS0_12zip_iteratorINS5_IJN6thrust23THRUST_200600_302600_NS6detail15normal_iteratorINSC_10device_ptrIKyEEEESI_EEEEESK_NSA_INS5_IJNSC_16discard_iteratorINSC_11use_defaultEEESN_EEEEEPS7_SQ_SQ_NSC_11hip_rocprim7__merge17predicate_wrapperIyyNSC_4lessIyEEEEEE10hipError_tPvRmT0_T1_T2_T3_T4_T5_mmT6_P12ihipStream_tbEUlT_E_NS1_11comp_targetILNS1_3genE10ELNS1_11target_archE1200ELNS1_3gpuE4ELNS1_3repE0EEENS1_30default_config_static_selectorELNS0_4arch9wavefront6targetE0EEEvS11_
    .private_segment_fixed_size: 0
    .sgpr_count:     0
    .sgpr_spill_count: 0
    .symbol:         _ZN7rocprim17ROCPRIM_400000_NS6detail17trampoline_kernelINS0_14default_configENS1_21merge_config_selectorINS0_5tupleIJyyEEENS0_10empty_typeEEEZNS1_10merge_implIS3_NS0_12zip_iteratorINS5_IJN6thrust23THRUST_200600_302600_NS6detail15normal_iteratorINSC_10device_ptrIKyEEEESI_EEEEESK_NSA_INS5_IJNSC_16discard_iteratorINSC_11use_defaultEEESN_EEEEEPS7_SQ_SQ_NSC_11hip_rocprim7__merge17predicate_wrapperIyyNSC_4lessIyEEEEEE10hipError_tPvRmT0_T1_T2_T3_T4_T5_mmT6_P12ihipStream_tbEUlT_E_NS1_11comp_targetILNS1_3genE10ELNS1_11target_archE1200ELNS1_3gpuE4ELNS1_3repE0EEENS1_30default_config_static_selectorELNS0_4arch9wavefront6targetE0EEEvS11_.kd
    .uniform_work_group_size: 1
    .uses_dynamic_stack: false
    .vgpr_count:     0
    .vgpr_spill_count: 0
    .wavefront_size: 32
  - .args:
      - .offset:         0
        .size:           64
        .value_kind:     by_value
    .group_segment_fixed_size: 0
    .kernarg_segment_align: 8
    .kernarg_segment_size: 64
    .language:       OpenCL C
    .language_version:
      - 2
      - 0
    .max_flat_workgroup_size: 1024
    .name:           _ZN7rocprim17ROCPRIM_400000_NS6detail17trampoline_kernelINS0_14default_configENS1_21merge_config_selectorINS0_5tupleIJyyEEENS0_10empty_typeEEEZNS1_10merge_implIS3_NS0_12zip_iteratorINS5_IJN6thrust23THRUST_200600_302600_NS6detail15normal_iteratorINSC_10device_ptrIKyEEEESI_EEEEESK_NSA_INS5_IJNSC_16discard_iteratorINSC_11use_defaultEEESN_EEEEEPS7_SQ_SQ_NSC_11hip_rocprim7__merge17predicate_wrapperIyyNSC_4lessIyEEEEEE10hipError_tPvRmT0_T1_T2_T3_T4_T5_mmT6_P12ihipStream_tbEUlT_E_NS1_11comp_targetILNS1_3genE9ELNS1_11target_archE1100ELNS1_3gpuE3ELNS1_3repE0EEENS1_30default_config_static_selectorELNS0_4arch9wavefront6targetE0EEEvS11_
    .private_segment_fixed_size: 0
    .sgpr_count:     0
    .sgpr_spill_count: 0
    .symbol:         _ZN7rocprim17ROCPRIM_400000_NS6detail17trampoline_kernelINS0_14default_configENS1_21merge_config_selectorINS0_5tupleIJyyEEENS0_10empty_typeEEEZNS1_10merge_implIS3_NS0_12zip_iteratorINS5_IJN6thrust23THRUST_200600_302600_NS6detail15normal_iteratorINSC_10device_ptrIKyEEEESI_EEEEESK_NSA_INS5_IJNSC_16discard_iteratorINSC_11use_defaultEEESN_EEEEEPS7_SQ_SQ_NSC_11hip_rocprim7__merge17predicate_wrapperIyyNSC_4lessIyEEEEEE10hipError_tPvRmT0_T1_T2_T3_T4_T5_mmT6_P12ihipStream_tbEUlT_E_NS1_11comp_targetILNS1_3genE9ELNS1_11target_archE1100ELNS1_3gpuE3ELNS1_3repE0EEENS1_30default_config_static_selectorELNS0_4arch9wavefront6targetE0EEEvS11_.kd
    .uniform_work_group_size: 1
    .uses_dynamic_stack: false
    .vgpr_count:     0
    .vgpr_spill_count: 0
    .wavefront_size: 32
  - .args:
      - .offset:         0
        .size:           64
        .value_kind:     by_value
    .group_segment_fixed_size: 0
    .kernarg_segment_align: 8
    .kernarg_segment_size: 64
    .language:       OpenCL C
    .language_version:
      - 2
      - 0
    .max_flat_workgroup_size: 256
    .name:           _ZN7rocprim17ROCPRIM_400000_NS6detail17trampoline_kernelINS0_14default_configENS1_21merge_config_selectorINS0_5tupleIJyyEEENS0_10empty_typeEEEZNS1_10merge_implIS3_NS0_12zip_iteratorINS5_IJN6thrust23THRUST_200600_302600_NS6detail15normal_iteratorINSC_10device_ptrIKyEEEESI_EEEEESK_NSA_INS5_IJNSC_16discard_iteratorINSC_11use_defaultEEESN_EEEEEPS7_SQ_SQ_NSC_11hip_rocprim7__merge17predicate_wrapperIyyNSC_4lessIyEEEEEE10hipError_tPvRmT0_T1_T2_T3_T4_T5_mmT6_P12ihipStream_tbEUlT_E_NS1_11comp_targetILNS1_3genE8ELNS1_11target_archE1030ELNS1_3gpuE2ELNS1_3repE0EEENS1_30default_config_static_selectorELNS0_4arch9wavefront6targetE0EEEvS11_
    .private_segment_fixed_size: 0
    .sgpr_count:     0
    .sgpr_spill_count: 0
    .symbol:         _ZN7rocprim17ROCPRIM_400000_NS6detail17trampoline_kernelINS0_14default_configENS1_21merge_config_selectorINS0_5tupleIJyyEEENS0_10empty_typeEEEZNS1_10merge_implIS3_NS0_12zip_iteratorINS5_IJN6thrust23THRUST_200600_302600_NS6detail15normal_iteratorINSC_10device_ptrIKyEEEESI_EEEEESK_NSA_INS5_IJNSC_16discard_iteratorINSC_11use_defaultEEESN_EEEEEPS7_SQ_SQ_NSC_11hip_rocprim7__merge17predicate_wrapperIyyNSC_4lessIyEEEEEE10hipError_tPvRmT0_T1_T2_T3_T4_T5_mmT6_P12ihipStream_tbEUlT_E_NS1_11comp_targetILNS1_3genE8ELNS1_11target_archE1030ELNS1_3gpuE2ELNS1_3repE0EEENS1_30default_config_static_selectorELNS0_4arch9wavefront6targetE0EEEvS11_.kd
    .uniform_work_group_size: 1
    .uses_dynamic_stack: false
    .vgpr_count:     0
    .vgpr_spill_count: 0
    .wavefront_size: 32
  - .args:
      - .offset:         0
        .size:           128
        .value_kind:     by_value
    .group_segment_fixed_size: 16896
    .kernarg_segment_align: 8
    .kernarg_segment_size: 128
    .language:       OpenCL C
    .language_version:
      - 2
      - 0
    .max_flat_workgroup_size: 512
    .name:           _ZN7rocprim17ROCPRIM_400000_NS6detail17trampoline_kernelINS0_14default_configENS1_21merge_config_selectorINS0_5tupleIJyyEEENS0_10empty_typeEEEZNS1_10merge_implIS3_NS0_12zip_iteratorINS5_IJN6thrust23THRUST_200600_302600_NS6detail15normal_iteratorINSC_10device_ptrIKyEEEESI_EEEEESK_NSA_INS5_IJNSC_16discard_iteratorINSC_11use_defaultEEESN_EEEEEPS7_SQ_SQ_NSC_11hip_rocprim7__merge17predicate_wrapperIyyNSC_4lessIyEEEEEE10hipError_tPvRmT0_T1_T2_T3_T4_T5_mmT6_P12ihipStream_tbEUlT_E0_NS1_11comp_targetILNS1_3genE0ELNS1_11target_archE4294967295ELNS1_3gpuE0ELNS1_3repE0EEENS1_30default_config_static_selectorELNS0_4arch9wavefront6targetE0EEEvS11_
    .private_segment_fixed_size: 0
    .sgpr_count:     24
    .sgpr_spill_count: 0
    .symbol:         _ZN7rocprim17ROCPRIM_400000_NS6detail17trampoline_kernelINS0_14default_configENS1_21merge_config_selectorINS0_5tupleIJyyEEENS0_10empty_typeEEEZNS1_10merge_implIS3_NS0_12zip_iteratorINS5_IJN6thrust23THRUST_200600_302600_NS6detail15normal_iteratorINSC_10device_ptrIKyEEEESI_EEEEESK_NSA_INS5_IJNSC_16discard_iteratorINSC_11use_defaultEEESN_EEEEEPS7_SQ_SQ_NSC_11hip_rocprim7__merge17predicate_wrapperIyyNSC_4lessIyEEEEEE10hipError_tPvRmT0_T1_T2_T3_T4_T5_mmT6_P12ihipStream_tbEUlT_E0_NS1_11comp_targetILNS1_3genE0ELNS1_11target_archE4294967295ELNS1_3gpuE0ELNS1_3repE0EEENS1_30default_config_static_selectorELNS0_4arch9wavefront6targetE0EEEvS11_.kd
    .uniform_work_group_size: 1
    .uses_dynamic_stack: false
    .vgpr_count:     22
    .vgpr_spill_count: 0
    .wavefront_size: 32
  - .args:
      - .offset:         0
        .size:           128
        .value_kind:     by_value
    .group_segment_fixed_size: 0
    .kernarg_segment_align: 8
    .kernarg_segment_size: 128
    .language:       OpenCL C
    .language_version:
      - 2
      - 0
    .max_flat_workgroup_size: 256
    .name:           _ZN7rocprim17ROCPRIM_400000_NS6detail17trampoline_kernelINS0_14default_configENS1_21merge_config_selectorINS0_5tupleIJyyEEENS0_10empty_typeEEEZNS1_10merge_implIS3_NS0_12zip_iteratorINS5_IJN6thrust23THRUST_200600_302600_NS6detail15normal_iteratorINSC_10device_ptrIKyEEEESI_EEEEESK_NSA_INS5_IJNSC_16discard_iteratorINSC_11use_defaultEEESN_EEEEEPS7_SQ_SQ_NSC_11hip_rocprim7__merge17predicate_wrapperIyyNSC_4lessIyEEEEEE10hipError_tPvRmT0_T1_T2_T3_T4_T5_mmT6_P12ihipStream_tbEUlT_E0_NS1_11comp_targetILNS1_3genE5ELNS1_11target_archE942ELNS1_3gpuE9ELNS1_3repE0EEENS1_30default_config_static_selectorELNS0_4arch9wavefront6targetE0EEEvS11_
    .private_segment_fixed_size: 0
    .sgpr_count:     0
    .sgpr_spill_count: 0
    .symbol:         _ZN7rocprim17ROCPRIM_400000_NS6detail17trampoline_kernelINS0_14default_configENS1_21merge_config_selectorINS0_5tupleIJyyEEENS0_10empty_typeEEEZNS1_10merge_implIS3_NS0_12zip_iteratorINS5_IJN6thrust23THRUST_200600_302600_NS6detail15normal_iteratorINSC_10device_ptrIKyEEEESI_EEEEESK_NSA_INS5_IJNSC_16discard_iteratorINSC_11use_defaultEEESN_EEEEEPS7_SQ_SQ_NSC_11hip_rocprim7__merge17predicate_wrapperIyyNSC_4lessIyEEEEEE10hipError_tPvRmT0_T1_T2_T3_T4_T5_mmT6_P12ihipStream_tbEUlT_E0_NS1_11comp_targetILNS1_3genE5ELNS1_11target_archE942ELNS1_3gpuE9ELNS1_3repE0EEENS1_30default_config_static_selectorELNS0_4arch9wavefront6targetE0EEEvS11_.kd
    .uniform_work_group_size: 1
    .uses_dynamic_stack: false
    .vgpr_count:     0
    .vgpr_spill_count: 0
    .wavefront_size: 32
  - .args:
      - .offset:         0
        .size:           128
        .value_kind:     by_value
    .group_segment_fixed_size: 0
    .kernarg_segment_align: 8
    .kernarg_segment_size: 128
    .language:       OpenCL C
    .language_version:
      - 2
      - 0
    .max_flat_workgroup_size: 512
    .name:           _ZN7rocprim17ROCPRIM_400000_NS6detail17trampoline_kernelINS0_14default_configENS1_21merge_config_selectorINS0_5tupleIJyyEEENS0_10empty_typeEEEZNS1_10merge_implIS3_NS0_12zip_iteratorINS5_IJN6thrust23THRUST_200600_302600_NS6detail15normal_iteratorINSC_10device_ptrIKyEEEESI_EEEEESK_NSA_INS5_IJNSC_16discard_iteratorINSC_11use_defaultEEESN_EEEEEPS7_SQ_SQ_NSC_11hip_rocprim7__merge17predicate_wrapperIyyNSC_4lessIyEEEEEE10hipError_tPvRmT0_T1_T2_T3_T4_T5_mmT6_P12ihipStream_tbEUlT_E0_NS1_11comp_targetILNS1_3genE4ELNS1_11target_archE910ELNS1_3gpuE8ELNS1_3repE0EEENS1_30default_config_static_selectorELNS0_4arch9wavefront6targetE0EEEvS11_
    .private_segment_fixed_size: 0
    .sgpr_count:     0
    .sgpr_spill_count: 0
    .symbol:         _ZN7rocprim17ROCPRIM_400000_NS6detail17trampoline_kernelINS0_14default_configENS1_21merge_config_selectorINS0_5tupleIJyyEEENS0_10empty_typeEEEZNS1_10merge_implIS3_NS0_12zip_iteratorINS5_IJN6thrust23THRUST_200600_302600_NS6detail15normal_iteratorINSC_10device_ptrIKyEEEESI_EEEEESK_NSA_INS5_IJNSC_16discard_iteratorINSC_11use_defaultEEESN_EEEEEPS7_SQ_SQ_NSC_11hip_rocprim7__merge17predicate_wrapperIyyNSC_4lessIyEEEEEE10hipError_tPvRmT0_T1_T2_T3_T4_T5_mmT6_P12ihipStream_tbEUlT_E0_NS1_11comp_targetILNS1_3genE4ELNS1_11target_archE910ELNS1_3gpuE8ELNS1_3repE0EEENS1_30default_config_static_selectorELNS0_4arch9wavefront6targetE0EEEvS11_.kd
    .uniform_work_group_size: 1
    .uses_dynamic_stack: false
    .vgpr_count:     0
    .vgpr_spill_count: 0
    .wavefront_size: 32
  - .args:
      - .offset:         0
        .size:           128
        .value_kind:     by_value
    .group_segment_fixed_size: 0
    .kernarg_segment_align: 8
    .kernarg_segment_size: 128
    .language:       OpenCL C
    .language_version:
      - 2
      - 0
    .max_flat_workgroup_size: 512
    .name:           _ZN7rocprim17ROCPRIM_400000_NS6detail17trampoline_kernelINS0_14default_configENS1_21merge_config_selectorINS0_5tupleIJyyEEENS0_10empty_typeEEEZNS1_10merge_implIS3_NS0_12zip_iteratorINS5_IJN6thrust23THRUST_200600_302600_NS6detail15normal_iteratorINSC_10device_ptrIKyEEEESI_EEEEESK_NSA_INS5_IJNSC_16discard_iteratorINSC_11use_defaultEEESN_EEEEEPS7_SQ_SQ_NSC_11hip_rocprim7__merge17predicate_wrapperIyyNSC_4lessIyEEEEEE10hipError_tPvRmT0_T1_T2_T3_T4_T5_mmT6_P12ihipStream_tbEUlT_E0_NS1_11comp_targetILNS1_3genE3ELNS1_11target_archE908ELNS1_3gpuE7ELNS1_3repE0EEENS1_30default_config_static_selectorELNS0_4arch9wavefront6targetE0EEEvS11_
    .private_segment_fixed_size: 0
    .sgpr_count:     0
    .sgpr_spill_count: 0
    .symbol:         _ZN7rocprim17ROCPRIM_400000_NS6detail17trampoline_kernelINS0_14default_configENS1_21merge_config_selectorINS0_5tupleIJyyEEENS0_10empty_typeEEEZNS1_10merge_implIS3_NS0_12zip_iteratorINS5_IJN6thrust23THRUST_200600_302600_NS6detail15normal_iteratorINSC_10device_ptrIKyEEEESI_EEEEESK_NSA_INS5_IJNSC_16discard_iteratorINSC_11use_defaultEEESN_EEEEEPS7_SQ_SQ_NSC_11hip_rocprim7__merge17predicate_wrapperIyyNSC_4lessIyEEEEEE10hipError_tPvRmT0_T1_T2_T3_T4_T5_mmT6_P12ihipStream_tbEUlT_E0_NS1_11comp_targetILNS1_3genE3ELNS1_11target_archE908ELNS1_3gpuE7ELNS1_3repE0EEENS1_30default_config_static_selectorELNS0_4arch9wavefront6targetE0EEEvS11_.kd
    .uniform_work_group_size: 1
    .uses_dynamic_stack: false
    .vgpr_count:     0
    .vgpr_spill_count: 0
    .wavefront_size: 32
  - .args:
      - .offset:         0
        .size:           128
        .value_kind:     by_value
    .group_segment_fixed_size: 0
    .kernarg_segment_align: 8
    .kernarg_segment_size: 128
    .language:       OpenCL C
    .language_version:
      - 2
      - 0
    .max_flat_workgroup_size: 512
    .name:           _ZN7rocprim17ROCPRIM_400000_NS6detail17trampoline_kernelINS0_14default_configENS1_21merge_config_selectorINS0_5tupleIJyyEEENS0_10empty_typeEEEZNS1_10merge_implIS3_NS0_12zip_iteratorINS5_IJN6thrust23THRUST_200600_302600_NS6detail15normal_iteratorINSC_10device_ptrIKyEEEESI_EEEEESK_NSA_INS5_IJNSC_16discard_iteratorINSC_11use_defaultEEESN_EEEEEPS7_SQ_SQ_NSC_11hip_rocprim7__merge17predicate_wrapperIyyNSC_4lessIyEEEEEE10hipError_tPvRmT0_T1_T2_T3_T4_T5_mmT6_P12ihipStream_tbEUlT_E0_NS1_11comp_targetILNS1_3genE2ELNS1_11target_archE906ELNS1_3gpuE6ELNS1_3repE0EEENS1_30default_config_static_selectorELNS0_4arch9wavefront6targetE0EEEvS11_
    .private_segment_fixed_size: 0
    .sgpr_count:     0
    .sgpr_spill_count: 0
    .symbol:         _ZN7rocprim17ROCPRIM_400000_NS6detail17trampoline_kernelINS0_14default_configENS1_21merge_config_selectorINS0_5tupleIJyyEEENS0_10empty_typeEEEZNS1_10merge_implIS3_NS0_12zip_iteratorINS5_IJN6thrust23THRUST_200600_302600_NS6detail15normal_iteratorINSC_10device_ptrIKyEEEESI_EEEEESK_NSA_INS5_IJNSC_16discard_iteratorINSC_11use_defaultEEESN_EEEEEPS7_SQ_SQ_NSC_11hip_rocprim7__merge17predicate_wrapperIyyNSC_4lessIyEEEEEE10hipError_tPvRmT0_T1_T2_T3_T4_T5_mmT6_P12ihipStream_tbEUlT_E0_NS1_11comp_targetILNS1_3genE2ELNS1_11target_archE906ELNS1_3gpuE6ELNS1_3repE0EEENS1_30default_config_static_selectorELNS0_4arch9wavefront6targetE0EEEvS11_.kd
    .uniform_work_group_size: 1
    .uses_dynamic_stack: false
    .vgpr_count:     0
    .vgpr_spill_count: 0
    .wavefront_size: 32
  - .args:
      - .offset:         0
        .size:           128
        .value_kind:     by_value
    .group_segment_fixed_size: 0
    .kernarg_segment_align: 8
    .kernarg_segment_size: 128
    .language:       OpenCL C
    .language_version:
      - 2
      - 0
    .max_flat_workgroup_size: 512
    .name:           _ZN7rocprim17ROCPRIM_400000_NS6detail17trampoline_kernelINS0_14default_configENS1_21merge_config_selectorINS0_5tupleIJyyEEENS0_10empty_typeEEEZNS1_10merge_implIS3_NS0_12zip_iteratorINS5_IJN6thrust23THRUST_200600_302600_NS6detail15normal_iteratorINSC_10device_ptrIKyEEEESI_EEEEESK_NSA_INS5_IJNSC_16discard_iteratorINSC_11use_defaultEEESN_EEEEEPS7_SQ_SQ_NSC_11hip_rocprim7__merge17predicate_wrapperIyyNSC_4lessIyEEEEEE10hipError_tPvRmT0_T1_T2_T3_T4_T5_mmT6_P12ihipStream_tbEUlT_E0_NS1_11comp_targetILNS1_3genE10ELNS1_11target_archE1201ELNS1_3gpuE5ELNS1_3repE0EEENS1_30default_config_static_selectorELNS0_4arch9wavefront6targetE0EEEvS11_
    .private_segment_fixed_size: 0
    .sgpr_count:     0
    .sgpr_spill_count: 0
    .symbol:         _ZN7rocprim17ROCPRIM_400000_NS6detail17trampoline_kernelINS0_14default_configENS1_21merge_config_selectorINS0_5tupleIJyyEEENS0_10empty_typeEEEZNS1_10merge_implIS3_NS0_12zip_iteratorINS5_IJN6thrust23THRUST_200600_302600_NS6detail15normal_iteratorINSC_10device_ptrIKyEEEESI_EEEEESK_NSA_INS5_IJNSC_16discard_iteratorINSC_11use_defaultEEESN_EEEEEPS7_SQ_SQ_NSC_11hip_rocprim7__merge17predicate_wrapperIyyNSC_4lessIyEEEEEE10hipError_tPvRmT0_T1_T2_T3_T4_T5_mmT6_P12ihipStream_tbEUlT_E0_NS1_11comp_targetILNS1_3genE10ELNS1_11target_archE1201ELNS1_3gpuE5ELNS1_3repE0EEENS1_30default_config_static_selectorELNS0_4arch9wavefront6targetE0EEEvS11_.kd
    .uniform_work_group_size: 1
    .uses_dynamic_stack: false
    .vgpr_count:     0
    .vgpr_spill_count: 0
    .wavefront_size: 32
  - .args:
      - .offset:         0
        .size:           128
        .value_kind:     by_value
    .group_segment_fixed_size: 0
    .kernarg_segment_align: 8
    .kernarg_segment_size: 128
    .language:       OpenCL C
    .language_version:
      - 2
      - 0
    .max_flat_workgroup_size: 256
    .name:           _ZN7rocprim17ROCPRIM_400000_NS6detail17trampoline_kernelINS0_14default_configENS1_21merge_config_selectorINS0_5tupleIJyyEEENS0_10empty_typeEEEZNS1_10merge_implIS3_NS0_12zip_iteratorINS5_IJN6thrust23THRUST_200600_302600_NS6detail15normal_iteratorINSC_10device_ptrIKyEEEESI_EEEEESK_NSA_INS5_IJNSC_16discard_iteratorINSC_11use_defaultEEESN_EEEEEPS7_SQ_SQ_NSC_11hip_rocprim7__merge17predicate_wrapperIyyNSC_4lessIyEEEEEE10hipError_tPvRmT0_T1_T2_T3_T4_T5_mmT6_P12ihipStream_tbEUlT_E0_NS1_11comp_targetILNS1_3genE10ELNS1_11target_archE1200ELNS1_3gpuE4ELNS1_3repE0EEENS1_30default_config_static_selectorELNS0_4arch9wavefront6targetE0EEEvS11_
    .private_segment_fixed_size: 0
    .sgpr_count:     0
    .sgpr_spill_count: 0
    .symbol:         _ZN7rocprim17ROCPRIM_400000_NS6detail17trampoline_kernelINS0_14default_configENS1_21merge_config_selectorINS0_5tupleIJyyEEENS0_10empty_typeEEEZNS1_10merge_implIS3_NS0_12zip_iteratorINS5_IJN6thrust23THRUST_200600_302600_NS6detail15normal_iteratorINSC_10device_ptrIKyEEEESI_EEEEESK_NSA_INS5_IJNSC_16discard_iteratorINSC_11use_defaultEEESN_EEEEEPS7_SQ_SQ_NSC_11hip_rocprim7__merge17predicate_wrapperIyyNSC_4lessIyEEEEEE10hipError_tPvRmT0_T1_T2_T3_T4_T5_mmT6_P12ihipStream_tbEUlT_E0_NS1_11comp_targetILNS1_3genE10ELNS1_11target_archE1200ELNS1_3gpuE4ELNS1_3repE0EEENS1_30default_config_static_selectorELNS0_4arch9wavefront6targetE0EEEvS11_.kd
    .uniform_work_group_size: 1
    .uses_dynamic_stack: false
    .vgpr_count:     0
    .vgpr_spill_count: 0
    .wavefront_size: 32
  - .args:
      - .offset:         0
        .size:           128
        .value_kind:     by_value
    .group_segment_fixed_size: 0
    .kernarg_segment_align: 8
    .kernarg_segment_size: 128
    .language:       OpenCL C
    .language_version:
      - 2
      - 0
    .max_flat_workgroup_size: 1024
    .name:           _ZN7rocprim17ROCPRIM_400000_NS6detail17trampoline_kernelINS0_14default_configENS1_21merge_config_selectorINS0_5tupleIJyyEEENS0_10empty_typeEEEZNS1_10merge_implIS3_NS0_12zip_iteratorINS5_IJN6thrust23THRUST_200600_302600_NS6detail15normal_iteratorINSC_10device_ptrIKyEEEESI_EEEEESK_NSA_INS5_IJNSC_16discard_iteratorINSC_11use_defaultEEESN_EEEEEPS7_SQ_SQ_NSC_11hip_rocprim7__merge17predicate_wrapperIyyNSC_4lessIyEEEEEE10hipError_tPvRmT0_T1_T2_T3_T4_T5_mmT6_P12ihipStream_tbEUlT_E0_NS1_11comp_targetILNS1_3genE9ELNS1_11target_archE1100ELNS1_3gpuE3ELNS1_3repE0EEENS1_30default_config_static_selectorELNS0_4arch9wavefront6targetE0EEEvS11_
    .private_segment_fixed_size: 0
    .sgpr_count:     0
    .sgpr_spill_count: 0
    .symbol:         _ZN7rocprim17ROCPRIM_400000_NS6detail17trampoline_kernelINS0_14default_configENS1_21merge_config_selectorINS0_5tupleIJyyEEENS0_10empty_typeEEEZNS1_10merge_implIS3_NS0_12zip_iteratorINS5_IJN6thrust23THRUST_200600_302600_NS6detail15normal_iteratorINSC_10device_ptrIKyEEEESI_EEEEESK_NSA_INS5_IJNSC_16discard_iteratorINSC_11use_defaultEEESN_EEEEEPS7_SQ_SQ_NSC_11hip_rocprim7__merge17predicate_wrapperIyyNSC_4lessIyEEEEEE10hipError_tPvRmT0_T1_T2_T3_T4_T5_mmT6_P12ihipStream_tbEUlT_E0_NS1_11comp_targetILNS1_3genE9ELNS1_11target_archE1100ELNS1_3gpuE3ELNS1_3repE0EEENS1_30default_config_static_selectorELNS0_4arch9wavefront6targetE0EEEvS11_.kd
    .uniform_work_group_size: 1
    .uses_dynamic_stack: false
    .vgpr_count:     0
    .vgpr_spill_count: 0
    .wavefront_size: 32
  - .args:
      - .offset:         0
        .size:           128
        .value_kind:     by_value
    .group_segment_fixed_size: 0
    .kernarg_segment_align: 8
    .kernarg_segment_size: 128
    .language:       OpenCL C
    .language_version:
      - 2
      - 0
    .max_flat_workgroup_size: 256
    .name:           _ZN7rocprim17ROCPRIM_400000_NS6detail17trampoline_kernelINS0_14default_configENS1_21merge_config_selectorINS0_5tupleIJyyEEENS0_10empty_typeEEEZNS1_10merge_implIS3_NS0_12zip_iteratorINS5_IJN6thrust23THRUST_200600_302600_NS6detail15normal_iteratorINSC_10device_ptrIKyEEEESI_EEEEESK_NSA_INS5_IJNSC_16discard_iteratorINSC_11use_defaultEEESN_EEEEEPS7_SQ_SQ_NSC_11hip_rocprim7__merge17predicate_wrapperIyyNSC_4lessIyEEEEEE10hipError_tPvRmT0_T1_T2_T3_T4_T5_mmT6_P12ihipStream_tbEUlT_E0_NS1_11comp_targetILNS1_3genE8ELNS1_11target_archE1030ELNS1_3gpuE2ELNS1_3repE0EEENS1_30default_config_static_selectorELNS0_4arch9wavefront6targetE0EEEvS11_
    .private_segment_fixed_size: 0
    .sgpr_count:     0
    .sgpr_spill_count: 0
    .symbol:         _ZN7rocprim17ROCPRIM_400000_NS6detail17trampoline_kernelINS0_14default_configENS1_21merge_config_selectorINS0_5tupleIJyyEEENS0_10empty_typeEEEZNS1_10merge_implIS3_NS0_12zip_iteratorINS5_IJN6thrust23THRUST_200600_302600_NS6detail15normal_iteratorINSC_10device_ptrIKyEEEESI_EEEEESK_NSA_INS5_IJNSC_16discard_iteratorINSC_11use_defaultEEESN_EEEEEPS7_SQ_SQ_NSC_11hip_rocprim7__merge17predicate_wrapperIyyNSC_4lessIyEEEEEE10hipError_tPvRmT0_T1_T2_T3_T4_T5_mmT6_P12ihipStream_tbEUlT_E0_NS1_11comp_targetILNS1_3genE8ELNS1_11target_archE1030ELNS1_3gpuE2ELNS1_3repE0EEENS1_30default_config_static_selectorELNS0_4arch9wavefront6targetE0EEEvS11_.kd
    .uniform_work_group_size: 1
    .uses_dynamic_stack: false
    .vgpr_count:     0
    .vgpr_spill_count: 0
    .wavefront_size: 32
  - .args:
      - .offset:         0
        .size:           64
        .value_kind:     by_value
      - .offset:         64
        .size:           4
        .value_kind:     hidden_block_count_x
      - .offset:         68
        .size:           4
        .value_kind:     hidden_block_count_y
      - .offset:         72
        .size:           4
        .value_kind:     hidden_block_count_z
      - .offset:         76
        .size:           2
        .value_kind:     hidden_group_size_x
      - .offset:         78
        .size:           2
        .value_kind:     hidden_group_size_y
      - .offset:         80
        .size:           2
        .value_kind:     hidden_group_size_z
      - .offset:         82
        .size:           2
        .value_kind:     hidden_remainder_x
      - .offset:         84
        .size:           2
        .value_kind:     hidden_remainder_y
      - .offset:         86
        .size:           2
        .value_kind:     hidden_remainder_z
      - .offset:         104
        .size:           8
        .value_kind:     hidden_global_offset_x
      - .offset:         112
        .size:           8
        .value_kind:     hidden_global_offset_y
      - .offset:         120
        .size:           8
        .value_kind:     hidden_global_offset_z
      - .offset:         128
        .size:           2
        .value_kind:     hidden_grid_dims
    .group_segment_fixed_size: 0
    .kernarg_segment_align: 8
    .kernarg_segment_size: 320
    .language:       OpenCL C
    .language_version:
      - 2
      - 0
    .max_flat_workgroup_size: 256
    .name:           _ZN7rocprim17ROCPRIM_400000_NS6detail17trampoline_kernelINS0_14default_configENS1_21merge_config_selectorINS0_5tupleIJjjEEENS0_10empty_typeEEEZNS1_10merge_implIS3_NS0_12zip_iteratorINS5_IJN6thrust23THRUST_200600_302600_NS6detail15normal_iteratorINSC_10device_ptrIKjEEEESI_EEEEESK_NSA_INS5_IJNSC_16discard_iteratorINSC_11use_defaultEEESN_EEEEEPS7_SQ_SQ_NSC_11hip_rocprim7__merge17predicate_wrapperIjjNSC_4lessIjEEEEEE10hipError_tPvRmT0_T1_T2_T3_T4_T5_mmT6_P12ihipStream_tbEUlT_E_NS1_11comp_targetILNS1_3genE0ELNS1_11target_archE4294967295ELNS1_3gpuE0ELNS1_3repE0EEENS1_30default_config_static_selectorELNS0_4arch9wavefront6targetE0EEEvS11_
    .private_segment_fixed_size: 0
    .sgpr_count:     16
    .sgpr_spill_count: 0
    .symbol:         _ZN7rocprim17ROCPRIM_400000_NS6detail17trampoline_kernelINS0_14default_configENS1_21merge_config_selectorINS0_5tupleIJjjEEENS0_10empty_typeEEEZNS1_10merge_implIS3_NS0_12zip_iteratorINS5_IJN6thrust23THRUST_200600_302600_NS6detail15normal_iteratorINSC_10device_ptrIKjEEEESI_EEEEESK_NSA_INS5_IJNSC_16discard_iteratorINSC_11use_defaultEEESN_EEEEEPS7_SQ_SQ_NSC_11hip_rocprim7__merge17predicate_wrapperIjjNSC_4lessIjEEEEEE10hipError_tPvRmT0_T1_T2_T3_T4_T5_mmT6_P12ihipStream_tbEUlT_E_NS1_11comp_targetILNS1_3genE0ELNS1_11target_archE4294967295ELNS1_3gpuE0ELNS1_3repE0EEENS1_30default_config_static_selectorELNS0_4arch9wavefront6targetE0EEEvS11_.kd
    .uniform_work_group_size: 1
    .uses_dynamic_stack: false
    .vgpr_count:     15
    .vgpr_spill_count: 0
    .wavefront_size: 32
  - .args:
      - .offset:         0
        .size:           64
        .value_kind:     by_value
    .group_segment_fixed_size: 0
    .kernarg_segment_align: 8
    .kernarg_segment_size: 64
    .language:       OpenCL C
    .language_version:
      - 2
      - 0
    .max_flat_workgroup_size: 256
    .name:           _ZN7rocprim17ROCPRIM_400000_NS6detail17trampoline_kernelINS0_14default_configENS1_21merge_config_selectorINS0_5tupleIJjjEEENS0_10empty_typeEEEZNS1_10merge_implIS3_NS0_12zip_iteratorINS5_IJN6thrust23THRUST_200600_302600_NS6detail15normal_iteratorINSC_10device_ptrIKjEEEESI_EEEEESK_NSA_INS5_IJNSC_16discard_iteratorINSC_11use_defaultEEESN_EEEEEPS7_SQ_SQ_NSC_11hip_rocprim7__merge17predicate_wrapperIjjNSC_4lessIjEEEEEE10hipError_tPvRmT0_T1_T2_T3_T4_T5_mmT6_P12ihipStream_tbEUlT_E_NS1_11comp_targetILNS1_3genE5ELNS1_11target_archE942ELNS1_3gpuE9ELNS1_3repE0EEENS1_30default_config_static_selectorELNS0_4arch9wavefront6targetE0EEEvS11_
    .private_segment_fixed_size: 0
    .sgpr_count:     0
    .sgpr_spill_count: 0
    .symbol:         _ZN7rocprim17ROCPRIM_400000_NS6detail17trampoline_kernelINS0_14default_configENS1_21merge_config_selectorINS0_5tupleIJjjEEENS0_10empty_typeEEEZNS1_10merge_implIS3_NS0_12zip_iteratorINS5_IJN6thrust23THRUST_200600_302600_NS6detail15normal_iteratorINSC_10device_ptrIKjEEEESI_EEEEESK_NSA_INS5_IJNSC_16discard_iteratorINSC_11use_defaultEEESN_EEEEEPS7_SQ_SQ_NSC_11hip_rocprim7__merge17predicate_wrapperIjjNSC_4lessIjEEEEEE10hipError_tPvRmT0_T1_T2_T3_T4_T5_mmT6_P12ihipStream_tbEUlT_E_NS1_11comp_targetILNS1_3genE5ELNS1_11target_archE942ELNS1_3gpuE9ELNS1_3repE0EEENS1_30default_config_static_selectorELNS0_4arch9wavefront6targetE0EEEvS11_.kd
    .uniform_work_group_size: 1
    .uses_dynamic_stack: false
    .vgpr_count:     0
    .vgpr_spill_count: 0
    .wavefront_size: 32
  - .args:
      - .offset:         0
        .size:           64
        .value_kind:     by_value
    .group_segment_fixed_size: 0
    .kernarg_segment_align: 8
    .kernarg_segment_size: 64
    .language:       OpenCL C
    .language_version:
      - 2
      - 0
    .max_flat_workgroup_size: 256
    .name:           _ZN7rocprim17ROCPRIM_400000_NS6detail17trampoline_kernelINS0_14default_configENS1_21merge_config_selectorINS0_5tupleIJjjEEENS0_10empty_typeEEEZNS1_10merge_implIS3_NS0_12zip_iteratorINS5_IJN6thrust23THRUST_200600_302600_NS6detail15normal_iteratorINSC_10device_ptrIKjEEEESI_EEEEESK_NSA_INS5_IJNSC_16discard_iteratorINSC_11use_defaultEEESN_EEEEEPS7_SQ_SQ_NSC_11hip_rocprim7__merge17predicate_wrapperIjjNSC_4lessIjEEEEEE10hipError_tPvRmT0_T1_T2_T3_T4_T5_mmT6_P12ihipStream_tbEUlT_E_NS1_11comp_targetILNS1_3genE4ELNS1_11target_archE910ELNS1_3gpuE8ELNS1_3repE0EEENS1_30default_config_static_selectorELNS0_4arch9wavefront6targetE0EEEvS11_
    .private_segment_fixed_size: 0
    .sgpr_count:     0
    .sgpr_spill_count: 0
    .symbol:         _ZN7rocprim17ROCPRIM_400000_NS6detail17trampoline_kernelINS0_14default_configENS1_21merge_config_selectorINS0_5tupleIJjjEEENS0_10empty_typeEEEZNS1_10merge_implIS3_NS0_12zip_iteratorINS5_IJN6thrust23THRUST_200600_302600_NS6detail15normal_iteratorINSC_10device_ptrIKjEEEESI_EEEEESK_NSA_INS5_IJNSC_16discard_iteratorINSC_11use_defaultEEESN_EEEEEPS7_SQ_SQ_NSC_11hip_rocprim7__merge17predicate_wrapperIjjNSC_4lessIjEEEEEE10hipError_tPvRmT0_T1_T2_T3_T4_T5_mmT6_P12ihipStream_tbEUlT_E_NS1_11comp_targetILNS1_3genE4ELNS1_11target_archE910ELNS1_3gpuE8ELNS1_3repE0EEENS1_30default_config_static_selectorELNS0_4arch9wavefront6targetE0EEEvS11_.kd
    .uniform_work_group_size: 1
    .uses_dynamic_stack: false
    .vgpr_count:     0
    .vgpr_spill_count: 0
    .wavefront_size: 32
  - .args:
      - .offset:         0
        .size:           64
        .value_kind:     by_value
    .group_segment_fixed_size: 0
    .kernarg_segment_align: 8
    .kernarg_segment_size: 64
    .language:       OpenCL C
    .language_version:
      - 2
      - 0
    .max_flat_workgroup_size: 256
    .name:           _ZN7rocprim17ROCPRIM_400000_NS6detail17trampoline_kernelINS0_14default_configENS1_21merge_config_selectorINS0_5tupleIJjjEEENS0_10empty_typeEEEZNS1_10merge_implIS3_NS0_12zip_iteratorINS5_IJN6thrust23THRUST_200600_302600_NS6detail15normal_iteratorINSC_10device_ptrIKjEEEESI_EEEEESK_NSA_INS5_IJNSC_16discard_iteratorINSC_11use_defaultEEESN_EEEEEPS7_SQ_SQ_NSC_11hip_rocprim7__merge17predicate_wrapperIjjNSC_4lessIjEEEEEE10hipError_tPvRmT0_T1_T2_T3_T4_T5_mmT6_P12ihipStream_tbEUlT_E_NS1_11comp_targetILNS1_3genE3ELNS1_11target_archE908ELNS1_3gpuE7ELNS1_3repE0EEENS1_30default_config_static_selectorELNS0_4arch9wavefront6targetE0EEEvS11_
    .private_segment_fixed_size: 0
    .sgpr_count:     0
    .sgpr_spill_count: 0
    .symbol:         _ZN7rocprim17ROCPRIM_400000_NS6detail17trampoline_kernelINS0_14default_configENS1_21merge_config_selectorINS0_5tupleIJjjEEENS0_10empty_typeEEEZNS1_10merge_implIS3_NS0_12zip_iteratorINS5_IJN6thrust23THRUST_200600_302600_NS6detail15normal_iteratorINSC_10device_ptrIKjEEEESI_EEEEESK_NSA_INS5_IJNSC_16discard_iteratorINSC_11use_defaultEEESN_EEEEEPS7_SQ_SQ_NSC_11hip_rocprim7__merge17predicate_wrapperIjjNSC_4lessIjEEEEEE10hipError_tPvRmT0_T1_T2_T3_T4_T5_mmT6_P12ihipStream_tbEUlT_E_NS1_11comp_targetILNS1_3genE3ELNS1_11target_archE908ELNS1_3gpuE7ELNS1_3repE0EEENS1_30default_config_static_selectorELNS0_4arch9wavefront6targetE0EEEvS11_.kd
    .uniform_work_group_size: 1
    .uses_dynamic_stack: false
    .vgpr_count:     0
    .vgpr_spill_count: 0
    .wavefront_size: 32
  - .args:
      - .offset:         0
        .size:           64
        .value_kind:     by_value
    .group_segment_fixed_size: 0
    .kernarg_segment_align: 8
    .kernarg_segment_size: 64
    .language:       OpenCL C
    .language_version:
      - 2
      - 0
    .max_flat_workgroup_size: 256
    .name:           _ZN7rocprim17ROCPRIM_400000_NS6detail17trampoline_kernelINS0_14default_configENS1_21merge_config_selectorINS0_5tupleIJjjEEENS0_10empty_typeEEEZNS1_10merge_implIS3_NS0_12zip_iteratorINS5_IJN6thrust23THRUST_200600_302600_NS6detail15normal_iteratorINSC_10device_ptrIKjEEEESI_EEEEESK_NSA_INS5_IJNSC_16discard_iteratorINSC_11use_defaultEEESN_EEEEEPS7_SQ_SQ_NSC_11hip_rocprim7__merge17predicate_wrapperIjjNSC_4lessIjEEEEEE10hipError_tPvRmT0_T1_T2_T3_T4_T5_mmT6_P12ihipStream_tbEUlT_E_NS1_11comp_targetILNS1_3genE2ELNS1_11target_archE906ELNS1_3gpuE6ELNS1_3repE0EEENS1_30default_config_static_selectorELNS0_4arch9wavefront6targetE0EEEvS11_
    .private_segment_fixed_size: 0
    .sgpr_count:     0
    .sgpr_spill_count: 0
    .symbol:         _ZN7rocprim17ROCPRIM_400000_NS6detail17trampoline_kernelINS0_14default_configENS1_21merge_config_selectorINS0_5tupleIJjjEEENS0_10empty_typeEEEZNS1_10merge_implIS3_NS0_12zip_iteratorINS5_IJN6thrust23THRUST_200600_302600_NS6detail15normal_iteratorINSC_10device_ptrIKjEEEESI_EEEEESK_NSA_INS5_IJNSC_16discard_iteratorINSC_11use_defaultEEESN_EEEEEPS7_SQ_SQ_NSC_11hip_rocprim7__merge17predicate_wrapperIjjNSC_4lessIjEEEEEE10hipError_tPvRmT0_T1_T2_T3_T4_T5_mmT6_P12ihipStream_tbEUlT_E_NS1_11comp_targetILNS1_3genE2ELNS1_11target_archE906ELNS1_3gpuE6ELNS1_3repE0EEENS1_30default_config_static_selectorELNS0_4arch9wavefront6targetE0EEEvS11_.kd
    .uniform_work_group_size: 1
    .uses_dynamic_stack: false
    .vgpr_count:     0
    .vgpr_spill_count: 0
    .wavefront_size: 32
  - .args:
      - .offset:         0
        .size:           64
        .value_kind:     by_value
    .group_segment_fixed_size: 0
    .kernarg_segment_align: 8
    .kernarg_segment_size: 64
    .language:       OpenCL C
    .language_version:
      - 2
      - 0
    .max_flat_workgroup_size: 512
    .name:           _ZN7rocprim17ROCPRIM_400000_NS6detail17trampoline_kernelINS0_14default_configENS1_21merge_config_selectorINS0_5tupleIJjjEEENS0_10empty_typeEEEZNS1_10merge_implIS3_NS0_12zip_iteratorINS5_IJN6thrust23THRUST_200600_302600_NS6detail15normal_iteratorINSC_10device_ptrIKjEEEESI_EEEEESK_NSA_INS5_IJNSC_16discard_iteratorINSC_11use_defaultEEESN_EEEEEPS7_SQ_SQ_NSC_11hip_rocprim7__merge17predicate_wrapperIjjNSC_4lessIjEEEEEE10hipError_tPvRmT0_T1_T2_T3_T4_T5_mmT6_P12ihipStream_tbEUlT_E_NS1_11comp_targetILNS1_3genE10ELNS1_11target_archE1201ELNS1_3gpuE5ELNS1_3repE0EEENS1_30default_config_static_selectorELNS0_4arch9wavefront6targetE0EEEvS11_
    .private_segment_fixed_size: 0
    .sgpr_count:     0
    .sgpr_spill_count: 0
    .symbol:         _ZN7rocprim17ROCPRIM_400000_NS6detail17trampoline_kernelINS0_14default_configENS1_21merge_config_selectorINS0_5tupleIJjjEEENS0_10empty_typeEEEZNS1_10merge_implIS3_NS0_12zip_iteratorINS5_IJN6thrust23THRUST_200600_302600_NS6detail15normal_iteratorINSC_10device_ptrIKjEEEESI_EEEEESK_NSA_INS5_IJNSC_16discard_iteratorINSC_11use_defaultEEESN_EEEEEPS7_SQ_SQ_NSC_11hip_rocprim7__merge17predicate_wrapperIjjNSC_4lessIjEEEEEE10hipError_tPvRmT0_T1_T2_T3_T4_T5_mmT6_P12ihipStream_tbEUlT_E_NS1_11comp_targetILNS1_3genE10ELNS1_11target_archE1201ELNS1_3gpuE5ELNS1_3repE0EEENS1_30default_config_static_selectorELNS0_4arch9wavefront6targetE0EEEvS11_.kd
    .uniform_work_group_size: 1
    .uses_dynamic_stack: false
    .vgpr_count:     0
    .vgpr_spill_count: 0
    .wavefront_size: 32
  - .args:
      - .offset:         0
        .size:           64
        .value_kind:     by_value
    .group_segment_fixed_size: 0
    .kernarg_segment_align: 8
    .kernarg_segment_size: 64
    .language:       OpenCL C
    .language_version:
      - 2
      - 0
    .max_flat_workgroup_size: 1024
    .name:           _ZN7rocprim17ROCPRIM_400000_NS6detail17trampoline_kernelINS0_14default_configENS1_21merge_config_selectorINS0_5tupleIJjjEEENS0_10empty_typeEEEZNS1_10merge_implIS3_NS0_12zip_iteratorINS5_IJN6thrust23THRUST_200600_302600_NS6detail15normal_iteratorINSC_10device_ptrIKjEEEESI_EEEEESK_NSA_INS5_IJNSC_16discard_iteratorINSC_11use_defaultEEESN_EEEEEPS7_SQ_SQ_NSC_11hip_rocprim7__merge17predicate_wrapperIjjNSC_4lessIjEEEEEE10hipError_tPvRmT0_T1_T2_T3_T4_T5_mmT6_P12ihipStream_tbEUlT_E_NS1_11comp_targetILNS1_3genE10ELNS1_11target_archE1200ELNS1_3gpuE4ELNS1_3repE0EEENS1_30default_config_static_selectorELNS0_4arch9wavefront6targetE0EEEvS11_
    .private_segment_fixed_size: 0
    .sgpr_count:     0
    .sgpr_spill_count: 0
    .symbol:         _ZN7rocprim17ROCPRIM_400000_NS6detail17trampoline_kernelINS0_14default_configENS1_21merge_config_selectorINS0_5tupleIJjjEEENS0_10empty_typeEEEZNS1_10merge_implIS3_NS0_12zip_iteratorINS5_IJN6thrust23THRUST_200600_302600_NS6detail15normal_iteratorINSC_10device_ptrIKjEEEESI_EEEEESK_NSA_INS5_IJNSC_16discard_iteratorINSC_11use_defaultEEESN_EEEEEPS7_SQ_SQ_NSC_11hip_rocprim7__merge17predicate_wrapperIjjNSC_4lessIjEEEEEE10hipError_tPvRmT0_T1_T2_T3_T4_T5_mmT6_P12ihipStream_tbEUlT_E_NS1_11comp_targetILNS1_3genE10ELNS1_11target_archE1200ELNS1_3gpuE4ELNS1_3repE0EEENS1_30default_config_static_selectorELNS0_4arch9wavefront6targetE0EEEvS11_.kd
    .uniform_work_group_size: 1
    .uses_dynamic_stack: false
    .vgpr_count:     0
    .vgpr_spill_count: 0
    .wavefront_size: 32
  - .args:
      - .offset:         0
        .size:           64
        .value_kind:     by_value
    .group_segment_fixed_size: 0
    .kernarg_segment_align: 8
    .kernarg_segment_size: 64
    .language:       OpenCL C
    .language_version:
      - 2
      - 0
    .max_flat_workgroup_size: 1024
    .name:           _ZN7rocprim17ROCPRIM_400000_NS6detail17trampoline_kernelINS0_14default_configENS1_21merge_config_selectorINS0_5tupleIJjjEEENS0_10empty_typeEEEZNS1_10merge_implIS3_NS0_12zip_iteratorINS5_IJN6thrust23THRUST_200600_302600_NS6detail15normal_iteratorINSC_10device_ptrIKjEEEESI_EEEEESK_NSA_INS5_IJNSC_16discard_iteratorINSC_11use_defaultEEESN_EEEEEPS7_SQ_SQ_NSC_11hip_rocprim7__merge17predicate_wrapperIjjNSC_4lessIjEEEEEE10hipError_tPvRmT0_T1_T2_T3_T4_T5_mmT6_P12ihipStream_tbEUlT_E_NS1_11comp_targetILNS1_3genE9ELNS1_11target_archE1100ELNS1_3gpuE3ELNS1_3repE0EEENS1_30default_config_static_selectorELNS0_4arch9wavefront6targetE0EEEvS11_
    .private_segment_fixed_size: 0
    .sgpr_count:     0
    .sgpr_spill_count: 0
    .symbol:         _ZN7rocprim17ROCPRIM_400000_NS6detail17trampoline_kernelINS0_14default_configENS1_21merge_config_selectorINS0_5tupleIJjjEEENS0_10empty_typeEEEZNS1_10merge_implIS3_NS0_12zip_iteratorINS5_IJN6thrust23THRUST_200600_302600_NS6detail15normal_iteratorINSC_10device_ptrIKjEEEESI_EEEEESK_NSA_INS5_IJNSC_16discard_iteratorINSC_11use_defaultEEESN_EEEEEPS7_SQ_SQ_NSC_11hip_rocprim7__merge17predicate_wrapperIjjNSC_4lessIjEEEEEE10hipError_tPvRmT0_T1_T2_T3_T4_T5_mmT6_P12ihipStream_tbEUlT_E_NS1_11comp_targetILNS1_3genE9ELNS1_11target_archE1100ELNS1_3gpuE3ELNS1_3repE0EEENS1_30default_config_static_selectorELNS0_4arch9wavefront6targetE0EEEvS11_.kd
    .uniform_work_group_size: 1
    .uses_dynamic_stack: false
    .vgpr_count:     0
    .vgpr_spill_count: 0
    .wavefront_size: 32
  - .args:
      - .offset:         0
        .size:           64
        .value_kind:     by_value
    .group_segment_fixed_size: 0
    .kernarg_segment_align: 8
    .kernarg_segment_size: 64
    .language:       OpenCL C
    .language_version:
      - 2
      - 0
    .max_flat_workgroup_size: 256
    .name:           _ZN7rocprim17ROCPRIM_400000_NS6detail17trampoline_kernelINS0_14default_configENS1_21merge_config_selectorINS0_5tupleIJjjEEENS0_10empty_typeEEEZNS1_10merge_implIS3_NS0_12zip_iteratorINS5_IJN6thrust23THRUST_200600_302600_NS6detail15normal_iteratorINSC_10device_ptrIKjEEEESI_EEEEESK_NSA_INS5_IJNSC_16discard_iteratorINSC_11use_defaultEEESN_EEEEEPS7_SQ_SQ_NSC_11hip_rocprim7__merge17predicate_wrapperIjjNSC_4lessIjEEEEEE10hipError_tPvRmT0_T1_T2_T3_T4_T5_mmT6_P12ihipStream_tbEUlT_E_NS1_11comp_targetILNS1_3genE8ELNS1_11target_archE1030ELNS1_3gpuE2ELNS1_3repE0EEENS1_30default_config_static_selectorELNS0_4arch9wavefront6targetE0EEEvS11_
    .private_segment_fixed_size: 0
    .sgpr_count:     0
    .sgpr_spill_count: 0
    .symbol:         _ZN7rocprim17ROCPRIM_400000_NS6detail17trampoline_kernelINS0_14default_configENS1_21merge_config_selectorINS0_5tupleIJjjEEENS0_10empty_typeEEEZNS1_10merge_implIS3_NS0_12zip_iteratorINS5_IJN6thrust23THRUST_200600_302600_NS6detail15normal_iteratorINSC_10device_ptrIKjEEEESI_EEEEESK_NSA_INS5_IJNSC_16discard_iteratorINSC_11use_defaultEEESN_EEEEEPS7_SQ_SQ_NSC_11hip_rocprim7__merge17predicate_wrapperIjjNSC_4lessIjEEEEEE10hipError_tPvRmT0_T1_T2_T3_T4_T5_mmT6_P12ihipStream_tbEUlT_E_NS1_11comp_targetILNS1_3genE8ELNS1_11target_archE1030ELNS1_3gpuE2ELNS1_3repE0EEENS1_30default_config_static_selectorELNS0_4arch9wavefront6targetE0EEEvS11_.kd
    .uniform_work_group_size: 1
    .uses_dynamic_stack: false
    .vgpr_count:     0
    .vgpr_spill_count: 0
    .wavefront_size: 32
  - .args:
      - .offset:         0
        .size:           128
        .value_kind:     by_value
    .group_segment_fixed_size: 14352
    .kernarg_segment_align: 8
    .kernarg_segment_size: 128
    .language:       OpenCL C
    .language_version:
      - 2
      - 0
    .max_flat_workgroup_size: 256
    .name:           _ZN7rocprim17ROCPRIM_400000_NS6detail17trampoline_kernelINS0_14default_configENS1_21merge_config_selectorINS0_5tupleIJjjEEENS0_10empty_typeEEEZNS1_10merge_implIS3_NS0_12zip_iteratorINS5_IJN6thrust23THRUST_200600_302600_NS6detail15normal_iteratorINSC_10device_ptrIKjEEEESI_EEEEESK_NSA_INS5_IJNSC_16discard_iteratorINSC_11use_defaultEEESN_EEEEEPS7_SQ_SQ_NSC_11hip_rocprim7__merge17predicate_wrapperIjjNSC_4lessIjEEEEEE10hipError_tPvRmT0_T1_T2_T3_T4_T5_mmT6_P12ihipStream_tbEUlT_E0_NS1_11comp_targetILNS1_3genE0ELNS1_11target_archE4294967295ELNS1_3gpuE0ELNS1_3repE0EEENS1_30default_config_static_selectorELNS0_4arch9wavefront6targetE0EEEvS11_
    .private_segment_fixed_size: 0
    .sgpr_count:     24
    .sgpr_spill_count: 0
    .symbol:         _ZN7rocprim17ROCPRIM_400000_NS6detail17trampoline_kernelINS0_14default_configENS1_21merge_config_selectorINS0_5tupleIJjjEEENS0_10empty_typeEEEZNS1_10merge_implIS3_NS0_12zip_iteratorINS5_IJN6thrust23THRUST_200600_302600_NS6detail15normal_iteratorINSC_10device_ptrIKjEEEESI_EEEEESK_NSA_INS5_IJNSC_16discard_iteratorINSC_11use_defaultEEESN_EEEEEPS7_SQ_SQ_NSC_11hip_rocprim7__merge17predicate_wrapperIjjNSC_4lessIjEEEEEE10hipError_tPvRmT0_T1_T2_T3_T4_T5_mmT6_P12ihipStream_tbEUlT_E0_NS1_11comp_targetILNS1_3genE0ELNS1_11target_archE4294967295ELNS1_3gpuE0ELNS1_3repE0EEENS1_30default_config_static_selectorELNS0_4arch9wavefront6targetE0EEEvS11_.kd
    .uniform_work_group_size: 1
    .uses_dynamic_stack: false
    .vgpr_count:     28
    .vgpr_spill_count: 0
    .wavefront_size: 32
  - .args:
      - .offset:         0
        .size:           128
        .value_kind:     by_value
    .group_segment_fixed_size: 0
    .kernarg_segment_align: 8
    .kernarg_segment_size: 128
    .language:       OpenCL C
    .language_version:
      - 2
      - 0
    .max_flat_workgroup_size: 256
    .name:           _ZN7rocprim17ROCPRIM_400000_NS6detail17trampoline_kernelINS0_14default_configENS1_21merge_config_selectorINS0_5tupleIJjjEEENS0_10empty_typeEEEZNS1_10merge_implIS3_NS0_12zip_iteratorINS5_IJN6thrust23THRUST_200600_302600_NS6detail15normal_iteratorINSC_10device_ptrIKjEEEESI_EEEEESK_NSA_INS5_IJNSC_16discard_iteratorINSC_11use_defaultEEESN_EEEEEPS7_SQ_SQ_NSC_11hip_rocprim7__merge17predicate_wrapperIjjNSC_4lessIjEEEEEE10hipError_tPvRmT0_T1_T2_T3_T4_T5_mmT6_P12ihipStream_tbEUlT_E0_NS1_11comp_targetILNS1_3genE5ELNS1_11target_archE942ELNS1_3gpuE9ELNS1_3repE0EEENS1_30default_config_static_selectorELNS0_4arch9wavefront6targetE0EEEvS11_
    .private_segment_fixed_size: 0
    .sgpr_count:     0
    .sgpr_spill_count: 0
    .symbol:         _ZN7rocprim17ROCPRIM_400000_NS6detail17trampoline_kernelINS0_14default_configENS1_21merge_config_selectorINS0_5tupleIJjjEEENS0_10empty_typeEEEZNS1_10merge_implIS3_NS0_12zip_iteratorINS5_IJN6thrust23THRUST_200600_302600_NS6detail15normal_iteratorINSC_10device_ptrIKjEEEESI_EEEEESK_NSA_INS5_IJNSC_16discard_iteratorINSC_11use_defaultEEESN_EEEEEPS7_SQ_SQ_NSC_11hip_rocprim7__merge17predicate_wrapperIjjNSC_4lessIjEEEEEE10hipError_tPvRmT0_T1_T2_T3_T4_T5_mmT6_P12ihipStream_tbEUlT_E0_NS1_11comp_targetILNS1_3genE5ELNS1_11target_archE942ELNS1_3gpuE9ELNS1_3repE0EEENS1_30default_config_static_selectorELNS0_4arch9wavefront6targetE0EEEvS11_.kd
    .uniform_work_group_size: 1
    .uses_dynamic_stack: false
    .vgpr_count:     0
    .vgpr_spill_count: 0
    .wavefront_size: 32
  - .args:
      - .offset:         0
        .size:           128
        .value_kind:     by_value
    .group_segment_fixed_size: 0
    .kernarg_segment_align: 8
    .kernarg_segment_size: 128
    .language:       OpenCL C
    .language_version:
      - 2
      - 0
    .max_flat_workgroup_size: 256
    .name:           _ZN7rocprim17ROCPRIM_400000_NS6detail17trampoline_kernelINS0_14default_configENS1_21merge_config_selectorINS0_5tupleIJjjEEENS0_10empty_typeEEEZNS1_10merge_implIS3_NS0_12zip_iteratorINS5_IJN6thrust23THRUST_200600_302600_NS6detail15normal_iteratorINSC_10device_ptrIKjEEEESI_EEEEESK_NSA_INS5_IJNSC_16discard_iteratorINSC_11use_defaultEEESN_EEEEEPS7_SQ_SQ_NSC_11hip_rocprim7__merge17predicate_wrapperIjjNSC_4lessIjEEEEEE10hipError_tPvRmT0_T1_T2_T3_T4_T5_mmT6_P12ihipStream_tbEUlT_E0_NS1_11comp_targetILNS1_3genE4ELNS1_11target_archE910ELNS1_3gpuE8ELNS1_3repE0EEENS1_30default_config_static_selectorELNS0_4arch9wavefront6targetE0EEEvS11_
    .private_segment_fixed_size: 0
    .sgpr_count:     0
    .sgpr_spill_count: 0
    .symbol:         _ZN7rocprim17ROCPRIM_400000_NS6detail17trampoline_kernelINS0_14default_configENS1_21merge_config_selectorINS0_5tupleIJjjEEENS0_10empty_typeEEEZNS1_10merge_implIS3_NS0_12zip_iteratorINS5_IJN6thrust23THRUST_200600_302600_NS6detail15normal_iteratorINSC_10device_ptrIKjEEEESI_EEEEESK_NSA_INS5_IJNSC_16discard_iteratorINSC_11use_defaultEEESN_EEEEEPS7_SQ_SQ_NSC_11hip_rocprim7__merge17predicate_wrapperIjjNSC_4lessIjEEEEEE10hipError_tPvRmT0_T1_T2_T3_T4_T5_mmT6_P12ihipStream_tbEUlT_E0_NS1_11comp_targetILNS1_3genE4ELNS1_11target_archE910ELNS1_3gpuE8ELNS1_3repE0EEENS1_30default_config_static_selectorELNS0_4arch9wavefront6targetE0EEEvS11_.kd
    .uniform_work_group_size: 1
    .uses_dynamic_stack: false
    .vgpr_count:     0
    .vgpr_spill_count: 0
    .wavefront_size: 32
  - .args:
      - .offset:         0
        .size:           128
        .value_kind:     by_value
    .group_segment_fixed_size: 0
    .kernarg_segment_align: 8
    .kernarg_segment_size: 128
    .language:       OpenCL C
    .language_version:
      - 2
      - 0
    .max_flat_workgroup_size: 256
    .name:           _ZN7rocprim17ROCPRIM_400000_NS6detail17trampoline_kernelINS0_14default_configENS1_21merge_config_selectorINS0_5tupleIJjjEEENS0_10empty_typeEEEZNS1_10merge_implIS3_NS0_12zip_iteratorINS5_IJN6thrust23THRUST_200600_302600_NS6detail15normal_iteratorINSC_10device_ptrIKjEEEESI_EEEEESK_NSA_INS5_IJNSC_16discard_iteratorINSC_11use_defaultEEESN_EEEEEPS7_SQ_SQ_NSC_11hip_rocprim7__merge17predicate_wrapperIjjNSC_4lessIjEEEEEE10hipError_tPvRmT0_T1_T2_T3_T4_T5_mmT6_P12ihipStream_tbEUlT_E0_NS1_11comp_targetILNS1_3genE3ELNS1_11target_archE908ELNS1_3gpuE7ELNS1_3repE0EEENS1_30default_config_static_selectorELNS0_4arch9wavefront6targetE0EEEvS11_
    .private_segment_fixed_size: 0
    .sgpr_count:     0
    .sgpr_spill_count: 0
    .symbol:         _ZN7rocprim17ROCPRIM_400000_NS6detail17trampoline_kernelINS0_14default_configENS1_21merge_config_selectorINS0_5tupleIJjjEEENS0_10empty_typeEEEZNS1_10merge_implIS3_NS0_12zip_iteratorINS5_IJN6thrust23THRUST_200600_302600_NS6detail15normal_iteratorINSC_10device_ptrIKjEEEESI_EEEEESK_NSA_INS5_IJNSC_16discard_iteratorINSC_11use_defaultEEESN_EEEEEPS7_SQ_SQ_NSC_11hip_rocprim7__merge17predicate_wrapperIjjNSC_4lessIjEEEEEE10hipError_tPvRmT0_T1_T2_T3_T4_T5_mmT6_P12ihipStream_tbEUlT_E0_NS1_11comp_targetILNS1_3genE3ELNS1_11target_archE908ELNS1_3gpuE7ELNS1_3repE0EEENS1_30default_config_static_selectorELNS0_4arch9wavefront6targetE0EEEvS11_.kd
    .uniform_work_group_size: 1
    .uses_dynamic_stack: false
    .vgpr_count:     0
    .vgpr_spill_count: 0
    .wavefront_size: 32
  - .args:
      - .offset:         0
        .size:           128
        .value_kind:     by_value
    .group_segment_fixed_size: 0
    .kernarg_segment_align: 8
    .kernarg_segment_size: 128
    .language:       OpenCL C
    .language_version:
      - 2
      - 0
    .max_flat_workgroup_size: 256
    .name:           _ZN7rocprim17ROCPRIM_400000_NS6detail17trampoline_kernelINS0_14default_configENS1_21merge_config_selectorINS0_5tupleIJjjEEENS0_10empty_typeEEEZNS1_10merge_implIS3_NS0_12zip_iteratorINS5_IJN6thrust23THRUST_200600_302600_NS6detail15normal_iteratorINSC_10device_ptrIKjEEEESI_EEEEESK_NSA_INS5_IJNSC_16discard_iteratorINSC_11use_defaultEEESN_EEEEEPS7_SQ_SQ_NSC_11hip_rocprim7__merge17predicate_wrapperIjjNSC_4lessIjEEEEEE10hipError_tPvRmT0_T1_T2_T3_T4_T5_mmT6_P12ihipStream_tbEUlT_E0_NS1_11comp_targetILNS1_3genE2ELNS1_11target_archE906ELNS1_3gpuE6ELNS1_3repE0EEENS1_30default_config_static_selectorELNS0_4arch9wavefront6targetE0EEEvS11_
    .private_segment_fixed_size: 0
    .sgpr_count:     0
    .sgpr_spill_count: 0
    .symbol:         _ZN7rocprim17ROCPRIM_400000_NS6detail17trampoline_kernelINS0_14default_configENS1_21merge_config_selectorINS0_5tupleIJjjEEENS0_10empty_typeEEEZNS1_10merge_implIS3_NS0_12zip_iteratorINS5_IJN6thrust23THRUST_200600_302600_NS6detail15normal_iteratorINSC_10device_ptrIKjEEEESI_EEEEESK_NSA_INS5_IJNSC_16discard_iteratorINSC_11use_defaultEEESN_EEEEEPS7_SQ_SQ_NSC_11hip_rocprim7__merge17predicate_wrapperIjjNSC_4lessIjEEEEEE10hipError_tPvRmT0_T1_T2_T3_T4_T5_mmT6_P12ihipStream_tbEUlT_E0_NS1_11comp_targetILNS1_3genE2ELNS1_11target_archE906ELNS1_3gpuE6ELNS1_3repE0EEENS1_30default_config_static_selectorELNS0_4arch9wavefront6targetE0EEEvS11_.kd
    .uniform_work_group_size: 1
    .uses_dynamic_stack: false
    .vgpr_count:     0
    .vgpr_spill_count: 0
    .wavefront_size: 32
  - .args:
      - .offset:         0
        .size:           128
        .value_kind:     by_value
    .group_segment_fixed_size: 0
    .kernarg_segment_align: 8
    .kernarg_segment_size: 128
    .language:       OpenCL C
    .language_version:
      - 2
      - 0
    .max_flat_workgroup_size: 512
    .name:           _ZN7rocprim17ROCPRIM_400000_NS6detail17trampoline_kernelINS0_14default_configENS1_21merge_config_selectorINS0_5tupleIJjjEEENS0_10empty_typeEEEZNS1_10merge_implIS3_NS0_12zip_iteratorINS5_IJN6thrust23THRUST_200600_302600_NS6detail15normal_iteratorINSC_10device_ptrIKjEEEESI_EEEEESK_NSA_INS5_IJNSC_16discard_iteratorINSC_11use_defaultEEESN_EEEEEPS7_SQ_SQ_NSC_11hip_rocprim7__merge17predicate_wrapperIjjNSC_4lessIjEEEEEE10hipError_tPvRmT0_T1_T2_T3_T4_T5_mmT6_P12ihipStream_tbEUlT_E0_NS1_11comp_targetILNS1_3genE10ELNS1_11target_archE1201ELNS1_3gpuE5ELNS1_3repE0EEENS1_30default_config_static_selectorELNS0_4arch9wavefront6targetE0EEEvS11_
    .private_segment_fixed_size: 0
    .sgpr_count:     0
    .sgpr_spill_count: 0
    .symbol:         _ZN7rocprim17ROCPRIM_400000_NS6detail17trampoline_kernelINS0_14default_configENS1_21merge_config_selectorINS0_5tupleIJjjEEENS0_10empty_typeEEEZNS1_10merge_implIS3_NS0_12zip_iteratorINS5_IJN6thrust23THRUST_200600_302600_NS6detail15normal_iteratorINSC_10device_ptrIKjEEEESI_EEEEESK_NSA_INS5_IJNSC_16discard_iteratorINSC_11use_defaultEEESN_EEEEEPS7_SQ_SQ_NSC_11hip_rocprim7__merge17predicate_wrapperIjjNSC_4lessIjEEEEEE10hipError_tPvRmT0_T1_T2_T3_T4_T5_mmT6_P12ihipStream_tbEUlT_E0_NS1_11comp_targetILNS1_3genE10ELNS1_11target_archE1201ELNS1_3gpuE5ELNS1_3repE0EEENS1_30default_config_static_selectorELNS0_4arch9wavefront6targetE0EEEvS11_.kd
    .uniform_work_group_size: 1
    .uses_dynamic_stack: false
    .vgpr_count:     0
    .vgpr_spill_count: 0
    .wavefront_size: 32
  - .args:
      - .offset:         0
        .size:           128
        .value_kind:     by_value
    .group_segment_fixed_size: 0
    .kernarg_segment_align: 8
    .kernarg_segment_size: 128
    .language:       OpenCL C
    .language_version:
      - 2
      - 0
    .max_flat_workgroup_size: 1024
    .name:           _ZN7rocprim17ROCPRIM_400000_NS6detail17trampoline_kernelINS0_14default_configENS1_21merge_config_selectorINS0_5tupleIJjjEEENS0_10empty_typeEEEZNS1_10merge_implIS3_NS0_12zip_iteratorINS5_IJN6thrust23THRUST_200600_302600_NS6detail15normal_iteratorINSC_10device_ptrIKjEEEESI_EEEEESK_NSA_INS5_IJNSC_16discard_iteratorINSC_11use_defaultEEESN_EEEEEPS7_SQ_SQ_NSC_11hip_rocprim7__merge17predicate_wrapperIjjNSC_4lessIjEEEEEE10hipError_tPvRmT0_T1_T2_T3_T4_T5_mmT6_P12ihipStream_tbEUlT_E0_NS1_11comp_targetILNS1_3genE10ELNS1_11target_archE1200ELNS1_3gpuE4ELNS1_3repE0EEENS1_30default_config_static_selectorELNS0_4arch9wavefront6targetE0EEEvS11_
    .private_segment_fixed_size: 0
    .sgpr_count:     0
    .sgpr_spill_count: 0
    .symbol:         _ZN7rocprim17ROCPRIM_400000_NS6detail17trampoline_kernelINS0_14default_configENS1_21merge_config_selectorINS0_5tupleIJjjEEENS0_10empty_typeEEEZNS1_10merge_implIS3_NS0_12zip_iteratorINS5_IJN6thrust23THRUST_200600_302600_NS6detail15normal_iteratorINSC_10device_ptrIKjEEEESI_EEEEESK_NSA_INS5_IJNSC_16discard_iteratorINSC_11use_defaultEEESN_EEEEEPS7_SQ_SQ_NSC_11hip_rocprim7__merge17predicate_wrapperIjjNSC_4lessIjEEEEEE10hipError_tPvRmT0_T1_T2_T3_T4_T5_mmT6_P12ihipStream_tbEUlT_E0_NS1_11comp_targetILNS1_3genE10ELNS1_11target_archE1200ELNS1_3gpuE4ELNS1_3repE0EEENS1_30default_config_static_selectorELNS0_4arch9wavefront6targetE0EEEvS11_.kd
    .uniform_work_group_size: 1
    .uses_dynamic_stack: false
    .vgpr_count:     0
    .vgpr_spill_count: 0
    .wavefront_size: 32
  - .args:
      - .offset:         0
        .size:           128
        .value_kind:     by_value
    .group_segment_fixed_size: 0
    .kernarg_segment_align: 8
    .kernarg_segment_size: 128
    .language:       OpenCL C
    .language_version:
      - 2
      - 0
    .max_flat_workgroup_size: 1024
    .name:           _ZN7rocprim17ROCPRIM_400000_NS6detail17trampoline_kernelINS0_14default_configENS1_21merge_config_selectorINS0_5tupleIJjjEEENS0_10empty_typeEEEZNS1_10merge_implIS3_NS0_12zip_iteratorINS5_IJN6thrust23THRUST_200600_302600_NS6detail15normal_iteratorINSC_10device_ptrIKjEEEESI_EEEEESK_NSA_INS5_IJNSC_16discard_iteratorINSC_11use_defaultEEESN_EEEEEPS7_SQ_SQ_NSC_11hip_rocprim7__merge17predicate_wrapperIjjNSC_4lessIjEEEEEE10hipError_tPvRmT0_T1_T2_T3_T4_T5_mmT6_P12ihipStream_tbEUlT_E0_NS1_11comp_targetILNS1_3genE9ELNS1_11target_archE1100ELNS1_3gpuE3ELNS1_3repE0EEENS1_30default_config_static_selectorELNS0_4arch9wavefront6targetE0EEEvS11_
    .private_segment_fixed_size: 0
    .sgpr_count:     0
    .sgpr_spill_count: 0
    .symbol:         _ZN7rocprim17ROCPRIM_400000_NS6detail17trampoline_kernelINS0_14default_configENS1_21merge_config_selectorINS0_5tupleIJjjEEENS0_10empty_typeEEEZNS1_10merge_implIS3_NS0_12zip_iteratorINS5_IJN6thrust23THRUST_200600_302600_NS6detail15normal_iteratorINSC_10device_ptrIKjEEEESI_EEEEESK_NSA_INS5_IJNSC_16discard_iteratorINSC_11use_defaultEEESN_EEEEEPS7_SQ_SQ_NSC_11hip_rocprim7__merge17predicate_wrapperIjjNSC_4lessIjEEEEEE10hipError_tPvRmT0_T1_T2_T3_T4_T5_mmT6_P12ihipStream_tbEUlT_E0_NS1_11comp_targetILNS1_3genE9ELNS1_11target_archE1100ELNS1_3gpuE3ELNS1_3repE0EEENS1_30default_config_static_selectorELNS0_4arch9wavefront6targetE0EEEvS11_.kd
    .uniform_work_group_size: 1
    .uses_dynamic_stack: false
    .vgpr_count:     0
    .vgpr_spill_count: 0
    .wavefront_size: 32
  - .args:
      - .offset:         0
        .size:           128
        .value_kind:     by_value
    .group_segment_fixed_size: 0
    .kernarg_segment_align: 8
    .kernarg_segment_size: 128
    .language:       OpenCL C
    .language_version:
      - 2
      - 0
    .max_flat_workgroup_size: 256
    .name:           _ZN7rocprim17ROCPRIM_400000_NS6detail17trampoline_kernelINS0_14default_configENS1_21merge_config_selectorINS0_5tupleIJjjEEENS0_10empty_typeEEEZNS1_10merge_implIS3_NS0_12zip_iteratorINS5_IJN6thrust23THRUST_200600_302600_NS6detail15normal_iteratorINSC_10device_ptrIKjEEEESI_EEEEESK_NSA_INS5_IJNSC_16discard_iteratorINSC_11use_defaultEEESN_EEEEEPS7_SQ_SQ_NSC_11hip_rocprim7__merge17predicate_wrapperIjjNSC_4lessIjEEEEEE10hipError_tPvRmT0_T1_T2_T3_T4_T5_mmT6_P12ihipStream_tbEUlT_E0_NS1_11comp_targetILNS1_3genE8ELNS1_11target_archE1030ELNS1_3gpuE2ELNS1_3repE0EEENS1_30default_config_static_selectorELNS0_4arch9wavefront6targetE0EEEvS11_
    .private_segment_fixed_size: 0
    .sgpr_count:     0
    .sgpr_spill_count: 0
    .symbol:         _ZN7rocprim17ROCPRIM_400000_NS6detail17trampoline_kernelINS0_14default_configENS1_21merge_config_selectorINS0_5tupleIJjjEEENS0_10empty_typeEEEZNS1_10merge_implIS3_NS0_12zip_iteratorINS5_IJN6thrust23THRUST_200600_302600_NS6detail15normal_iteratorINSC_10device_ptrIKjEEEESI_EEEEESK_NSA_INS5_IJNSC_16discard_iteratorINSC_11use_defaultEEESN_EEEEEPS7_SQ_SQ_NSC_11hip_rocprim7__merge17predicate_wrapperIjjNSC_4lessIjEEEEEE10hipError_tPvRmT0_T1_T2_T3_T4_T5_mmT6_P12ihipStream_tbEUlT_E0_NS1_11comp_targetILNS1_3genE8ELNS1_11target_archE1030ELNS1_3gpuE2ELNS1_3repE0EEENS1_30default_config_static_selectorELNS0_4arch9wavefront6targetE0EEEvS11_.kd
    .uniform_work_group_size: 1
    .uses_dynamic_stack: false
    .vgpr_count:     0
    .vgpr_spill_count: 0
    .wavefront_size: 32
  - .args:
      - .offset:         0
        .size:           64
        .value_kind:     by_value
      - .offset:         64
        .size:           4
        .value_kind:     hidden_block_count_x
      - .offset:         68
        .size:           4
        .value_kind:     hidden_block_count_y
      - .offset:         72
        .size:           4
        .value_kind:     hidden_block_count_z
      - .offset:         76
        .size:           2
        .value_kind:     hidden_group_size_x
      - .offset:         78
        .size:           2
        .value_kind:     hidden_group_size_y
      - .offset:         80
        .size:           2
        .value_kind:     hidden_group_size_z
      - .offset:         82
        .size:           2
        .value_kind:     hidden_remainder_x
      - .offset:         84
        .size:           2
        .value_kind:     hidden_remainder_y
      - .offset:         86
        .size:           2
        .value_kind:     hidden_remainder_z
      - .offset:         104
        .size:           8
        .value_kind:     hidden_global_offset_x
      - .offset:         112
        .size:           8
        .value_kind:     hidden_global_offset_y
      - .offset:         120
        .size:           8
        .value_kind:     hidden_global_offset_z
      - .offset:         128
        .size:           2
        .value_kind:     hidden_grid_dims
    .group_segment_fixed_size: 0
    .kernarg_segment_align: 8
    .kernarg_segment_size: 320
    .language:       OpenCL C
    .language_version:
      - 2
      - 0
    .max_flat_workgroup_size: 256
    .name:           _ZN7rocprim17ROCPRIM_400000_NS6detail17trampoline_kernelINS0_14default_configENS1_21merge_config_selectorINS0_5tupleIJttEEENS0_10empty_typeEEEZNS1_10merge_implIS3_NS0_12zip_iteratorINS5_IJN6thrust23THRUST_200600_302600_NS6detail15normal_iteratorINSC_10device_ptrIKtEEEESI_EEEEESK_NSA_INS5_IJNSC_16discard_iteratorINSC_11use_defaultEEESN_EEEEEPS7_SQ_SQ_NSC_11hip_rocprim7__merge17predicate_wrapperIttNSC_4lessItEEEEEE10hipError_tPvRmT0_T1_T2_T3_T4_T5_mmT6_P12ihipStream_tbEUlT_E_NS1_11comp_targetILNS1_3genE0ELNS1_11target_archE4294967295ELNS1_3gpuE0ELNS1_3repE0EEENS1_30default_config_static_selectorELNS0_4arch9wavefront6targetE0EEEvS11_
    .private_segment_fixed_size: 0
    .sgpr_count:     16
    .sgpr_spill_count: 0
    .symbol:         _ZN7rocprim17ROCPRIM_400000_NS6detail17trampoline_kernelINS0_14default_configENS1_21merge_config_selectorINS0_5tupleIJttEEENS0_10empty_typeEEEZNS1_10merge_implIS3_NS0_12zip_iteratorINS5_IJN6thrust23THRUST_200600_302600_NS6detail15normal_iteratorINSC_10device_ptrIKtEEEESI_EEEEESK_NSA_INS5_IJNSC_16discard_iteratorINSC_11use_defaultEEESN_EEEEEPS7_SQ_SQ_NSC_11hip_rocprim7__merge17predicate_wrapperIttNSC_4lessItEEEEEE10hipError_tPvRmT0_T1_T2_T3_T4_T5_mmT6_P12ihipStream_tbEUlT_E_NS1_11comp_targetILNS1_3genE0ELNS1_11target_archE4294967295ELNS1_3gpuE0ELNS1_3repE0EEENS1_30default_config_static_selectorELNS0_4arch9wavefront6targetE0EEEvS11_.kd
    .uniform_work_group_size: 1
    .uses_dynamic_stack: false
    .vgpr_count:     15
    .vgpr_spill_count: 0
    .wavefront_size: 32
  - .args:
      - .offset:         0
        .size:           64
        .value_kind:     by_value
    .group_segment_fixed_size: 0
    .kernarg_segment_align: 8
    .kernarg_segment_size: 64
    .language:       OpenCL C
    .language_version:
      - 2
      - 0
    .max_flat_workgroup_size: 256
    .name:           _ZN7rocprim17ROCPRIM_400000_NS6detail17trampoline_kernelINS0_14default_configENS1_21merge_config_selectorINS0_5tupleIJttEEENS0_10empty_typeEEEZNS1_10merge_implIS3_NS0_12zip_iteratorINS5_IJN6thrust23THRUST_200600_302600_NS6detail15normal_iteratorINSC_10device_ptrIKtEEEESI_EEEEESK_NSA_INS5_IJNSC_16discard_iteratorINSC_11use_defaultEEESN_EEEEEPS7_SQ_SQ_NSC_11hip_rocprim7__merge17predicate_wrapperIttNSC_4lessItEEEEEE10hipError_tPvRmT0_T1_T2_T3_T4_T5_mmT6_P12ihipStream_tbEUlT_E_NS1_11comp_targetILNS1_3genE5ELNS1_11target_archE942ELNS1_3gpuE9ELNS1_3repE0EEENS1_30default_config_static_selectorELNS0_4arch9wavefront6targetE0EEEvS11_
    .private_segment_fixed_size: 0
    .sgpr_count:     0
    .sgpr_spill_count: 0
    .symbol:         _ZN7rocprim17ROCPRIM_400000_NS6detail17trampoline_kernelINS0_14default_configENS1_21merge_config_selectorINS0_5tupleIJttEEENS0_10empty_typeEEEZNS1_10merge_implIS3_NS0_12zip_iteratorINS5_IJN6thrust23THRUST_200600_302600_NS6detail15normal_iteratorINSC_10device_ptrIKtEEEESI_EEEEESK_NSA_INS5_IJNSC_16discard_iteratorINSC_11use_defaultEEESN_EEEEEPS7_SQ_SQ_NSC_11hip_rocprim7__merge17predicate_wrapperIttNSC_4lessItEEEEEE10hipError_tPvRmT0_T1_T2_T3_T4_T5_mmT6_P12ihipStream_tbEUlT_E_NS1_11comp_targetILNS1_3genE5ELNS1_11target_archE942ELNS1_3gpuE9ELNS1_3repE0EEENS1_30default_config_static_selectorELNS0_4arch9wavefront6targetE0EEEvS11_.kd
    .uniform_work_group_size: 1
    .uses_dynamic_stack: false
    .vgpr_count:     0
    .vgpr_spill_count: 0
    .wavefront_size: 32
  - .args:
      - .offset:         0
        .size:           64
        .value_kind:     by_value
    .group_segment_fixed_size: 0
    .kernarg_segment_align: 8
    .kernarg_segment_size: 64
    .language:       OpenCL C
    .language_version:
      - 2
      - 0
    .max_flat_workgroup_size: 256
    .name:           _ZN7rocprim17ROCPRIM_400000_NS6detail17trampoline_kernelINS0_14default_configENS1_21merge_config_selectorINS0_5tupleIJttEEENS0_10empty_typeEEEZNS1_10merge_implIS3_NS0_12zip_iteratorINS5_IJN6thrust23THRUST_200600_302600_NS6detail15normal_iteratorINSC_10device_ptrIKtEEEESI_EEEEESK_NSA_INS5_IJNSC_16discard_iteratorINSC_11use_defaultEEESN_EEEEEPS7_SQ_SQ_NSC_11hip_rocprim7__merge17predicate_wrapperIttNSC_4lessItEEEEEE10hipError_tPvRmT0_T1_T2_T3_T4_T5_mmT6_P12ihipStream_tbEUlT_E_NS1_11comp_targetILNS1_3genE4ELNS1_11target_archE910ELNS1_3gpuE8ELNS1_3repE0EEENS1_30default_config_static_selectorELNS0_4arch9wavefront6targetE0EEEvS11_
    .private_segment_fixed_size: 0
    .sgpr_count:     0
    .sgpr_spill_count: 0
    .symbol:         _ZN7rocprim17ROCPRIM_400000_NS6detail17trampoline_kernelINS0_14default_configENS1_21merge_config_selectorINS0_5tupleIJttEEENS0_10empty_typeEEEZNS1_10merge_implIS3_NS0_12zip_iteratorINS5_IJN6thrust23THRUST_200600_302600_NS6detail15normal_iteratorINSC_10device_ptrIKtEEEESI_EEEEESK_NSA_INS5_IJNSC_16discard_iteratorINSC_11use_defaultEEESN_EEEEEPS7_SQ_SQ_NSC_11hip_rocprim7__merge17predicate_wrapperIttNSC_4lessItEEEEEE10hipError_tPvRmT0_T1_T2_T3_T4_T5_mmT6_P12ihipStream_tbEUlT_E_NS1_11comp_targetILNS1_3genE4ELNS1_11target_archE910ELNS1_3gpuE8ELNS1_3repE0EEENS1_30default_config_static_selectorELNS0_4arch9wavefront6targetE0EEEvS11_.kd
    .uniform_work_group_size: 1
    .uses_dynamic_stack: false
    .vgpr_count:     0
    .vgpr_spill_count: 0
    .wavefront_size: 32
  - .args:
      - .offset:         0
        .size:           64
        .value_kind:     by_value
    .group_segment_fixed_size: 0
    .kernarg_segment_align: 8
    .kernarg_segment_size: 64
    .language:       OpenCL C
    .language_version:
      - 2
      - 0
    .max_flat_workgroup_size: 256
    .name:           _ZN7rocprim17ROCPRIM_400000_NS6detail17trampoline_kernelINS0_14default_configENS1_21merge_config_selectorINS0_5tupleIJttEEENS0_10empty_typeEEEZNS1_10merge_implIS3_NS0_12zip_iteratorINS5_IJN6thrust23THRUST_200600_302600_NS6detail15normal_iteratorINSC_10device_ptrIKtEEEESI_EEEEESK_NSA_INS5_IJNSC_16discard_iteratorINSC_11use_defaultEEESN_EEEEEPS7_SQ_SQ_NSC_11hip_rocprim7__merge17predicate_wrapperIttNSC_4lessItEEEEEE10hipError_tPvRmT0_T1_T2_T3_T4_T5_mmT6_P12ihipStream_tbEUlT_E_NS1_11comp_targetILNS1_3genE3ELNS1_11target_archE908ELNS1_3gpuE7ELNS1_3repE0EEENS1_30default_config_static_selectorELNS0_4arch9wavefront6targetE0EEEvS11_
    .private_segment_fixed_size: 0
    .sgpr_count:     0
    .sgpr_spill_count: 0
    .symbol:         _ZN7rocprim17ROCPRIM_400000_NS6detail17trampoline_kernelINS0_14default_configENS1_21merge_config_selectorINS0_5tupleIJttEEENS0_10empty_typeEEEZNS1_10merge_implIS3_NS0_12zip_iteratorINS5_IJN6thrust23THRUST_200600_302600_NS6detail15normal_iteratorINSC_10device_ptrIKtEEEESI_EEEEESK_NSA_INS5_IJNSC_16discard_iteratorINSC_11use_defaultEEESN_EEEEEPS7_SQ_SQ_NSC_11hip_rocprim7__merge17predicate_wrapperIttNSC_4lessItEEEEEE10hipError_tPvRmT0_T1_T2_T3_T4_T5_mmT6_P12ihipStream_tbEUlT_E_NS1_11comp_targetILNS1_3genE3ELNS1_11target_archE908ELNS1_3gpuE7ELNS1_3repE0EEENS1_30default_config_static_selectorELNS0_4arch9wavefront6targetE0EEEvS11_.kd
    .uniform_work_group_size: 1
    .uses_dynamic_stack: false
    .vgpr_count:     0
    .vgpr_spill_count: 0
    .wavefront_size: 32
  - .args:
      - .offset:         0
        .size:           64
        .value_kind:     by_value
    .group_segment_fixed_size: 0
    .kernarg_segment_align: 8
    .kernarg_segment_size: 64
    .language:       OpenCL C
    .language_version:
      - 2
      - 0
    .max_flat_workgroup_size: 256
    .name:           _ZN7rocprim17ROCPRIM_400000_NS6detail17trampoline_kernelINS0_14default_configENS1_21merge_config_selectorINS0_5tupleIJttEEENS0_10empty_typeEEEZNS1_10merge_implIS3_NS0_12zip_iteratorINS5_IJN6thrust23THRUST_200600_302600_NS6detail15normal_iteratorINSC_10device_ptrIKtEEEESI_EEEEESK_NSA_INS5_IJNSC_16discard_iteratorINSC_11use_defaultEEESN_EEEEEPS7_SQ_SQ_NSC_11hip_rocprim7__merge17predicate_wrapperIttNSC_4lessItEEEEEE10hipError_tPvRmT0_T1_T2_T3_T4_T5_mmT6_P12ihipStream_tbEUlT_E_NS1_11comp_targetILNS1_3genE2ELNS1_11target_archE906ELNS1_3gpuE6ELNS1_3repE0EEENS1_30default_config_static_selectorELNS0_4arch9wavefront6targetE0EEEvS11_
    .private_segment_fixed_size: 0
    .sgpr_count:     0
    .sgpr_spill_count: 0
    .symbol:         _ZN7rocprim17ROCPRIM_400000_NS6detail17trampoline_kernelINS0_14default_configENS1_21merge_config_selectorINS0_5tupleIJttEEENS0_10empty_typeEEEZNS1_10merge_implIS3_NS0_12zip_iteratorINS5_IJN6thrust23THRUST_200600_302600_NS6detail15normal_iteratorINSC_10device_ptrIKtEEEESI_EEEEESK_NSA_INS5_IJNSC_16discard_iteratorINSC_11use_defaultEEESN_EEEEEPS7_SQ_SQ_NSC_11hip_rocprim7__merge17predicate_wrapperIttNSC_4lessItEEEEEE10hipError_tPvRmT0_T1_T2_T3_T4_T5_mmT6_P12ihipStream_tbEUlT_E_NS1_11comp_targetILNS1_3genE2ELNS1_11target_archE906ELNS1_3gpuE6ELNS1_3repE0EEENS1_30default_config_static_selectorELNS0_4arch9wavefront6targetE0EEEvS11_.kd
    .uniform_work_group_size: 1
    .uses_dynamic_stack: false
    .vgpr_count:     0
    .vgpr_spill_count: 0
    .wavefront_size: 32
  - .args:
      - .offset:         0
        .size:           64
        .value_kind:     by_value
    .group_segment_fixed_size: 0
    .kernarg_segment_align: 8
    .kernarg_segment_size: 64
    .language:       OpenCL C
    .language_version:
      - 2
      - 0
    .max_flat_workgroup_size: 1024
    .name:           _ZN7rocprim17ROCPRIM_400000_NS6detail17trampoline_kernelINS0_14default_configENS1_21merge_config_selectorINS0_5tupleIJttEEENS0_10empty_typeEEEZNS1_10merge_implIS3_NS0_12zip_iteratorINS5_IJN6thrust23THRUST_200600_302600_NS6detail15normal_iteratorINSC_10device_ptrIKtEEEESI_EEEEESK_NSA_INS5_IJNSC_16discard_iteratorINSC_11use_defaultEEESN_EEEEEPS7_SQ_SQ_NSC_11hip_rocprim7__merge17predicate_wrapperIttNSC_4lessItEEEEEE10hipError_tPvRmT0_T1_T2_T3_T4_T5_mmT6_P12ihipStream_tbEUlT_E_NS1_11comp_targetILNS1_3genE10ELNS1_11target_archE1201ELNS1_3gpuE5ELNS1_3repE0EEENS1_30default_config_static_selectorELNS0_4arch9wavefront6targetE0EEEvS11_
    .private_segment_fixed_size: 0
    .sgpr_count:     0
    .sgpr_spill_count: 0
    .symbol:         _ZN7rocprim17ROCPRIM_400000_NS6detail17trampoline_kernelINS0_14default_configENS1_21merge_config_selectorINS0_5tupleIJttEEENS0_10empty_typeEEEZNS1_10merge_implIS3_NS0_12zip_iteratorINS5_IJN6thrust23THRUST_200600_302600_NS6detail15normal_iteratorINSC_10device_ptrIKtEEEESI_EEEEESK_NSA_INS5_IJNSC_16discard_iteratorINSC_11use_defaultEEESN_EEEEEPS7_SQ_SQ_NSC_11hip_rocprim7__merge17predicate_wrapperIttNSC_4lessItEEEEEE10hipError_tPvRmT0_T1_T2_T3_T4_T5_mmT6_P12ihipStream_tbEUlT_E_NS1_11comp_targetILNS1_3genE10ELNS1_11target_archE1201ELNS1_3gpuE5ELNS1_3repE0EEENS1_30default_config_static_selectorELNS0_4arch9wavefront6targetE0EEEvS11_.kd
    .uniform_work_group_size: 1
    .uses_dynamic_stack: false
    .vgpr_count:     0
    .vgpr_spill_count: 0
    .wavefront_size: 32
  - .args:
      - .offset:         0
        .size:           64
        .value_kind:     by_value
    .group_segment_fixed_size: 0
    .kernarg_segment_align: 8
    .kernarg_segment_size: 64
    .language:       OpenCL C
    .language_version:
      - 2
      - 0
    .max_flat_workgroup_size: 1024
    .name:           _ZN7rocprim17ROCPRIM_400000_NS6detail17trampoline_kernelINS0_14default_configENS1_21merge_config_selectorINS0_5tupleIJttEEENS0_10empty_typeEEEZNS1_10merge_implIS3_NS0_12zip_iteratorINS5_IJN6thrust23THRUST_200600_302600_NS6detail15normal_iteratorINSC_10device_ptrIKtEEEESI_EEEEESK_NSA_INS5_IJNSC_16discard_iteratorINSC_11use_defaultEEESN_EEEEEPS7_SQ_SQ_NSC_11hip_rocprim7__merge17predicate_wrapperIttNSC_4lessItEEEEEE10hipError_tPvRmT0_T1_T2_T3_T4_T5_mmT6_P12ihipStream_tbEUlT_E_NS1_11comp_targetILNS1_3genE10ELNS1_11target_archE1200ELNS1_3gpuE4ELNS1_3repE0EEENS1_30default_config_static_selectorELNS0_4arch9wavefront6targetE0EEEvS11_
    .private_segment_fixed_size: 0
    .sgpr_count:     0
    .sgpr_spill_count: 0
    .symbol:         _ZN7rocprim17ROCPRIM_400000_NS6detail17trampoline_kernelINS0_14default_configENS1_21merge_config_selectorINS0_5tupleIJttEEENS0_10empty_typeEEEZNS1_10merge_implIS3_NS0_12zip_iteratorINS5_IJN6thrust23THRUST_200600_302600_NS6detail15normal_iteratorINSC_10device_ptrIKtEEEESI_EEEEESK_NSA_INS5_IJNSC_16discard_iteratorINSC_11use_defaultEEESN_EEEEEPS7_SQ_SQ_NSC_11hip_rocprim7__merge17predicate_wrapperIttNSC_4lessItEEEEEE10hipError_tPvRmT0_T1_T2_T3_T4_T5_mmT6_P12ihipStream_tbEUlT_E_NS1_11comp_targetILNS1_3genE10ELNS1_11target_archE1200ELNS1_3gpuE4ELNS1_3repE0EEENS1_30default_config_static_selectorELNS0_4arch9wavefront6targetE0EEEvS11_.kd
    .uniform_work_group_size: 1
    .uses_dynamic_stack: false
    .vgpr_count:     0
    .vgpr_spill_count: 0
    .wavefront_size: 32
  - .args:
      - .offset:         0
        .size:           64
        .value_kind:     by_value
    .group_segment_fixed_size: 0
    .kernarg_segment_align: 8
    .kernarg_segment_size: 64
    .language:       OpenCL C
    .language_version:
      - 2
      - 0
    .max_flat_workgroup_size: 1024
    .name:           _ZN7rocprim17ROCPRIM_400000_NS6detail17trampoline_kernelINS0_14default_configENS1_21merge_config_selectorINS0_5tupleIJttEEENS0_10empty_typeEEEZNS1_10merge_implIS3_NS0_12zip_iteratorINS5_IJN6thrust23THRUST_200600_302600_NS6detail15normal_iteratorINSC_10device_ptrIKtEEEESI_EEEEESK_NSA_INS5_IJNSC_16discard_iteratorINSC_11use_defaultEEESN_EEEEEPS7_SQ_SQ_NSC_11hip_rocprim7__merge17predicate_wrapperIttNSC_4lessItEEEEEE10hipError_tPvRmT0_T1_T2_T3_T4_T5_mmT6_P12ihipStream_tbEUlT_E_NS1_11comp_targetILNS1_3genE9ELNS1_11target_archE1100ELNS1_3gpuE3ELNS1_3repE0EEENS1_30default_config_static_selectorELNS0_4arch9wavefront6targetE0EEEvS11_
    .private_segment_fixed_size: 0
    .sgpr_count:     0
    .sgpr_spill_count: 0
    .symbol:         _ZN7rocprim17ROCPRIM_400000_NS6detail17trampoline_kernelINS0_14default_configENS1_21merge_config_selectorINS0_5tupleIJttEEENS0_10empty_typeEEEZNS1_10merge_implIS3_NS0_12zip_iteratorINS5_IJN6thrust23THRUST_200600_302600_NS6detail15normal_iteratorINSC_10device_ptrIKtEEEESI_EEEEESK_NSA_INS5_IJNSC_16discard_iteratorINSC_11use_defaultEEESN_EEEEEPS7_SQ_SQ_NSC_11hip_rocprim7__merge17predicate_wrapperIttNSC_4lessItEEEEEE10hipError_tPvRmT0_T1_T2_T3_T4_T5_mmT6_P12ihipStream_tbEUlT_E_NS1_11comp_targetILNS1_3genE9ELNS1_11target_archE1100ELNS1_3gpuE3ELNS1_3repE0EEENS1_30default_config_static_selectorELNS0_4arch9wavefront6targetE0EEEvS11_.kd
    .uniform_work_group_size: 1
    .uses_dynamic_stack: false
    .vgpr_count:     0
    .vgpr_spill_count: 0
    .wavefront_size: 32
  - .args:
      - .offset:         0
        .size:           64
        .value_kind:     by_value
    .group_segment_fixed_size: 0
    .kernarg_segment_align: 8
    .kernarg_segment_size: 64
    .language:       OpenCL C
    .language_version:
      - 2
      - 0
    .max_flat_workgroup_size: 1024
    .name:           _ZN7rocprim17ROCPRIM_400000_NS6detail17trampoline_kernelINS0_14default_configENS1_21merge_config_selectorINS0_5tupleIJttEEENS0_10empty_typeEEEZNS1_10merge_implIS3_NS0_12zip_iteratorINS5_IJN6thrust23THRUST_200600_302600_NS6detail15normal_iteratorINSC_10device_ptrIKtEEEESI_EEEEESK_NSA_INS5_IJNSC_16discard_iteratorINSC_11use_defaultEEESN_EEEEEPS7_SQ_SQ_NSC_11hip_rocprim7__merge17predicate_wrapperIttNSC_4lessItEEEEEE10hipError_tPvRmT0_T1_T2_T3_T4_T5_mmT6_P12ihipStream_tbEUlT_E_NS1_11comp_targetILNS1_3genE8ELNS1_11target_archE1030ELNS1_3gpuE2ELNS1_3repE0EEENS1_30default_config_static_selectorELNS0_4arch9wavefront6targetE0EEEvS11_
    .private_segment_fixed_size: 0
    .sgpr_count:     0
    .sgpr_spill_count: 0
    .symbol:         _ZN7rocprim17ROCPRIM_400000_NS6detail17trampoline_kernelINS0_14default_configENS1_21merge_config_selectorINS0_5tupleIJttEEENS0_10empty_typeEEEZNS1_10merge_implIS3_NS0_12zip_iteratorINS5_IJN6thrust23THRUST_200600_302600_NS6detail15normal_iteratorINSC_10device_ptrIKtEEEESI_EEEEESK_NSA_INS5_IJNSC_16discard_iteratorINSC_11use_defaultEEESN_EEEEEPS7_SQ_SQ_NSC_11hip_rocprim7__merge17predicate_wrapperIttNSC_4lessItEEEEEE10hipError_tPvRmT0_T1_T2_T3_T4_T5_mmT6_P12ihipStream_tbEUlT_E_NS1_11comp_targetILNS1_3genE8ELNS1_11target_archE1030ELNS1_3gpuE2ELNS1_3repE0EEENS1_30default_config_static_selectorELNS0_4arch9wavefront6targetE0EEEvS11_.kd
    .uniform_work_group_size: 1
    .uses_dynamic_stack: false
    .vgpr_count:     0
    .vgpr_spill_count: 0
    .wavefront_size: 32
  - .args:
      - .offset:         0
        .size:           128
        .value_kind:     by_value
    .group_segment_fixed_size: 10256
    .kernarg_segment_align: 8
    .kernarg_segment_size: 128
    .language:       OpenCL C
    .language_version:
      - 2
      - 0
    .max_flat_workgroup_size: 256
    .name:           _ZN7rocprim17ROCPRIM_400000_NS6detail17trampoline_kernelINS0_14default_configENS1_21merge_config_selectorINS0_5tupleIJttEEENS0_10empty_typeEEEZNS1_10merge_implIS3_NS0_12zip_iteratorINS5_IJN6thrust23THRUST_200600_302600_NS6detail15normal_iteratorINSC_10device_ptrIKtEEEESI_EEEEESK_NSA_INS5_IJNSC_16discard_iteratorINSC_11use_defaultEEESN_EEEEEPS7_SQ_SQ_NSC_11hip_rocprim7__merge17predicate_wrapperIttNSC_4lessItEEEEEE10hipError_tPvRmT0_T1_T2_T3_T4_T5_mmT6_P12ihipStream_tbEUlT_E0_NS1_11comp_targetILNS1_3genE0ELNS1_11target_archE4294967295ELNS1_3gpuE0ELNS1_3repE0EEENS1_30default_config_static_selectorELNS0_4arch9wavefront6targetE0EEEvS11_
    .private_segment_fixed_size: 0
    .sgpr_count:     24
    .sgpr_spill_count: 0
    .symbol:         _ZN7rocprim17ROCPRIM_400000_NS6detail17trampoline_kernelINS0_14default_configENS1_21merge_config_selectorINS0_5tupleIJttEEENS0_10empty_typeEEEZNS1_10merge_implIS3_NS0_12zip_iteratorINS5_IJN6thrust23THRUST_200600_302600_NS6detail15normal_iteratorINSC_10device_ptrIKtEEEESI_EEEEESK_NSA_INS5_IJNSC_16discard_iteratorINSC_11use_defaultEEESN_EEEEEPS7_SQ_SQ_NSC_11hip_rocprim7__merge17predicate_wrapperIttNSC_4lessItEEEEEE10hipError_tPvRmT0_T1_T2_T3_T4_T5_mmT6_P12ihipStream_tbEUlT_E0_NS1_11comp_targetILNS1_3genE0ELNS1_11target_archE4294967295ELNS1_3gpuE0ELNS1_3repE0EEENS1_30default_config_static_selectorELNS0_4arch9wavefront6targetE0EEEvS11_.kd
    .uniform_work_group_size: 1
    .uses_dynamic_stack: false
    .vgpr_count:     33
    .vgpr_spill_count: 0
    .wavefront_size: 32
  - .args:
      - .offset:         0
        .size:           128
        .value_kind:     by_value
    .group_segment_fixed_size: 0
    .kernarg_segment_align: 8
    .kernarg_segment_size: 128
    .language:       OpenCL C
    .language_version:
      - 2
      - 0
    .max_flat_workgroup_size: 256
    .name:           _ZN7rocprim17ROCPRIM_400000_NS6detail17trampoline_kernelINS0_14default_configENS1_21merge_config_selectorINS0_5tupleIJttEEENS0_10empty_typeEEEZNS1_10merge_implIS3_NS0_12zip_iteratorINS5_IJN6thrust23THRUST_200600_302600_NS6detail15normal_iteratorINSC_10device_ptrIKtEEEESI_EEEEESK_NSA_INS5_IJNSC_16discard_iteratorINSC_11use_defaultEEESN_EEEEEPS7_SQ_SQ_NSC_11hip_rocprim7__merge17predicate_wrapperIttNSC_4lessItEEEEEE10hipError_tPvRmT0_T1_T2_T3_T4_T5_mmT6_P12ihipStream_tbEUlT_E0_NS1_11comp_targetILNS1_3genE5ELNS1_11target_archE942ELNS1_3gpuE9ELNS1_3repE0EEENS1_30default_config_static_selectorELNS0_4arch9wavefront6targetE0EEEvS11_
    .private_segment_fixed_size: 0
    .sgpr_count:     0
    .sgpr_spill_count: 0
    .symbol:         _ZN7rocprim17ROCPRIM_400000_NS6detail17trampoline_kernelINS0_14default_configENS1_21merge_config_selectorINS0_5tupleIJttEEENS0_10empty_typeEEEZNS1_10merge_implIS3_NS0_12zip_iteratorINS5_IJN6thrust23THRUST_200600_302600_NS6detail15normal_iteratorINSC_10device_ptrIKtEEEESI_EEEEESK_NSA_INS5_IJNSC_16discard_iteratorINSC_11use_defaultEEESN_EEEEEPS7_SQ_SQ_NSC_11hip_rocprim7__merge17predicate_wrapperIttNSC_4lessItEEEEEE10hipError_tPvRmT0_T1_T2_T3_T4_T5_mmT6_P12ihipStream_tbEUlT_E0_NS1_11comp_targetILNS1_3genE5ELNS1_11target_archE942ELNS1_3gpuE9ELNS1_3repE0EEENS1_30default_config_static_selectorELNS0_4arch9wavefront6targetE0EEEvS11_.kd
    .uniform_work_group_size: 1
    .uses_dynamic_stack: false
    .vgpr_count:     0
    .vgpr_spill_count: 0
    .wavefront_size: 32
  - .args:
      - .offset:         0
        .size:           128
        .value_kind:     by_value
    .group_segment_fixed_size: 0
    .kernarg_segment_align: 8
    .kernarg_segment_size: 128
    .language:       OpenCL C
    .language_version:
      - 2
      - 0
    .max_flat_workgroup_size: 256
    .name:           _ZN7rocprim17ROCPRIM_400000_NS6detail17trampoline_kernelINS0_14default_configENS1_21merge_config_selectorINS0_5tupleIJttEEENS0_10empty_typeEEEZNS1_10merge_implIS3_NS0_12zip_iteratorINS5_IJN6thrust23THRUST_200600_302600_NS6detail15normal_iteratorINSC_10device_ptrIKtEEEESI_EEEEESK_NSA_INS5_IJNSC_16discard_iteratorINSC_11use_defaultEEESN_EEEEEPS7_SQ_SQ_NSC_11hip_rocprim7__merge17predicate_wrapperIttNSC_4lessItEEEEEE10hipError_tPvRmT0_T1_T2_T3_T4_T5_mmT6_P12ihipStream_tbEUlT_E0_NS1_11comp_targetILNS1_3genE4ELNS1_11target_archE910ELNS1_3gpuE8ELNS1_3repE0EEENS1_30default_config_static_selectorELNS0_4arch9wavefront6targetE0EEEvS11_
    .private_segment_fixed_size: 0
    .sgpr_count:     0
    .sgpr_spill_count: 0
    .symbol:         _ZN7rocprim17ROCPRIM_400000_NS6detail17trampoline_kernelINS0_14default_configENS1_21merge_config_selectorINS0_5tupleIJttEEENS0_10empty_typeEEEZNS1_10merge_implIS3_NS0_12zip_iteratorINS5_IJN6thrust23THRUST_200600_302600_NS6detail15normal_iteratorINSC_10device_ptrIKtEEEESI_EEEEESK_NSA_INS5_IJNSC_16discard_iteratorINSC_11use_defaultEEESN_EEEEEPS7_SQ_SQ_NSC_11hip_rocprim7__merge17predicate_wrapperIttNSC_4lessItEEEEEE10hipError_tPvRmT0_T1_T2_T3_T4_T5_mmT6_P12ihipStream_tbEUlT_E0_NS1_11comp_targetILNS1_3genE4ELNS1_11target_archE910ELNS1_3gpuE8ELNS1_3repE0EEENS1_30default_config_static_selectorELNS0_4arch9wavefront6targetE0EEEvS11_.kd
    .uniform_work_group_size: 1
    .uses_dynamic_stack: false
    .vgpr_count:     0
    .vgpr_spill_count: 0
    .wavefront_size: 32
  - .args:
      - .offset:         0
        .size:           128
        .value_kind:     by_value
    .group_segment_fixed_size: 0
    .kernarg_segment_align: 8
    .kernarg_segment_size: 128
    .language:       OpenCL C
    .language_version:
      - 2
      - 0
    .max_flat_workgroup_size: 256
    .name:           _ZN7rocprim17ROCPRIM_400000_NS6detail17trampoline_kernelINS0_14default_configENS1_21merge_config_selectorINS0_5tupleIJttEEENS0_10empty_typeEEEZNS1_10merge_implIS3_NS0_12zip_iteratorINS5_IJN6thrust23THRUST_200600_302600_NS6detail15normal_iteratorINSC_10device_ptrIKtEEEESI_EEEEESK_NSA_INS5_IJNSC_16discard_iteratorINSC_11use_defaultEEESN_EEEEEPS7_SQ_SQ_NSC_11hip_rocprim7__merge17predicate_wrapperIttNSC_4lessItEEEEEE10hipError_tPvRmT0_T1_T2_T3_T4_T5_mmT6_P12ihipStream_tbEUlT_E0_NS1_11comp_targetILNS1_3genE3ELNS1_11target_archE908ELNS1_3gpuE7ELNS1_3repE0EEENS1_30default_config_static_selectorELNS0_4arch9wavefront6targetE0EEEvS11_
    .private_segment_fixed_size: 0
    .sgpr_count:     0
    .sgpr_spill_count: 0
    .symbol:         _ZN7rocprim17ROCPRIM_400000_NS6detail17trampoline_kernelINS0_14default_configENS1_21merge_config_selectorINS0_5tupleIJttEEENS0_10empty_typeEEEZNS1_10merge_implIS3_NS0_12zip_iteratorINS5_IJN6thrust23THRUST_200600_302600_NS6detail15normal_iteratorINSC_10device_ptrIKtEEEESI_EEEEESK_NSA_INS5_IJNSC_16discard_iteratorINSC_11use_defaultEEESN_EEEEEPS7_SQ_SQ_NSC_11hip_rocprim7__merge17predicate_wrapperIttNSC_4lessItEEEEEE10hipError_tPvRmT0_T1_T2_T3_T4_T5_mmT6_P12ihipStream_tbEUlT_E0_NS1_11comp_targetILNS1_3genE3ELNS1_11target_archE908ELNS1_3gpuE7ELNS1_3repE0EEENS1_30default_config_static_selectorELNS0_4arch9wavefront6targetE0EEEvS11_.kd
    .uniform_work_group_size: 1
    .uses_dynamic_stack: false
    .vgpr_count:     0
    .vgpr_spill_count: 0
    .wavefront_size: 32
  - .args:
      - .offset:         0
        .size:           128
        .value_kind:     by_value
    .group_segment_fixed_size: 0
    .kernarg_segment_align: 8
    .kernarg_segment_size: 128
    .language:       OpenCL C
    .language_version:
      - 2
      - 0
    .max_flat_workgroup_size: 256
    .name:           _ZN7rocprim17ROCPRIM_400000_NS6detail17trampoline_kernelINS0_14default_configENS1_21merge_config_selectorINS0_5tupleIJttEEENS0_10empty_typeEEEZNS1_10merge_implIS3_NS0_12zip_iteratorINS5_IJN6thrust23THRUST_200600_302600_NS6detail15normal_iteratorINSC_10device_ptrIKtEEEESI_EEEEESK_NSA_INS5_IJNSC_16discard_iteratorINSC_11use_defaultEEESN_EEEEEPS7_SQ_SQ_NSC_11hip_rocprim7__merge17predicate_wrapperIttNSC_4lessItEEEEEE10hipError_tPvRmT0_T1_T2_T3_T4_T5_mmT6_P12ihipStream_tbEUlT_E0_NS1_11comp_targetILNS1_3genE2ELNS1_11target_archE906ELNS1_3gpuE6ELNS1_3repE0EEENS1_30default_config_static_selectorELNS0_4arch9wavefront6targetE0EEEvS11_
    .private_segment_fixed_size: 0
    .sgpr_count:     0
    .sgpr_spill_count: 0
    .symbol:         _ZN7rocprim17ROCPRIM_400000_NS6detail17trampoline_kernelINS0_14default_configENS1_21merge_config_selectorINS0_5tupleIJttEEENS0_10empty_typeEEEZNS1_10merge_implIS3_NS0_12zip_iteratorINS5_IJN6thrust23THRUST_200600_302600_NS6detail15normal_iteratorINSC_10device_ptrIKtEEEESI_EEEEESK_NSA_INS5_IJNSC_16discard_iteratorINSC_11use_defaultEEESN_EEEEEPS7_SQ_SQ_NSC_11hip_rocprim7__merge17predicate_wrapperIttNSC_4lessItEEEEEE10hipError_tPvRmT0_T1_T2_T3_T4_T5_mmT6_P12ihipStream_tbEUlT_E0_NS1_11comp_targetILNS1_3genE2ELNS1_11target_archE906ELNS1_3gpuE6ELNS1_3repE0EEENS1_30default_config_static_selectorELNS0_4arch9wavefront6targetE0EEEvS11_.kd
    .uniform_work_group_size: 1
    .uses_dynamic_stack: false
    .vgpr_count:     0
    .vgpr_spill_count: 0
    .wavefront_size: 32
  - .args:
      - .offset:         0
        .size:           128
        .value_kind:     by_value
    .group_segment_fixed_size: 0
    .kernarg_segment_align: 8
    .kernarg_segment_size: 128
    .language:       OpenCL C
    .language_version:
      - 2
      - 0
    .max_flat_workgroup_size: 1024
    .name:           _ZN7rocprim17ROCPRIM_400000_NS6detail17trampoline_kernelINS0_14default_configENS1_21merge_config_selectorINS0_5tupleIJttEEENS0_10empty_typeEEEZNS1_10merge_implIS3_NS0_12zip_iteratorINS5_IJN6thrust23THRUST_200600_302600_NS6detail15normal_iteratorINSC_10device_ptrIKtEEEESI_EEEEESK_NSA_INS5_IJNSC_16discard_iteratorINSC_11use_defaultEEESN_EEEEEPS7_SQ_SQ_NSC_11hip_rocprim7__merge17predicate_wrapperIttNSC_4lessItEEEEEE10hipError_tPvRmT0_T1_T2_T3_T4_T5_mmT6_P12ihipStream_tbEUlT_E0_NS1_11comp_targetILNS1_3genE10ELNS1_11target_archE1201ELNS1_3gpuE5ELNS1_3repE0EEENS1_30default_config_static_selectorELNS0_4arch9wavefront6targetE0EEEvS11_
    .private_segment_fixed_size: 0
    .sgpr_count:     0
    .sgpr_spill_count: 0
    .symbol:         _ZN7rocprim17ROCPRIM_400000_NS6detail17trampoline_kernelINS0_14default_configENS1_21merge_config_selectorINS0_5tupleIJttEEENS0_10empty_typeEEEZNS1_10merge_implIS3_NS0_12zip_iteratorINS5_IJN6thrust23THRUST_200600_302600_NS6detail15normal_iteratorINSC_10device_ptrIKtEEEESI_EEEEESK_NSA_INS5_IJNSC_16discard_iteratorINSC_11use_defaultEEESN_EEEEEPS7_SQ_SQ_NSC_11hip_rocprim7__merge17predicate_wrapperIttNSC_4lessItEEEEEE10hipError_tPvRmT0_T1_T2_T3_T4_T5_mmT6_P12ihipStream_tbEUlT_E0_NS1_11comp_targetILNS1_3genE10ELNS1_11target_archE1201ELNS1_3gpuE5ELNS1_3repE0EEENS1_30default_config_static_selectorELNS0_4arch9wavefront6targetE0EEEvS11_.kd
    .uniform_work_group_size: 1
    .uses_dynamic_stack: false
    .vgpr_count:     0
    .vgpr_spill_count: 0
    .wavefront_size: 32
  - .args:
      - .offset:         0
        .size:           128
        .value_kind:     by_value
    .group_segment_fixed_size: 0
    .kernarg_segment_align: 8
    .kernarg_segment_size: 128
    .language:       OpenCL C
    .language_version:
      - 2
      - 0
    .max_flat_workgroup_size: 1024
    .name:           _ZN7rocprim17ROCPRIM_400000_NS6detail17trampoline_kernelINS0_14default_configENS1_21merge_config_selectorINS0_5tupleIJttEEENS0_10empty_typeEEEZNS1_10merge_implIS3_NS0_12zip_iteratorINS5_IJN6thrust23THRUST_200600_302600_NS6detail15normal_iteratorINSC_10device_ptrIKtEEEESI_EEEEESK_NSA_INS5_IJNSC_16discard_iteratorINSC_11use_defaultEEESN_EEEEEPS7_SQ_SQ_NSC_11hip_rocprim7__merge17predicate_wrapperIttNSC_4lessItEEEEEE10hipError_tPvRmT0_T1_T2_T3_T4_T5_mmT6_P12ihipStream_tbEUlT_E0_NS1_11comp_targetILNS1_3genE10ELNS1_11target_archE1200ELNS1_3gpuE4ELNS1_3repE0EEENS1_30default_config_static_selectorELNS0_4arch9wavefront6targetE0EEEvS11_
    .private_segment_fixed_size: 0
    .sgpr_count:     0
    .sgpr_spill_count: 0
    .symbol:         _ZN7rocprim17ROCPRIM_400000_NS6detail17trampoline_kernelINS0_14default_configENS1_21merge_config_selectorINS0_5tupleIJttEEENS0_10empty_typeEEEZNS1_10merge_implIS3_NS0_12zip_iteratorINS5_IJN6thrust23THRUST_200600_302600_NS6detail15normal_iteratorINSC_10device_ptrIKtEEEESI_EEEEESK_NSA_INS5_IJNSC_16discard_iteratorINSC_11use_defaultEEESN_EEEEEPS7_SQ_SQ_NSC_11hip_rocprim7__merge17predicate_wrapperIttNSC_4lessItEEEEEE10hipError_tPvRmT0_T1_T2_T3_T4_T5_mmT6_P12ihipStream_tbEUlT_E0_NS1_11comp_targetILNS1_3genE10ELNS1_11target_archE1200ELNS1_3gpuE4ELNS1_3repE0EEENS1_30default_config_static_selectorELNS0_4arch9wavefront6targetE0EEEvS11_.kd
    .uniform_work_group_size: 1
    .uses_dynamic_stack: false
    .vgpr_count:     0
    .vgpr_spill_count: 0
    .wavefront_size: 32
  - .args:
      - .offset:         0
        .size:           128
        .value_kind:     by_value
    .group_segment_fixed_size: 0
    .kernarg_segment_align: 8
    .kernarg_segment_size: 128
    .language:       OpenCL C
    .language_version:
      - 2
      - 0
    .max_flat_workgroup_size: 1024
    .name:           _ZN7rocprim17ROCPRIM_400000_NS6detail17trampoline_kernelINS0_14default_configENS1_21merge_config_selectorINS0_5tupleIJttEEENS0_10empty_typeEEEZNS1_10merge_implIS3_NS0_12zip_iteratorINS5_IJN6thrust23THRUST_200600_302600_NS6detail15normal_iteratorINSC_10device_ptrIKtEEEESI_EEEEESK_NSA_INS5_IJNSC_16discard_iteratorINSC_11use_defaultEEESN_EEEEEPS7_SQ_SQ_NSC_11hip_rocprim7__merge17predicate_wrapperIttNSC_4lessItEEEEEE10hipError_tPvRmT0_T1_T2_T3_T4_T5_mmT6_P12ihipStream_tbEUlT_E0_NS1_11comp_targetILNS1_3genE9ELNS1_11target_archE1100ELNS1_3gpuE3ELNS1_3repE0EEENS1_30default_config_static_selectorELNS0_4arch9wavefront6targetE0EEEvS11_
    .private_segment_fixed_size: 0
    .sgpr_count:     0
    .sgpr_spill_count: 0
    .symbol:         _ZN7rocprim17ROCPRIM_400000_NS6detail17trampoline_kernelINS0_14default_configENS1_21merge_config_selectorINS0_5tupleIJttEEENS0_10empty_typeEEEZNS1_10merge_implIS3_NS0_12zip_iteratorINS5_IJN6thrust23THRUST_200600_302600_NS6detail15normal_iteratorINSC_10device_ptrIKtEEEESI_EEEEESK_NSA_INS5_IJNSC_16discard_iteratorINSC_11use_defaultEEESN_EEEEEPS7_SQ_SQ_NSC_11hip_rocprim7__merge17predicate_wrapperIttNSC_4lessItEEEEEE10hipError_tPvRmT0_T1_T2_T3_T4_T5_mmT6_P12ihipStream_tbEUlT_E0_NS1_11comp_targetILNS1_3genE9ELNS1_11target_archE1100ELNS1_3gpuE3ELNS1_3repE0EEENS1_30default_config_static_selectorELNS0_4arch9wavefront6targetE0EEEvS11_.kd
    .uniform_work_group_size: 1
    .uses_dynamic_stack: false
    .vgpr_count:     0
    .vgpr_spill_count: 0
    .wavefront_size: 32
  - .args:
      - .offset:         0
        .size:           128
        .value_kind:     by_value
    .group_segment_fixed_size: 0
    .kernarg_segment_align: 8
    .kernarg_segment_size: 128
    .language:       OpenCL C
    .language_version:
      - 2
      - 0
    .max_flat_workgroup_size: 1024
    .name:           _ZN7rocprim17ROCPRIM_400000_NS6detail17trampoline_kernelINS0_14default_configENS1_21merge_config_selectorINS0_5tupleIJttEEENS0_10empty_typeEEEZNS1_10merge_implIS3_NS0_12zip_iteratorINS5_IJN6thrust23THRUST_200600_302600_NS6detail15normal_iteratorINSC_10device_ptrIKtEEEESI_EEEEESK_NSA_INS5_IJNSC_16discard_iteratorINSC_11use_defaultEEESN_EEEEEPS7_SQ_SQ_NSC_11hip_rocprim7__merge17predicate_wrapperIttNSC_4lessItEEEEEE10hipError_tPvRmT0_T1_T2_T3_T4_T5_mmT6_P12ihipStream_tbEUlT_E0_NS1_11comp_targetILNS1_3genE8ELNS1_11target_archE1030ELNS1_3gpuE2ELNS1_3repE0EEENS1_30default_config_static_selectorELNS0_4arch9wavefront6targetE0EEEvS11_
    .private_segment_fixed_size: 0
    .sgpr_count:     0
    .sgpr_spill_count: 0
    .symbol:         _ZN7rocprim17ROCPRIM_400000_NS6detail17trampoline_kernelINS0_14default_configENS1_21merge_config_selectorINS0_5tupleIJttEEENS0_10empty_typeEEEZNS1_10merge_implIS3_NS0_12zip_iteratorINS5_IJN6thrust23THRUST_200600_302600_NS6detail15normal_iteratorINSC_10device_ptrIKtEEEESI_EEEEESK_NSA_INS5_IJNSC_16discard_iteratorINSC_11use_defaultEEESN_EEEEEPS7_SQ_SQ_NSC_11hip_rocprim7__merge17predicate_wrapperIttNSC_4lessItEEEEEE10hipError_tPvRmT0_T1_T2_T3_T4_T5_mmT6_P12ihipStream_tbEUlT_E0_NS1_11comp_targetILNS1_3genE8ELNS1_11target_archE1030ELNS1_3gpuE2ELNS1_3repE0EEENS1_30default_config_static_selectorELNS0_4arch9wavefront6targetE0EEEvS11_.kd
    .uniform_work_group_size: 1
    .uses_dynamic_stack: false
    .vgpr_count:     0
    .vgpr_spill_count: 0
    .wavefront_size: 32
  - .args:
      - .offset:         0
        .size:           64
        .value_kind:     by_value
      - .offset:         64
        .size:           4
        .value_kind:     hidden_block_count_x
      - .offset:         68
        .size:           4
        .value_kind:     hidden_block_count_y
      - .offset:         72
        .size:           4
        .value_kind:     hidden_block_count_z
      - .offset:         76
        .size:           2
        .value_kind:     hidden_group_size_x
      - .offset:         78
        .size:           2
        .value_kind:     hidden_group_size_y
      - .offset:         80
        .size:           2
        .value_kind:     hidden_group_size_z
      - .offset:         82
        .size:           2
        .value_kind:     hidden_remainder_x
      - .offset:         84
        .size:           2
        .value_kind:     hidden_remainder_y
      - .offset:         86
        .size:           2
        .value_kind:     hidden_remainder_z
      - .offset:         104
        .size:           8
        .value_kind:     hidden_global_offset_x
      - .offset:         112
        .size:           8
        .value_kind:     hidden_global_offset_y
      - .offset:         120
        .size:           8
        .value_kind:     hidden_global_offset_z
      - .offset:         128
        .size:           2
        .value_kind:     hidden_grid_dims
    .group_segment_fixed_size: 0
    .kernarg_segment_align: 8
    .kernarg_segment_size: 320
    .language:       OpenCL C
    .language_version:
      - 2
      - 0
    .max_flat_workgroup_size: 512
    .name:           _ZN7rocprim17ROCPRIM_400000_NS6detail17trampoline_kernelINS0_14default_configENS1_21merge_config_selectorINS0_5tupleIJxxEEENS0_10empty_typeEEEZNS1_10merge_implIS3_NS0_12zip_iteratorINS5_IJN6thrust23THRUST_200600_302600_NS6detail15normal_iteratorINSC_10device_ptrIKxEEEESI_EEEEESK_NSA_INS5_IJNSC_16discard_iteratorINSC_11use_defaultEEESN_EEEEEPS7_SQ_SQ_NSC_11hip_rocprim7__merge17predicate_wrapperIxxNSC_4lessIxEEEEEE10hipError_tPvRmT0_T1_T2_T3_T4_T5_mmT6_P12ihipStream_tbEUlT_E_NS1_11comp_targetILNS1_3genE0ELNS1_11target_archE4294967295ELNS1_3gpuE0ELNS1_3repE0EEENS1_30default_config_static_selectorELNS0_4arch9wavefront6targetE0EEEvS11_
    .private_segment_fixed_size: 0
    .sgpr_count:     16
    .sgpr_spill_count: 0
    .symbol:         _ZN7rocprim17ROCPRIM_400000_NS6detail17trampoline_kernelINS0_14default_configENS1_21merge_config_selectorINS0_5tupleIJxxEEENS0_10empty_typeEEEZNS1_10merge_implIS3_NS0_12zip_iteratorINS5_IJN6thrust23THRUST_200600_302600_NS6detail15normal_iteratorINSC_10device_ptrIKxEEEESI_EEEEESK_NSA_INS5_IJNSC_16discard_iteratorINSC_11use_defaultEEESN_EEEEEPS7_SQ_SQ_NSC_11hip_rocprim7__merge17predicate_wrapperIxxNSC_4lessIxEEEEEE10hipError_tPvRmT0_T1_T2_T3_T4_T5_mmT6_P12ihipStream_tbEUlT_E_NS1_11comp_targetILNS1_3genE0ELNS1_11target_archE4294967295ELNS1_3gpuE0ELNS1_3repE0EEENS1_30default_config_static_selectorELNS0_4arch9wavefront6targetE0EEEvS11_.kd
    .uniform_work_group_size: 1
    .uses_dynamic_stack: false
    .vgpr_count:     18
    .vgpr_spill_count: 0
    .wavefront_size: 32
  - .args:
      - .offset:         0
        .size:           64
        .value_kind:     by_value
    .group_segment_fixed_size: 0
    .kernarg_segment_align: 8
    .kernarg_segment_size: 64
    .language:       OpenCL C
    .language_version:
      - 2
      - 0
    .max_flat_workgroup_size: 256
    .name:           _ZN7rocprim17ROCPRIM_400000_NS6detail17trampoline_kernelINS0_14default_configENS1_21merge_config_selectorINS0_5tupleIJxxEEENS0_10empty_typeEEEZNS1_10merge_implIS3_NS0_12zip_iteratorINS5_IJN6thrust23THRUST_200600_302600_NS6detail15normal_iteratorINSC_10device_ptrIKxEEEESI_EEEEESK_NSA_INS5_IJNSC_16discard_iteratorINSC_11use_defaultEEESN_EEEEEPS7_SQ_SQ_NSC_11hip_rocprim7__merge17predicate_wrapperIxxNSC_4lessIxEEEEEE10hipError_tPvRmT0_T1_T2_T3_T4_T5_mmT6_P12ihipStream_tbEUlT_E_NS1_11comp_targetILNS1_3genE5ELNS1_11target_archE942ELNS1_3gpuE9ELNS1_3repE0EEENS1_30default_config_static_selectorELNS0_4arch9wavefront6targetE0EEEvS11_
    .private_segment_fixed_size: 0
    .sgpr_count:     0
    .sgpr_spill_count: 0
    .symbol:         _ZN7rocprim17ROCPRIM_400000_NS6detail17trampoline_kernelINS0_14default_configENS1_21merge_config_selectorINS0_5tupleIJxxEEENS0_10empty_typeEEEZNS1_10merge_implIS3_NS0_12zip_iteratorINS5_IJN6thrust23THRUST_200600_302600_NS6detail15normal_iteratorINSC_10device_ptrIKxEEEESI_EEEEESK_NSA_INS5_IJNSC_16discard_iteratorINSC_11use_defaultEEESN_EEEEEPS7_SQ_SQ_NSC_11hip_rocprim7__merge17predicate_wrapperIxxNSC_4lessIxEEEEEE10hipError_tPvRmT0_T1_T2_T3_T4_T5_mmT6_P12ihipStream_tbEUlT_E_NS1_11comp_targetILNS1_3genE5ELNS1_11target_archE942ELNS1_3gpuE9ELNS1_3repE0EEENS1_30default_config_static_selectorELNS0_4arch9wavefront6targetE0EEEvS11_.kd
    .uniform_work_group_size: 1
    .uses_dynamic_stack: false
    .vgpr_count:     0
    .vgpr_spill_count: 0
    .wavefront_size: 32
  - .args:
      - .offset:         0
        .size:           64
        .value_kind:     by_value
    .group_segment_fixed_size: 0
    .kernarg_segment_align: 8
    .kernarg_segment_size: 64
    .language:       OpenCL C
    .language_version:
      - 2
      - 0
    .max_flat_workgroup_size: 512
    .name:           _ZN7rocprim17ROCPRIM_400000_NS6detail17trampoline_kernelINS0_14default_configENS1_21merge_config_selectorINS0_5tupleIJxxEEENS0_10empty_typeEEEZNS1_10merge_implIS3_NS0_12zip_iteratorINS5_IJN6thrust23THRUST_200600_302600_NS6detail15normal_iteratorINSC_10device_ptrIKxEEEESI_EEEEESK_NSA_INS5_IJNSC_16discard_iteratorINSC_11use_defaultEEESN_EEEEEPS7_SQ_SQ_NSC_11hip_rocprim7__merge17predicate_wrapperIxxNSC_4lessIxEEEEEE10hipError_tPvRmT0_T1_T2_T3_T4_T5_mmT6_P12ihipStream_tbEUlT_E_NS1_11comp_targetILNS1_3genE4ELNS1_11target_archE910ELNS1_3gpuE8ELNS1_3repE0EEENS1_30default_config_static_selectorELNS0_4arch9wavefront6targetE0EEEvS11_
    .private_segment_fixed_size: 0
    .sgpr_count:     0
    .sgpr_spill_count: 0
    .symbol:         _ZN7rocprim17ROCPRIM_400000_NS6detail17trampoline_kernelINS0_14default_configENS1_21merge_config_selectorINS0_5tupleIJxxEEENS0_10empty_typeEEEZNS1_10merge_implIS3_NS0_12zip_iteratorINS5_IJN6thrust23THRUST_200600_302600_NS6detail15normal_iteratorINSC_10device_ptrIKxEEEESI_EEEEESK_NSA_INS5_IJNSC_16discard_iteratorINSC_11use_defaultEEESN_EEEEEPS7_SQ_SQ_NSC_11hip_rocprim7__merge17predicate_wrapperIxxNSC_4lessIxEEEEEE10hipError_tPvRmT0_T1_T2_T3_T4_T5_mmT6_P12ihipStream_tbEUlT_E_NS1_11comp_targetILNS1_3genE4ELNS1_11target_archE910ELNS1_3gpuE8ELNS1_3repE0EEENS1_30default_config_static_selectorELNS0_4arch9wavefront6targetE0EEEvS11_.kd
    .uniform_work_group_size: 1
    .uses_dynamic_stack: false
    .vgpr_count:     0
    .vgpr_spill_count: 0
    .wavefront_size: 32
  - .args:
      - .offset:         0
        .size:           64
        .value_kind:     by_value
    .group_segment_fixed_size: 0
    .kernarg_segment_align: 8
    .kernarg_segment_size: 64
    .language:       OpenCL C
    .language_version:
      - 2
      - 0
    .max_flat_workgroup_size: 512
    .name:           _ZN7rocprim17ROCPRIM_400000_NS6detail17trampoline_kernelINS0_14default_configENS1_21merge_config_selectorINS0_5tupleIJxxEEENS0_10empty_typeEEEZNS1_10merge_implIS3_NS0_12zip_iteratorINS5_IJN6thrust23THRUST_200600_302600_NS6detail15normal_iteratorINSC_10device_ptrIKxEEEESI_EEEEESK_NSA_INS5_IJNSC_16discard_iteratorINSC_11use_defaultEEESN_EEEEEPS7_SQ_SQ_NSC_11hip_rocprim7__merge17predicate_wrapperIxxNSC_4lessIxEEEEEE10hipError_tPvRmT0_T1_T2_T3_T4_T5_mmT6_P12ihipStream_tbEUlT_E_NS1_11comp_targetILNS1_3genE3ELNS1_11target_archE908ELNS1_3gpuE7ELNS1_3repE0EEENS1_30default_config_static_selectorELNS0_4arch9wavefront6targetE0EEEvS11_
    .private_segment_fixed_size: 0
    .sgpr_count:     0
    .sgpr_spill_count: 0
    .symbol:         _ZN7rocprim17ROCPRIM_400000_NS6detail17trampoline_kernelINS0_14default_configENS1_21merge_config_selectorINS0_5tupleIJxxEEENS0_10empty_typeEEEZNS1_10merge_implIS3_NS0_12zip_iteratorINS5_IJN6thrust23THRUST_200600_302600_NS6detail15normal_iteratorINSC_10device_ptrIKxEEEESI_EEEEESK_NSA_INS5_IJNSC_16discard_iteratorINSC_11use_defaultEEESN_EEEEEPS7_SQ_SQ_NSC_11hip_rocprim7__merge17predicate_wrapperIxxNSC_4lessIxEEEEEE10hipError_tPvRmT0_T1_T2_T3_T4_T5_mmT6_P12ihipStream_tbEUlT_E_NS1_11comp_targetILNS1_3genE3ELNS1_11target_archE908ELNS1_3gpuE7ELNS1_3repE0EEENS1_30default_config_static_selectorELNS0_4arch9wavefront6targetE0EEEvS11_.kd
    .uniform_work_group_size: 1
    .uses_dynamic_stack: false
    .vgpr_count:     0
    .vgpr_spill_count: 0
    .wavefront_size: 32
  - .args:
      - .offset:         0
        .size:           64
        .value_kind:     by_value
    .group_segment_fixed_size: 0
    .kernarg_segment_align: 8
    .kernarg_segment_size: 64
    .language:       OpenCL C
    .language_version:
      - 2
      - 0
    .max_flat_workgroup_size: 512
    .name:           _ZN7rocprim17ROCPRIM_400000_NS6detail17trampoline_kernelINS0_14default_configENS1_21merge_config_selectorINS0_5tupleIJxxEEENS0_10empty_typeEEEZNS1_10merge_implIS3_NS0_12zip_iteratorINS5_IJN6thrust23THRUST_200600_302600_NS6detail15normal_iteratorINSC_10device_ptrIKxEEEESI_EEEEESK_NSA_INS5_IJNSC_16discard_iteratorINSC_11use_defaultEEESN_EEEEEPS7_SQ_SQ_NSC_11hip_rocprim7__merge17predicate_wrapperIxxNSC_4lessIxEEEEEE10hipError_tPvRmT0_T1_T2_T3_T4_T5_mmT6_P12ihipStream_tbEUlT_E_NS1_11comp_targetILNS1_3genE2ELNS1_11target_archE906ELNS1_3gpuE6ELNS1_3repE0EEENS1_30default_config_static_selectorELNS0_4arch9wavefront6targetE0EEEvS11_
    .private_segment_fixed_size: 0
    .sgpr_count:     0
    .sgpr_spill_count: 0
    .symbol:         _ZN7rocprim17ROCPRIM_400000_NS6detail17trampoline_kernelINS0_14default_configENS1_21merge_config_selectorINS0_5tupleIJxxEEENS0_10empty_typeEEEZNS1_10merge_implIS3_NS0_12zip_iteratorINS5_IJN6thrust23THRUST_200600_302600_NS6detail15normal_iteratorINSC_10device_ptrIKxEEEESI_EEEEESK_NSA_INS5_IJNSC_16discard_iteratorINSC_11use_defaultEEESN_EEEEEPS7_SQ_SQ_NSC_11hip_rocprim7__merge17predicate_wrapperIxxNSC_4lessIxEEEEEE10hipError_tPvRmT0_T1_T2_T3_T4_T5_mmT6_P12ihipStream_tbEUlT_E_NS1_11comp_targetILNS1_3genE2ELNS1_11target_archE906ELNS1_3gpuE6ELNS1_3repE0EEENS1_30default_config_static_selectorELNS0_4arch9wavefront6targetE0EEEvS11_.kd
    .uniform_work_group_size: 1
    .uses_dynamic_stack: false
    .vgpr_count:     0
    .vgpr_spill_count: 0
    .wavefront_size: 32
  - .args:
      - .offset:         0
        .size:           64
        .value_kind:     by_value
    .group_segment_fixed_size: 0
    .kernarg_segment_align: 8
    .kernarg_segment_size: 64
    .language:       OpenCL C
    .language_version:
      - 2
      - 0
    .max_flat_workgroup_size: 512
    .name:           _ZN7rocprim17ROCPRIM_400000_NS6detail17trampoline_kernelINS0_14default_configENS1_21merge_config_selectorINS0_5tupleIJxxEEENS0_10empty_typeEEEZNS1_10merge_implIS3_NS0_12zip_iteratorINS5_IJN6thrust23THRUST_200600_302600_NS6detail15normal_iteratorINSC_10device_ptrIKxEEEESI_EEEEESK_NSA_INS5_IJNSC_16discard_iteratorINSC_11use_defaultEEESN_EEEEEPS7_SQ_SQ_NSC_11hip_rocprim7__merge17predicate_wrapperIxxNSC_4lessIxEEEEEE10hipError_tPvRmT0_T1_T2_T3_T4_T5_mmT6_P12ihipStream_tbEUlT_E_NS1_11comp_targetILNS1_3genE10ELNS1_11target_archE1201ELNS1_3gpuE5ELNS1_3repE0EEENS1_30default_config_static_selectorELNS0_4arch9wavefront6targetE0EEEvS11_
    .private_segment_fixed_size: 0
    .sgpr_count:     0
    .sgpr_spill_count: 0
    .symbol:         _ZN7rocprim17ROCPRIM_400000_NS6detail17trampoline_kernelINS0_14default_configENS1_21merge_config_selectorINS0_5tupleIJxxEEENS0_10empty_typeEEEZNS1_10merge_implIS3_NS0_12zip_iteratorINS5_IJN6thrust23THRUST_200600_302600_NS6detail15normal_iteratorINSC_10device_ptrIKxEEEESI_EEEEESK_NSA_INS5_IJNSC_16discard_iteratorINSC_11use_defaultEEESN_EEEEEPS7_SQ_SQ_NSC_11hip_rocprim7__merge17predicate_wrapperIxxNSC_4lessIxEEEEEE10hipError_tPvRmT0_T1_T2_T3_T4_T5_mmT6_P12ihipStream_tbEUlT_E_NS1_11comp_targetILNS1_3genE10ELNS1_11target_archE1201ELNS1_3gpuE5ELNS1_3repE0EEENS1_30default_config_static_selectorELNS0_4arch9wavefront6targetE0EEEvS11_.kd
    .uniform_work_group_size: 1
    .uses_dynamic_stack: false
    .vgpr_count:     0
    .vgpr_spill_count: 0
    .wavefront_size: 32
  - .args:
      - .offset:         0
        .size:           64
        .value_kind:     by_value
    .group_segment_fixed_size: 0
    .kernarg_segment_align: 8
    .kernarg_segment_size: 64
    .language:       OpenCL C
    .language_version:
      - 2
      - 0
    .max_flat_workgroup_size: 256
    .name:           _ZN7rocprim17ROCPRIM_400000_NS6detail17trampoline_kernelINS0_14default_configENS1_21merge_config_selectorINS0_5tupleIJxxEEENS0_10empty_typeEEEZNS1_10merge_implIS3_NS0_12zip_iteratorINS5_IJN6thrust23THRUST_200600_302600_NS6detail15normal_iteratorINSC_10device_ptrIKxEEEESI_EEEEESK_NSA_INS5_IJNSC_16discard_iteratorINSC_11use_defaultEEESN_EEEEEPS7_SQ_SQ_NSC_11hip_rocprim7__merge17predicate_wrapperIxxNSC_4lessIxEEEEEE10hipError_tPvRmT0_T1_T2_T3_T4_T5_mmT6_P12ihipStream_tbEUlT_E_NS1_11comp_targetILNS1_3genE10ELNS1_11target_archE1200ELNS1_3gpuE4ELNS1_3repE0EEENS1_30default_config_static_selectorELNS0_4arch9wavefront6targetE0EEEvS11_
    .private_segment_fixed_size: 0
    .sgpr_count:     0
    .sgpr_spill_count: 0
    .symbol:         _ZN7rocprim17ROCPRIM_400000_NS6detail17trampoline_kernelINS0_14default_configENS1_21merge_config_selectorINS0_5tupleIJxxEEENS0_10empty_typeEEEZNS1_10merge_implIS3_NS0_12zip_iteratorINS5_IJN6thrust23THRUST_200600_302600_NS6detail15normal_iteratorINSC_10device_ptrIKxEEEESI_EEEEESK_NSA_INS5_IJNSC_16discard_iteratorINSC_11use_defaultEEESN_EEEEEPS7_SQ_SQ_NSC_11hip_rocprim7__merge17predicate_wrapperIxxNSC_4lessIxEEEEEE10hipError_tPvRmT0_T1_T2_T3_T4_T5_mmT6_P12ihipStream_tbEUlT_E_NS1_11comp_targetILNS1_3genE10ELNS1_11target_archE1200ELNS1_3gpuE4ELNS1_3repE0EEENS1_30default_config_static_selectorELNS0_4arch9wavefront6targetE0EEEvS11_.kd
    .uniform_work_group_size: 1
    .uses_dynamic_stack: false
    .vgpr_count:     0
    .vgpr_spill_count: 0
    .wavefront_size: 32
  - .args:
      - .offset:         0
        .size:           64
        .value_kind:     by_value
    .group_segment_fixed_size: 0
    .kernarg_segment_align: 8
    .kernarg_segment_size: 64
    .language:       OpenCL C
    .language_version:
      - 2
      - 0
    .max_flat_workgroup_size: 1024
    .name:           _ZN7rocprim17ROCPRIM_400000_NS6detail17trampoline_kernelINS0_14default_configENS1_21merge_config_selectorINS0_5tupleIJxxEEENS0_10empty_typeEEEZNS1_10merge_implIS3_NS0_12zip_iteratorINS5_IJN6thrust23THRUST_200600_302600_NS6detail15normal_iteratorINSC_10device_ptrIKxEEEESI_EEEEESK_NSA_INS5_IJNSC_16discard_iteratorINSC_11use_defaultEEESN_EEEEEPS7_SQ_SQ_NSC_11hip_rocprim7__merge17predicate_wrapperIxxNSC_4lessIxEEEEEE10hipError_tPvRmT0_T1_T2_T3_T4_T5_mmT6_P12ihipStream_tbEUlT_E_NS1_11comp_targetILNS1_3genE9ELNS1_11target_archE1100ELNS1_3gpuE3ELNS1_3repE0EEENS1_30default_config_static_selectorELNS0_4arch9wavefront6targetE0EEEvS11_
    .private_segment_fixed_size: 0
    .sgpr_count:     0
    .sgpr_spill_count: 0
    .symbol:         _ZN7rocprim17ROCPRIM_400000_NS6detail17trampoline_kernelINS0_14default_configENS1_21merge_config_selectorINS0_5tupleIJxxEEENS0_10empty_typeEEEZNS1_10merge_implIS3_NS0_12zip_iteratorINS5_IJN6thrust23THRUST_200600_302600_NS6detail15normal_iteratorINSC_10device_ptrIKxEEEESI_EEEEESK_NSA_INS5_IJNSC_16discard_iteratorINSC_11use_defaultEEESN_EEEEEPS7_SQ_SQ_NSC_11hip_rocprim7__merge17predicate_wrapperIxxNSC_4lessIxEEEEEE10hipError_tPvRmT0_T1_T2_T3_T4_T5_mmT6_P12ihipStream_tbEUlT_E_NS1_11comp_targetILNS1_3genE9ELNS1_11target_archE1100ELNS1_3gpuE3ELNS1_3repE0EEENS1_30default_config_static_selectorELNS0_4arch9wavefront6targetE0EEEvS11_.kd
    .uniform_work_group_size: 1
    .uses_dynamic_stack: false
    .vgpr_count:     0
    .vgpr_spill_count: 0
    .wavefront_size: 32
  - .args:
      - .offset:         0
        .size:           64
        .value_kind:     by_value
    .group_segment_fixed_size: 0
    .kernarg_segment_align: 8
    .kernarg_segment_size: 64
    .language:       OpenCL C
    .language_version:
      - 2
      - 0
    .max_flat_workgroup_size: 256
    .name:           _ZN7rocprim17ROCPRIM_400000_NS6detail17trampoline_kernelINS0_14default_configENS1_21merge_config_selectorINS0_5tupleIJxxEEENS0_10empty_typeEEEZNS1_10merge_implIS3_NS0_12zip_iteratorINS5_IJN6thrust23THRUST_200600_302600_NS6detail15normal_iteratorINSC_10device_ptrIKxEEEESI_EEEEESK_NSA_INS5_IJNSC_16discard_iteratorINSC_11use_defaultEEESN_EEEEEPS7_SQ_SQ_NSC_11hip_rocprim7__merge17predicate_wrapperIxxNSC_4lessIxEEEEEE10hipError_tPvRmT0_T1_T2_T3_T4_T5_mmT6_P12ihipStream_tbEUlT_E_NS1_11comp_targetILNS1_3genE8ELNS1_11target_archE1030ELNS1_3gpuE2ELNS1_3repE0EEENS1_30default_config_static_selectorELNS0_4arch9wavefront6targetE0EEEvS11_
    .private_segment_fixed_size: 0
    .sgpr_count:     0
    .sgpr_spill_count: 0
    .symbol:         _ZN7rocprim17ROCPRIM_400000_NS6detail17trampoline_kernelINS0_14default_configENS1_21merge_config_selectorINS0_5tupleIJxxEEENS0_10empty_typeEEEZNS1_10merge_implIS3_NS0_12zip_iteratorINS5_IJN6thrust23THRUST_200600_302600_NS6detail15normal_iteratorINSC_10device_ptrIKxEEEESI_EEEEESK_NSA_INS5_IJNSC_16discard_iteratorINSC_11use_defaultEEESN_EEEEEPS7_SQ_SQ_NSC_11hip_rocprim7__merge17predicate_wrapperIxxNSC_4lessIxEEEEEE10hipError_tPvRmT0_T1_T2_T3_T4_T5_mmT6_P12ihipStream_tbEUlT_E_NS1_11comp_targetILNS1_3genE8ELNS1_11target_archE1030ELNS1_3gpuE2ELNS1_3repE0EEENS1_30default_config_static_selectorELNS0_4arch9wavefront6targetE0EEEvS11_.kd
    .uniform_work_group_size: 1
    .uses_dynamic_stack: false
    .vgpr_count:     0
    .vgpr_spill_count: 0
    .wavefront_size: 32
  - .args:
      - .offset:         0
        .size:           128
        .value_kind:     by_value
    .group_segment_fixed_size: 16896
    .kernarg_segment_align: 8
    .kernarg_segment_size: 128
    .language:       OpenCL C
    .language_version:
      - 2
      - 0
    .max_flat_workgroup_size: 512
    .name:           _ZN7rocprim17ROCPRIM_400000_NS6detail17trampoline_kernelINS0_14default_configENS1_21merge_config_selectorINS0_5tupleIJxxEEENS0_10empty_typeEEEZNS1_10merge_implIS3_NS0_12zip_iteratorINS5_IJN6thrust23THRUST_200600_302600_NS6detail15normal_iteratorINSC_10device_ptrIKxEEEESI_EEEEESK_NSA_INS5_IJNSC_16discard_iteratorINSC_11use_defaultEEESN_EEEEEPS7_SQ_SQ_NSC_11hip_rocprim7__merge17predicate_wrapperIxxNSC_4lessIxEEEEEE10hipError_tPvRmT0_T1_T2_T3_T4_T5_mmT6_P12ihipStream_tbEUlT_E0_NS1_11comp_targetILNS1_3genE0ELNS1_11target_archE4294967295ELNS1_3gpuE0ELNS1_3repE0EEENS1_30default_config_static_selectorELNS0_4arch9wavefront6targetE0EEEvS11_
    .private_segment_fixed_size: 0
    .sgpr_count:     24
    .sgpr_spill_count: 0
    .symbol:         _ZN7rocprim17ROCPRIM_400000_NS6detail17trampoline_kernelINS0_14default_configENS1_21merge_config_selectorINS0_5tupleIJxxEEENS0_10empty_typeEEEZNS1_10merge_implIS3_NS0_12zip_iteratorINS5_IJN6thrust23THRUST_200600_302600_NS6detail15normal_iteratorINSC_10device_ptrIKxEEEESI_EEEEESK_NSA_INS5_IJNSC_16discard_iteratorINSC_11use_defaultEEESN_EEEEEPS7_SQ_SQ_NSC_11hip_rocprim7__merge17predicate_wrapperIxxNSC_4lessIxEEEEEE10hipError_tPvRmT0_T1_T2_T3_T4_T5_mmT6_P12ihipStream_tbEUlT_E0_NS1_11comp_targetILNS1_3genE0ELNS1_11target_archE4294967295ELNS1_3gpuE0ELNS1_3repE0EEENS1_30default_config_static_selectorELNS0_4arch9wavefront6targetE0EEEvS11_.kd
    .uniform_work_group_size: 1
    .uses_dynamic_stack: false
    .vgpr_count:     22
    .vgpr_spill_count: 0
    .wavefront_size: 32
  - .args:
      - .offset:         0
        .size:           128
        .value_kind:     by_value
    .group_segment_fixed_size: 0
    .kernarg_segment_align: 8
    .kernarg_segment_size: 128
    .language:       OpenCL C
    .language_version:
      - 2
      - 0
    .max_flat_workgroup_size: 256
    .name:           _ZN7rocprim17ROCPRIM_400000_NS6detail17trampoline_kernelINS0_14default_configENS1_21merge_config_selectorINS0_5tupleIJxxEEENS0_10empty_typeEEEZNS1_10merge_implIS3_NS0_12zip_iteratorINS5_IJN6thrust23THRUST_200600_302600_NS6detail15normal_iteratorINSC_10device_ptrIKxEEEESI_EEEEESK_NSA_INS5_IJNSC_16discard_iteratorINSC_11use_defaultEEESN_EEEEEPS7_SQ_SQ_NSC_11hip_rocprim7__merge17predicate_wrapperIxxNSC_4lessIxEEEEEE10hipError_tPvRmT0_T1_T2_T3_T4_T5_mmT6_P12ihipStream_tbEUlT_E0_NS1_11comp_targetILNS1_3genE5ELNS1_11target_archE942ELNS1_3gpuE9ELNS1_3repE0EEENS1_30default_config_static_selectorELNS0_4arch9wavefront6targetE0EEEvS11_
    .private_segment_fixed_size: 0
    .sgpr_count:     0
    .sgpr_spill_count: 0
    .symbol:         _ZN7rocprim17ROCPRIM_400000_NS6detail17trampoline_kernelINS0_14default_configENS1_21merge_config_selectorINS0_5tupleIJxxEEENS0_10empty_typeEEEZNS1_10merge_implIS3_NS0_12zip_iteratorINS5_IJN6thrust23THRUST_200600_302600_NS6detail15normal_iteratorINSC_10device_ptrIKxEEEESI_EEEEESK_NSA_INS5_IJNSC_16discard_iteratorINSC_11use_defaultEEESN_EEEEEPS7_SQ_SQ_NSC_11hip_rocprim7__merge17predicate_wrapperIxxNSC_4lessIxEEEEEE10hipError_tPvRmT0_T1_T2_T3_T4_T5_mmT6_P12ihipStream_tbEUlT_E0_NS1_11comp_targetILNS1_3genE5ELNS1_11target_archE942ELNS1_3gpuE9ELNS1_3repE0EEENS1_30default_config_static_selectorELNS0_4arch9wavefront6targetE0EEEvS11_.kd
    .uniform_work_group_size: 1
    .uses_dynamic_stack: false
    .vgpr_count:     0
    .vgpr_spill_count: 0
    .wavefront_size: 32
  - .args:
      - .offset:         0
        .size:           128
        .value_kind:     by_value
    .group_segment_fixed_size: 0
    .kernarg_segment_align: 8
    .kernarg_segment_size: 128
    .language:       OpenCL C
    .language_version:
      - 2
      - 0
    .max_flat_workgroup_size: 512
    .name:           _ZN7rocprim17ROCPRIM_400000_NS6detail17trampoline_kernelINS0_14default_configENS1_21merge_config_selectorINS0_5tupleIJxxEEENS0_10empty_typeEEEZNS1_10merge_implIS3_NS0_12zip_iteratorINS5_IJN6thrust23THRUST_200600_302600_NS6detail15normal_iteratorINSC_10device_ptrIKxEEEESI_EEEEESK_NSA_INS5_IJNSC_16discard_iteratorINSC_11use_defaultEEESN_EEEEEPS7_SQ_SQ_NSC_11hip_rocprim7__merge17predicate_wrapperIxxNSC_4lessIxEEEEEE10hipError_tPvRmT0_T1_T2_T3_T4_T5_mmT6_P12ihipStream_tbEUlT_E0_NS1_11comp_targetILNS1_3genE4ELNS1_11target_archE910ELNS1_3gpuE8ELNS1_3repE0EEENS1_30default_config_static_selectorELNS0_4arch9wavefront6targetE0EEEvS11_
    .private_segment_fixed_size: 0
    .sgpr_count:     0
    .sgpr_spill_count: 0
    .symbol:         _ZN7rocprim17ROCPRIM_400000_NS6detail17trampoline_kernelINS0_14default_configENS1_21merge_config_selectorINS0_5tupleIJxxEEENS0_10empty_typeEEEZNS1_10merge_implIS3_NS0_12zip_iteratorINS5_IJN6thrust23THRUST_200600_302600_NS6detail15normal_iteratorINSC_10device_ptrIKxEEEESI_EEEEESK_NSA_INS5_IJNSC_16discard_iteratorINSC_11use_defaultEEESN_EEEEEPS7_SQ_SQ_NSC_11hip_rocprim7__merge17predicate_wrapperIxxNSC_4lessIxEEEEEE10hipError_tPvRmT0_T1_T2_T3_T4_T5_mmT6_P12ihipStream_tbEUlT_E0_NS1_11comp_targetILNS1_3genE4ELNS1_11target_archE910ELNS1_3gpuE8ELNS1_3repE0EEENS1_30default_config_static_selectorELNS0_4arch9wavefront6targetE0EEEvS11_.kd
    .uniform_work_group_size: 1
    .uses_dynamic_stack: false
    .vgpr_count:     0
    .vgpr_spill_count: 0
    .wavefront_size: 32
  - .args:
      - .offset:         0
        .size:           128
        .value_kind:     by_value
    .group_segment_fixed_size: 0
    .kernarg_segment_align: 8
    .kernarg_segment_size: 128
    .language:       OpenCL C
    .language_version:
      - 2
      - 0
    .max_flat_workgroup_size: 512
    .name:           _ZN7rocprim17ROCPRIM_400000_NS6detail17trampoline_kernelINS0_14default_configENS1_21merge_config_selectorINS0_5tupleIJxxEEENS0_10empty_typeEEEZNS1_10merge_implIS3_NS0_12zip_iteratorINS5_IJN6thrust23THRUST_200600_302600_NS6detail15normal_iteratorINSC_10device_ptrIKxEEEESI_EEEEESK_NSA_INS5_IJNSC_16discard_iteratorINSC_11use_defaultEEESN_EEEEEPS7_SQ_SQ_NSC_11hip_rocprim7__merge17predicate_wrapperIxxNSC_4lessIxEEEEEE10hipError_tPvRmT0_T1_T2_T3_T4_T5_mmT6_P12ihipStream_tbEUlT_E0_NS1_11comp_targetILNS1_3genE3ELNS1_11target_archE908ELNS1_3gpuE7ELNS1_3repE0EEENS1_30default_config_static_selectorELNS0_4arch9wavefront6targetE0EEEvS11_
    .private_segment_fixed_size: 0
    .sgpr_count:     0
    .sgpr_spill_count: 0
    .symbol:         _ZN7rocprim17ROCPRIM_400000_NS6detail17trampoline_kernelINS0_14default_configENS1_21merge_config_selectorINS0_5tupleIJxxEEENS0_10empty_typeEEEZNS1_10merge_implIS3_NS0_12zip_iteratorINS5_IJN6thrust23THRUST_200600_302600_NS6detail15normal_iteratorINSC_10device_ptrIKxEEEESI_EEEEESK_NSA_INS5_IJNSC_16discard_iteratorINSC_11use_defaultEEESN_EEEEEPS7_SQ_SQ_NSC_11hip_rocprim7__merge17predicate_wrapperIxxNSC_4lessIxEEEEEE10hipError_tPvRmT0_T1_T2_T3_T4_T5_mmT6_P12ihipStream_tbEUlT_E0_NS1_11comp_targetILNS1_3genE3ELNS1_11target_archE908ELNS1_3gpuE7ELNS1_3repE0EEENS1_30default_config_static_selectorELNS0_4arch9wavefront6targetE0EEEvS11_.kd
    .uniform_work_group_size: 1
    .uses_dynamic_stack: false
    .vgpr_count:     0
    .vgpr_spill_count: 0
    .wavefront_size: 32
  - .args:
      - .offset:         0
        .size:           128
        .value_kind:     by_value
    .group_segment_fixed_size: 0
    .kernarg_segment_align: 8
    .kernarg_segment_size: 128
    .language:       OpenCL C
    .language_version:
      - 2
      - 0
    .max_flat_workgroup_size: 512
    .name:           _ZN7rocprim17ROCPRIM_400000_NS6detail17trampoline_kernelINS0_14default_configENS1_21merge_config_selectorINS0_5tupleIJxxEEENS0_10empty_typeEEEZNS1_10merge_implIS3_NS0_12zip_iteratorINS5_IJN6thrust23THRUST_200600_302600_NS6detail15normal_iteratorINSC_10device_ptrIKxEEEESI_EEEEESK_NSA_INS5_IJNSC_16discard_iteratorINSC_11use_defaultEEESN_EEEEEPS7_SQ_SQ_NSC_11hip_rocprim7__merge17predicate_wrapperIxxNSC_4lessIxEEEEEE10hipError_tPvRmT0_T1_T2_T3_T4_T5_mmT6_P12ihipStream_tbEUlT_E0_NS1_11comp_targetILNS1_3genE2ELNS1_11target_archE906ELNS1_3gpuE6ELNS1_3repE0EEENS1_30default_config_static_selectorELNS0_4arch9wavefront6targetE0EEEvS11_
    .private_segment_fixed_size: 0
    .sgpr_count:     0
    .sgpr_spill_count: 0
    .symbol:         _ZN7rocprim17ROCPRIM_400000_NS6detail17trampoline_kernelINS0_14default_configENS1_21merge_config_selectorINS0_5tupleIJxxEEENS0_10empty_typeEEEZNS1_10merge_implIS3_NS0_12zip_iteratorINS5_IJN6thrust23THRUST_200600_302600_NS6detail15normal_iteratorINSC_10device_ptrIKxEEEESI_EEEEESK_NSA_INS5_IJNSC_16discard_iteratorINSC_11use_defaultEEESN_EEEEEPS7_SQ_SQ_NSC_11hip_rocprim7__merge17predicate_wrapperIxxNSC_4lessIxEEEEEE10hipError_tPvRmT0_T1_T2_T3_T4_T5_mmT6_P12ihipStream_tbEUlT_E0_NS1_11comp_targetILNS1_3genE2ELNS1_11target_archE906ELNS1_3gpuE6ELNS1_3repE0EEENS1_30default_config_static_selectorELNS0_4arch9wavefront6targetE0EEEvS11_.kd
    .uniform_work_group_size: 1
    .uses_dynamic_stack: false
    .vgpr_count:     0
    .vgpr_spill_count: 0
    .wavefront_size: 32
  - .args:
      - .offset:         0
        .size:           128
        .value_kind:     by_value
    .group_segment_fixed_size: 0
    .kernarg_segment_align: 8
    .kernarg_segment_size: 128
    .language:       OpenCL C
    .language_version:
      - 2
      - 0
    .max_flat_workgroup_size: 512
    .name:           _ZN7rocprim17ROCPRIM_400000_NS6detail17trampoline_kernelINS0_14default_configENS1_21merge_config_selectorINS0_5tupleIJxxEEENS0_10empty_typeEEEZNS1_10merge_implIS3_NS0_12zip_iteratorINS5_IJN6thrust23THRUST_200600_302600_NS6detail15normal_iteratorINSC_10device_ptrIKxEEEESI_EEEEESK_NSA_INS5_IJNSC_16discard_iteratorINSC_11use_defaultEEESN_EEEEEPS7_SQ_SQ_NSC_11hip_rocprim7__merge17predicate_wrapperIxxNSC_4lessIxEEEEEE10hipError_tPvRmT0_T1_T2_T3_T4_T5_mmT6_P12ihipStream_tbEUlT_E0_NS1_11comp_targetILNS1_3genE10ELNS1_11target_archE1201ELNS1_3gpuE5ELNS1_3repE0EEENS1_30default_config_static_selectorELNS0_4arch9wavefront6targetE0EEEvS11_
    .private_segment_fixed_size: 0
    .sgpr_count:     0
    .sgpr_spill_count: 0
    .symbol:         _ZN7rocprim17ROCPRIM_400000_NS6detail17trampoline_kernelINS0_14default_configENS1_21merge_config_selectorINS0_5tupleIJxxEEENS0_10empty_typeEEEZNS1_10merge_implIS3_NS0_12zip_iteratorINS5_IJN6thrust23THRUST_200600_302600_NS6detail15normal_iteratorINSC_10device_ptrIKxEEEESI_EEEEESK_NSA_INS5_IJNSC_16discard_iteratorINSC_11use_defaultEEESN_EEEEEPS7_SQ_SQ_NSC_11hip_rocprim7__merge17predicate_wrapperIxxNSC_4lessIxEEEEEE10hipError_tPvRmT0_T1_T2_T3_T4_T5_mmT6_P12ihipStream_tbEUlT_E0_NS1_11comp_targetILNS1_3genE10ELNS1_11target_archE1201ELNS1_3gpuE5ELNS1_3repE0EEENS1_30default_config_static_selectorELNS0_4arch9wavefront6targetE0EEEvS11_.kd
    .uniform_work_group_size: 1
    .uses_dynamic_stack: false
    .vgpr_count:     0
    .vgpr_spill_count: 0
    .wavefront_size: 32
  - .args:
      - .offset:         0
        .size:           128
        .value_kind:     by_value
    .group_segment_fixed_size: 0
    .kernarg_segment_align: 8
    .kernarg_segment_size: 128
    .language:       OpenCL C
    .language_version:
      - 2
      - 0
    .max_flat_workgroup_size: 256
    .name:           _ZN7rocprim17ROCPRIM_400000_NS6detail17trampoline_kernelINS0_14default_configENS1_21merge_config_selectorINS0_5tupleIJxxEEENS0_10empty_typeEEEZNS1_10merge_implIS3_NS0_12zip_iteratorINS5_IJN6thrust23THRUST_200600_302600_NS6detail15normal_iteratorINSC_10device_ptrIKxEEEESI_EEEEESK_NSA_INS5_IJNSC_16discard_iteratorINSC_11use_defaultEEESN_EEEEEPS7_SQ_SQ_NSC_11hip_rocprim7__merge17predicate_wrapperIxxNSC_4lessIxEEEEEE10hipError_tPvRmT0_T1_T2_T3_T4_T5_mmT6_P12ihipStream_tbEUlT_E0_NS1_11comp_targetILNS1_3genE10ELNS1_11target_archE1200ELNS1_3gpuE4ELNS1_3repE0EEENS1_30default_config_static_selectorELNS0_4arch9wavefront6targetE0EEEvS11_
    .private_segment_fixed_size: 0
    .sgpr_count:     0
    .sgpr_spill_count: 0
    .symbol:         _ZN7rocprim17ROCPRIM_400000_NS6detail17trampoline_kernelINS0_14default_configENS1_21merge_config_selectorINS0_5tupleIJxxEEENS0_10empty_typeEEEZNS1_10merge_implIS3_NS0_12zip_iteratorINS5_IJN6thrust23THRUST_200600_302600_NS6detail15normal_iteratorINSC_10device_ptrIKxEEEESI_EEEEESK_NSA_INS5_IJNSC_16discard_iteratorINSC_11use_defaultEEESN_EEEEEPS7_SQ_SQ_NSC_11hip_rocprim7__merge17predicate_wrapperIxxNSC_4lessIxEEEEEE10hipError_tPvRmT0_T1_T2_T3_T4_T5_mmT6_P12ihipStream_tbEUlT_E0_NS1_11comp_targetILNS1_3genE10ELNS1_11target_archE1200ELNS1_3gpuE4ELNS1_3repE0EEENS1_30default_config_static_selectorELNS0_4arch9wavefront6targetE0EEEvS11_.kd
    .uniform_work_group_size: 1
    .uses_dynamic_stack: false
    .vgpr_count:     0
    .vgpr_spill_count: 0
    .wavefront_size: 32
  - .args:
      - .offset:         0
        .size:           128
        .value_kind:     by_value
    .group_segment_fixed_size: 0
    .kernarg_segment_align: 8
    .kernarg_segment_size: 128
    .language:       OpenCL C
    .language_version:
      - 2
      - 0
    .max_flat_workgroup_size: 1024
    .name:           _ZN7rocprim17ROCPRIM_400000_NS6detail17trampoline_kernelINS0_14default_configENS1_21merge_config_selectorINS0_5tupleIJxxEEENS0_10empty_typeEEEZNS1_10merge_implIS3_NS0_12zip_iteratorINS5_IJN6thrust23THRUST_200600_302600_NS6detail15normal_iteratorINSC_10device_ptrIKxEEEESI_EEEEESK_NSA_INS5_IJNSC_16discard_iteratorINSC_11use_defaultEEESN_EEEEEPS7_SQ_SQ_NSC_11hip_rocprim7__merge17predicate_wrapperIxxNSC_4lessIxEEEEEE10hipError_tPvRmT0_T1_T2_T3_T4_T5_mmT6_P12ihipStream_tbEUlT_E0_NS1_11comp_targetILNS1_3genE9ELNS1_11target_archE1100ELNS1_3gpuE3ELNS1_3repE0EEENS1_30default_config_static_selectorELNS0_4arch9wavefront6targetE0EEEvS11_
    .private_segment_fixed_size: 0
    .sgpr_count:     0
    .sgpr_spill_count: 0
    .symbol:         _ZN7rocprim17ROCPRIM_400000_NS6detail17trampoline_kernelINS0_14default_configENS1_21merge_config_selectorINS0_5tupleIJxxEEENS0_10empty_typeEEEZNS1_10merge_implIS3_NS0_12zip_iteratorINS5_IJN6thrust23THRUST_200600_302600_NS6detail15normal_iteratorINSC_10device_ptrIKxEEEESI_EEEEESK_NSA_INS5_IJNSC_16discard_iteratorINSC_11use_defaultEEESN_EEEEEPS7_SQ_SQ_NSC_11hip_rocprim7__merge17predicate_wrapperIxxNSC_4lessIxEEEEEE10hipError_tPvRmT0_T1_T2_T3_T4_T5_mmT6_P12ihipStream_tbEUlT_E0_NS1_11comp_targetILNS1_3genE9ELNS1_11target_archE1100ELNS1_3gpuE3ELNS1_3repE0EEENS1_30default_config_static_selectorELNS0_4arch9wavefront6targetE0EEEvS11_.kd
    .uniform_work_group_size: 1
    .uses_dynamic_stack: false
    .vgpr_count:     0
    .vgpr_spill_count: 0
    .wavefront_size: 32
  - .args:
      - .offset:         0
        .size:           128
        .value_kind:     by_value
    .group_segment_fixed_size: 0
    .kernarg_segment_align: 8
    .kernarg_segment_size: 128
    .language:       OpenCL C
    .language_version:
      - 2
      - 0
    .max_flat_workgroup_size: 256
    .name:           _ZN7rocprim17ROCPRIM_400000_NS6detail17trampoline_kernelINS0_14default_configENS1_21merge_config_selectorINS0_5tupleIJxxEEENS0_10empty_typeEEEZNS1_10merge_implIS3_NS0_12zip_iteratorINS5_IJN6thrust23THRUST_200600_302600_NS6detail15normal_iteratorINSC_10device_ptrIKxEEEESI_EEEEESK_NSA_INS5_IJNSC_16discard_iteratorINSC_11use_defaultEEESN_EEEEEPS7_SQ_SQ_NSC_11hip_rocprim7__merge17predicate_wrapperIxxNSC_4lessIxEEEEEE10hipError_tPvRmT0_T1_T2_T3_T4_T5_mmT6_P12ihipStream_tbEUlT_E0_NS1_11comp_targetILNS1_3genE8ELNS1_11target_archE1030ELNS1_3gpuE2ELNS1_3repE0EEENS1_30default_config_static_selectorELNS0_4arch9wavefront6targetE0EEEvS11_
    .private_segment_fixed_size: 0
    .sgpr_count:     0
    .sgpr_spill_count: 0
    .symbol:         _ZN7rocprim17ROCPRIM_400000_NS6detail17trampoline_kernelINS0_14default_configENS1_21merge_config_selectorINS0_5tupleIJxxEEENS0_10empty_typeEEEZNS1_10merge_implIS3_NS0_12zip_iteratorINS5_IJN6thrust23THRUST_200600_302600_NS6detail15normal_iteratorINSC_10device_ptrIKxEEEESI_EEEEESK_NSA_INS5_IJNSC_16discard_iteratorINSC_11use_defaultEEESN_EEEEEPS7_SQ_SQ_NSC_11hip_rocprim7__merge17predicate_wrapperIxxNSC_4lessIxEEEEEE10hipError_tPvRmT0_T1_T2_T3_T4_T5_mmT6_P12ihipStream_tbEUlT_E0_NS1_11comp_targetILNS1_3genE8ELNS1_11target_archE1030ELNS1_3gpuE2ELNS1_3repE0EEENS1_30default_config_static_selectorELNS0_4arch9wavefront6targetE0EEEvS11_.kd
    .uniform_work_group_size: 1
    .uses_dynamic_stack: false
    .vgpr_count:     0
    .vgpr_spill_count: 0
    .wavefront_size: 32
  - .args:
      - .offset:         0
        .size:           64
        .value_kind:     by_value
      - .offset:         64
        .size:           4
        .value_kind:     hidden_block_count_x
      - .offset:         68
        .size:           4
        .value_kind:     hidden_block_count_y
      - .offset:         72
        .size:           4
        .value_kind:     hidden_block_count_z
      - .offset:         76
        .size:           2
        .value_kind:     hidden_group_size_x
      - .offset:         78
        .size:           2
        .value_kind:     hidden_group_size_y
      - .offset:         80
        .size:           2
        .value_kind:     hidden_group_size_z
      - .offset:         82
        .size:           2
        .value_kind:     hidden_remainder_x
      - .offset:         84
        .size:           2
        .value_kind:     hidden_remainder_y
      - .offset:         86
        .size:           2
        .value_kind:     hidden_remainder_z
      - .offset:         104
        .size:           8
        .value_kind:     hidden_global_offset_x
      - .offset:         112
        .size:           8
        .value_kind:     hidden_global_offset_y
      - .offset:         120
        .size:           8
        .value_kind:     hidden_global_offset_z
      - .offset:         128
        .size:           2
        .value_kind:     hidden_grid_dims
    .group_segment_fixed_size: 0
    .kernarg_segment_align: 8
    .kernarg_segment_size: 320
    .language:       OpenCL C
    .language_version:
      - 2
      - 0
    .max_flat_workgroup_size: 256
    .name:           _ZN7rocprim17ROCPRIM_400000_NS6detail17trampoline_kernelINS0_14default_configENS1_21merge_config_selectorINS0_5tupleIJiiEEENS0_10empty_typeEEEZNS1_10merge_implIS3_NS0_12zip_iteratorINS5_IJN6thrust23THRUST_200600_302600_NS6detail15normal_iteratorINSC_10device_ptrIKiEEEESI_EEEEESK_NSA_INS5_IJNSC_16discard_iteratorINSC_11use_defaultEEESN_EEEEEPS7_SQ_SQ_NSC_11hip_rocprim7__merge17predicate_wrapperIiiNSC_4lessIiEEEEEE10hipError_tPvRmT0_T1_T2_T3_T4_T5_mmT6_P12ihipStream_tbEUlT_E_NS1_11comp_targetILNS1_3genE0ELNS1_11target_archE4294967295ELNS1_3gpuE0ELNS1_3repE0EEENS1_30default_config_static_selectorELNS0_4arch9wavefront6targetE0EEEvS11_
    .private_segment_fixed_size: 0
    .sgpr_count:     16
    .sgpr_spill_count: 0
    .symbol:         _ZN7rocprim17ROCPRIM_400000_NS6detail17trampoline_kernelINS0_14default_configENS1_21merge_config_selectorINS0_5tupleIJiiEEENS0_10empty_typeEEEZNS1_10merge_implIS3_NS0_12zip_iteratorINS5_IJN6thrust23THRUST_200600_302600_NS6detail15normal_iteratorINSC_10device_ptrIKiEEEESI_EEEEESK_NSA_INS5_IJNSC_16discard_iteratorINSC_11use_defaultEEESN_EEEEEPS7_SQ_SQ_NSC_11hip_rocprim7__merge17predicate_wrapperIiiNSC_4lessIiEEEEEE10hipError_tPvRmT0_T1_T2_T3_T4_T5_mmT6_P12ihipStream_tbEUlT_E_NS1_11comp_targetILNS1_3genE0ELNS1_11target_archE4294967295ELNS1_3gpuE0ELNS1_3repE0EEENS1_30default_config_static_selectorELNS0_4arch9wavefront6targetE0EEEvS11_.kd
    .uniform_work_group_size: 1
    .uses_dynamic_stack: false
    .vgpr_count:     15
    .vgpr_spill_count: 0
    .wavefront_size: 32
  - .args:
      - .offset:         0
        .size:           64
        .value_kind:     by_value
    .group_segment_fixed_size: 0
    .kernarg_segment_align: 8
    .kernarg_segment_size: 64
    .language:       OpenCL C
    .language_version:
      - 2
      - 0
    .max_flat_workgroup_size: 256
    .name:           _ZN7rocprim17ROCPRIM_400000_NS6detail17trampoline_kernelINS0_14default_configENS1_21merge_config_selectorINS0_5tupleIJiiEEENS0_10empty_typeEEEZNS1_10merge_implIS3_NS0_12zip_iteratorINS5_IJN6thrust23THRUST_200600_302600_NS6detail15normal_iteratorINSC_10device_ptrIKiEEEESI_EEEEESK_NSA_INS5_IJNSC_16discard_iteratorINSC_11use_defaultEEESN_EEEEEPS7_SQ_SQ_NSC_11hip_rocprim7__merge17predicate_wrapperIiiNSC_4lessIiEEEEEE10hipError_tPvRmT0_T1_T2_T3_T4_T5_mmT6_P12ihipStream_tbEUlT_E_NS1_11comp_targetILNS1_3genE5ELNS1_11target_archE942ELNS1_3gpuE9ELNS1_3repE0EEENS1_30default_config_static_selectorELNS0_4arch9wavefront6targetE0EEEvS11_
    .private_segment_fixed_size: 0
    .sgpr_count:     0
    .sgpr_spill_count: 0
    .symbol:         _ZN7rocprim17ROCPRIM_400000_NS6detail17trampoline_kernelINS0_14default_configENS1_21merge_config_selectorINS0_5tupleIJiiEEENS0_10empty_typeEEEZNS1_10merge_implIS3_NS0_12zip_iteratorINS5_IJN6thrust23THRUST_200600_302600_NS6detail15normal_iteratorINSC_10device_ptrIKiEEEESI_EEEEESK_NSA_INS5_IJNSC_16discard_iteratorINSC_11use_defaultEEESN_EEEEEPS7_SQ_SQ_NSC_11hip_rocprim7__merge17predicate_wrapperIiiNSC_4lessIiEEEEEE10hipError_tPvRmT0_T1_T2_T3_T4_T5_mmT6_P12ihipStream_tbEUlT_E_NS1_11comp_targetILNS1_3genE5ELNS1_11target_archE942ELNS1_3gpuE9ELNS1_3repE0EEENS1_30default_config_static_selectorELNS0_4arch9wavefront6targetE0EEEvS11_.kd
    .uniform_work_group_size: 1
    .uses_dynamic_stack: false
    .vgpr_count:     0
    .vgpr_spill_count: 0
    .wavefront_size: 32
  - .args:
      - .offset:         0
        .size:           64
        .value_kind:     by_value
    .group_segment_fixed_size: 0
    .kernarg_segment_align: 8
    .kernarg_segment_size: 64
    .language:       OpenCL C
    .language_version:
      - 2
      - 0
    .max_flat_workgroup_size: 256
    .name:           _ZN7rocprim17ROCPRIM_400000_NS6detail17trampoline_kernelINS0_14default_configENS1_21merge_config_selectorINS0_5tupleIJiiEEENS0_10empty_typeEEEZNS1_10merge_implIS3_NS0_12zip_iteratorINS5_IJN6thrust23THRUST_200600_302600_NS6detail15normal_iteratorINSC_10device_ptrIKiEEEESI_EEEEESK_NSA_INS5_IJNSC_16discard_iteratorINSC_11use_defaultEEESN_EEEEEPS7_SQ_SQ_NSC_11hip_rocprim7__merge17predicate_wrapperIiiNSC_4lessIiEEEEEE10hipError_tPvRmT0_T1_T2_T3_T4_T5_mmT6_P12ihipStream_tbEUlT_E_NS1_11comp_targetILNS1_3genE4ELNS1_11target_archE910ELNS1_3gpuE8ELNS1_3repE0EEENS1_30default_config_static_selectorELNS0_4arch9wavefront6targetE0EEEvS11_
    .private_segment_fixed_size: 0
    .sgpr_count:     0
    .sgpr_spill_count: 0
    .symbol:         _ZN7rocprim17ROCPRIM_400000_NS6detail17trampoline_kernelINS0_14default_configENS1_21merge_config_selectorINS0_5tupleIJiiEEENS0_10empty_typeEEEZNS1_10merge_implIS3_NS0_12zip_iteratorINS5_IJN6thrust23THRUST_200600_302600_NS6detail15normal_iteratorINSC_10device_ptrIKiEEEESI_EEEEESK_NSA_INS5_IJNSC_16discard_iteratorINSC_11use_defaultEEESN_EEEEEPS7_SQ_SQ_NSC_11hip_rocprim7__merge17predicate_wrapperIiiNSC_4lessIiEEEEEE10hipError_tPvRmT0_T1_T2_T3_T4_T5_mmT6_P12ihipStream_tbEUlT_E_NS1_11comp_targetILNS1_3genE4ELNS1_11target_archE910ELNS1_3gpuE8ELNS1_3repE0EEENS1_30default_config_static_selectorELNS0_4arch9wavefront6targetE0EEEvS11_.kd
    .uniform_work_group_size: 1
    .uses_dynamic_stack: false
    .vgpr_count:     0
    .vgpr_spill_count: 0
    .wavefront_size: 32
  - .args:
      - .offset:         0
        .size:           64
        .value_kind:     by_value
    .group_segment_fixed_size: 0
    .kernarg_segment_align: 8
    .kernarg_segment_size: 64
    .language:       OpenCL C
    .language_version:
      - 2
      - 0
    .max_flat_workgroup_size: 256
    .name:           _ZN7rocprim17ROCPRIM_400000_NS6detail17trampoline_kernelINS0_14default_configENS1_21merge_config_selectorINS0_5tupleIJiiEEENS0_10empty_typeEEEZNS1_10merge_implIS3_NS0_12zip_iteratorINS5_IJN6thrust23THRUST_200600_302600_NS6detail15normal_iteratorINSC_10device_ptrIKiEEEESI_EEEEESK_NSA_INS5_IJNSC_16discard_iteratorINSC_11use_defaultEEESN_EEEEEPS7_SQ_SQ_NSC_11hip_rocprim7__merge17predicate_wrapperIiiNSC_4lessIiEEEEEE10hipError_tPvRmT0_T1_T2_T3_T4_T5_mmT6_P12ihipStream_tbEUlT_E_NS1_11comp_targetILNS1_3genE3ELNS1_11target_archE908ELNS1_3gpuE7ELNS1_3repE0EEENS1_30default_config_static_selectorELNS0_4arch9wavefront6targetE0EEEvS11_
    .private_segment_fixed_size: 0
    .sgpr_count:     0
    .sgpr_spill_count: 0
    .symbol:         _ZN7rocprim17ROCPRIM_400000_NS6detail17trampoline_kernelINS0_14default_configENS1_21merge_config_selectorINS0_5tupleIJiiEEENS0_10empty_typeEEEZNS1_10merge_implIS3_NS0_12zip_iteratorINS5_IJN6thrust23THRUST_200600_302600_NS6detail15normal_iteratorINSC_10device_ptrIKiEEEESI_EEEEESK_NSA_INS5_IJNSC_16discard_iteratorINSC_11use_defaultEEESN_EEEEEPS7_SQ_SQ_NSC_11hip_rocprim7__merge17predicate_wrapperIiiNSC_4lessIiEEEEEE10hipError_tPvRmT0_T1_T2_T3_T4_T5_mmT6_P12ihipStream_tbEUlT_E_NS1_11comp_targetILNS1_3genE3ELNS1_11target_archE908ELNS1_3gpuE7ELNS1_3repE0EEENS1_30default_config_static_selectorELNS0_4arch9wavefront6targetE0EEEvS11_.kd
    .uniform_work_group_size: 1
    .uses_dynamic_stack: false
    .vgpr_count:     0
    .vgpr_spill_count: 0
    .wavefront_size: 32
  - .args:
      - .offset:         0
        .size:           64
        .value_kind:     by_value
    .group_segment_fixed_size: 0
    .kernarg_segment_align: 8
    .kernarg_segment_size: 64
    .language:       OpenCL C
    .language_version:
      - 2
      - 0
    .max_flat_workgroup_size: 256
    .name:           _ZN7rocprim17ROCPRIM_400000_NS6detail17trampoline_kernelINS0_14default_configENS1_21merge_config_selectorINS0_5tupleIJiiEEENS0_10empty_typeEEEZNS1_10merge_implIS3_NS0_12zip_iteratorINS5_IJN6thrust23THRUST_200600_302600_NS6detail15normal_iteratorINSC_10device_ptrIKiEEEESI_EEEEESK_NSA_INS5_IJNSC_16discard_iteratorINSC_11use_defaultEEESN_EEEEEPS7_SQ_SQ_NSC_11hip_rocprim7__merge17predicate_wrapperIiiNSC_4lessIiEEEEEE10hipError_tPvRmT0_T1_T2_T3_T4_T5_mmT6_P12ihipStream_tbEUlT_E_NS1_11comp_targetILNS1_3genE2ELNS1_11target_archE906ELNS1_3gpuE6ELNS1_3repE0EEENS1_30default_config_static_selectorELNS0_4arch9wavefront6targetE0EEEvS11_
    .private_segment_fixed_size: 0
    .sgpr_count:     0
    .sgpr_spill_count: 0
    .symbol:         _ZN7rocprim17ROCPRIM_400000_NS6detail17trampoline_kernelINS0_14default_configENS1_21merge_config_selectorINS0_5tupleIJiiEEENS0_10empty_typeEEEZNS1_10merge_implIS3_NS0_12zip_iteratorINS5_IJN6thrust23THRUST_200600_302600_NS6detail15normal_iteratorINSC_10device_ptrIKiEEEESI_EEEEESK_NSA_INS5_IJNSC_16discard_iteratorINSC_11use_defaultEEESN_EEEEEPS7_SQ_SQ_NSC_11hip_rocprim7__merge17predicate_wrapperIiiNSC_4lessIiEEEEEE10hipError_tPvRmT0_T1_T2_T3_T4_T5_mmT6_P12ihipStream_tbEUlT_E_NS1_11comp_targetILNS1_3genE2ELNS1_11target_archE906ELNS1_3gpuE6ELNS1_3repE0EEENS1_30default_config_static_selectorELNS0_4arch9wavefront6targetE0EEEvS11_.kd
    .uniform_work_group_size: 1
    .uses_dynamic_stack: false
    .vgpr_count:     0
    .vgpr_spill_count: 0
    .wavefront_size: 32
  - .args:
      - .offset:         0
        .size:           64
        .value_kind:     by_value
    .group_segment_fixed_size: 0
    .kernarg_segment_align: 8
    .kernarg_segment_size: 64
    .language:       OpenCL C
    .language_version:
      - 2
      - 0
    .max_flat_workgroup_size: 512
    .name:           _ZN7rocprim17ROCPRIM_400000_NS6detail17trampoline_kernelINS0_14default_configENS1_21merge_config_selectorINS0_5tupleIJiiEEENS0_10empty_typeEEEZNS1_10merge_implIS3_NS0_12zip_iteratorINS5_IJN6thrust23THRUST_200600_302600_NS6detail15normal_iteratorINSC_10device_ptrIKiEEEESI_EEEEESK_NSA_INS5_IJNSC_16discard_iteratorINSC_11use_defaultEEESN_EEEEEPS7_SQ_SQ_NSC_11hip_rocprim7__merge17predicate_wrapperIiiNSC_4lessIiEEEEEE10hipError_tPvRmT0_T1_T2_T3_T4_T5_mmT6_P12ihipStream_tbEUlT_E_NS1_11comp_targetILNS1_3genE10ELNS1_11target_archE1201ELNS1_3gpuE5ELNS1_3repE0EEENS1_30default_config_static_selectorELNS0_4arch9wavefront6targetE0EEEvS11_
    .private_segment_fixed_size: 0
    .sgpr_count:     0
    .sgpr_spill_count: 0
    .symbol:         _ZN7rocprim17ROCPRIM_400000_NS6detail17trampoline_kernelINS0_14default_configENS1_21merge_config_selectorINS0_5tupleIJiiEEENS0_10empty_typeEEEZNS1_10merge_implIS3_NS0_12zip_iteratorINS5_IJN6thrust23THRUST_200600_302600_NS6detail15normal_iteratorINSC_10device_ptrIKiEEEESI_EEEEESK_NSA_INS5_IJNSC_16discard_iteratorINSC_11use_defaultEEESN_EEEEEPS7_SQ_SQ_NSC_11hip_rocprim7__merge17predicate_wrapperIiiNSC_4lessIiEEEEEE10hipError_tPvRmT0_T1_T2_T3_T4_T5_mmT6_P12ihipStream_tbEUlT_E_NS1_11comp_targetILNS1_3genE10ELNS1_11target_archE1201ELNS1_3gpuE5ELNS1_3repE0EEENS1_30default_config_static_selectorELNS0_4arch9wavefront6targetE0EEEvS11_.kd
    .uniform_work_group_size: 1
    .uses_dynamic_stack: false
    .vgpr_count:     0
    .vgpr_spill_count: 0
    .wavefront_size: 32
  - .args:
      - .offset:         0
        .size:           64
        .value_kind:     by_value
    .group_segment_fixed_size: 0
    .kernarg_segment_align: 8
    .kernarg_segment_size: 64
    .language:       OpenCL C
    .language_version:
      - 2
      - 0
    .max_flat_workgroup_size: 1024
    .name:           _ZN7rocprim17ROCPRIM_400000_NS6detail17trampoline_kernelINS0_14default_configENS1_21merge_config_selectorINS0_5tupleIJiiEEENS0_10empty_typeEEEZNS1_10merge_implIS3_NS0_12zip_iteratorINS5_IJN6thrust23THRUST_200600_302600_NS6detail15normal_iteratorINSC_10device_ptrIKiEEEESI_EEEEESK_NSA_INS5_IJNSC_16discard_iteratorINSC_11use_defaultEEESN_EEEEEPS7_SQ_SQ_NSC_11hip_rocprim7__merge17predicate_wrapperIiiNSC_4lessIiEEEEEE10hipError_tPvRmT0_T1_T2_T3_T4_T5_mmT6_P12ihipStream_tbEUlT_E_NS1_11comp_targetILNS1_3genE10ELNS1_11target_archE1200ELNS1_3gpuE4ELNS1_3repE0EEENS1_30default_config_static_selectorELNS0_4arch9wavefront6targetE0EEEvS11_
    .private_segment_fixed_size: 0
    .sgpr_count:     0
    .sgpr_spill_count: 0
    .symbol:         _ZN7rocprim17ROCPRIM_400000_NS6detail17trampoline_kernelINS0_14default_configENS1_21merge_config_selectorINS0_5tupleIJiiEEENS0_10empty_typeEEEZNS1_10merge_implIS3_NS0_12zip_iteratorINS5_IJN6thrust23THRUST_200600_302600_NS6detail15normal_iteratorINSC_10device_ptrIKiEEEESI_EEEEESK_NSA_INS5_IJNSC_16discard_iteratorINSC_11use_defaultEEESN_EEEEEPS7_SQ_SQ_NSC_11hip_rocprim7__merge17predicate_wrapperIiiNSC_4lessIiEEEEEE10hipError_tPvRmT0_T1_T2_T3_T4_T5_mmT6_P12ihipStream_tbEUlT_E_NS1_11comp_targetILNS1_3genE10ELNS1_11target_archE1200ELNS1_3gpuE4ELNS1_3repE0EEENS1_30default_config_static_selectorELNS0_4arch9wavefront6targetE0EEEvS11_.kd
    .uniform_work_group_size: 1
    .uses_dynamic_stack: false
    .vgpr_count:     0
    .vgpr_spill_count: 0
    .wavefront_size: 32
  - .args:
      - .offset:         0
        .size:           64
        .value_kind:     by_value
    .group_segment_fixed_size: 0
    .kernarg_segment_align: 8
    .kernarg_segment_size: 64
    .language:       OpenCL C
    .language_version:
      - 2
      - 0
    .max_flat_workgroup_size: 1024
    .name:           _ZN7rocprim17ROCPRIM_400000_NS6detail17trampoline_kernelINS0_14default_configENS1_21merge_config_selectorINS0_5tupleIJiiEEENS0_10empty_typeEEEZNS1_10merge_implIS3_NS0_12zip_iteratorINS5_IJN6thrust23THRUST_200600_302600_NS6detail15normal_iteratorINSC_10device_ptrIKiEEEESI_EEEEESK_NSA_INS5_IJNSC_16discard_iteratorINSC_11use_defaultEEESN_EEEEEPS7_SQ_SQ_NSC_11hip_rocprim7__merge17predicate_wrapperIiiNSC_4lessIiEEEEEE10hipError_tPvRmT0_T1_T2_T3_T4_T5_mmT6_P12ihipStream_tbEUlT_E_NS1_11comp_targetILNS1_3genE9ELNS1_11target_archE1100ELNS1_3gpuE3ELNS1_3repE0EEENS1_30default_config_static_selectorELNS0_4arch9wavefront6targetE0EEEvS11_
    .private_segment_fixed_size: 0
    .sgpr_count:     0
    .sgpr_spill_count: 0
    .symbol:         _ZN7rocprim17ROCPRIM_400000_NS6detail17trampoline_kernelINS0_14default_configENS1_21merge_config_selectorINS0_5tupleIJiiEEENS0_10empty_typeEEEZNS1_10merge_implIS3_NS0_12zip_iteratorINS5_IJN6thrust23THRUST_200600_302600_NS6detail15normal_iteratorINSC_10device_ptrIKiEEEESI_EEEEESK_NSA_INS5_IJNSC_16discard_iteratorINSC_11use_defaultEEESN_EEEEEPS7_SQ_SQ_NSC_11hip_rocprim7__merge17predicate_wrapperIiiNSC_4lessIiEEEEEE10hipError_tPvRmT0_T1_T2_T3_T4_T5_mmT6_P12ihipStream_tbEUlT_E_NS1_11comp_targetILNS1_3genE9ELNS1_11target_archE1100ELNS1_3gpuE3ELNS1_3repE0EEENS1_30default_config_static_selectorELNS0_4arch9wavefront6targetE0EEEvS11_.kd
    .uniform_work_group_size: 1
    .uses_dynamic_stack: false
    .vgpr_count:     0
    .vgpr_spill_count: 0
    .wavefront_size: 32
  - .args:
      - .offset:         0
        .size:           64
        .value_kind:     by_value
    .group_segment_fixed_size: 0
    .kernarg_segment_align: 8
    .kernarg_segment_size: 64
    .language:       OpenCL C
    .language_version:
      - 2
      - 0
    .max_flat_workgroup_size: 256
    .name:           _ZN7rocprim17ROCPRIM_400000_NS6detail17trampoline_kernelINS0_14default_configENS1_21merge_config_selectorINS0_5tupleIJiiEEENS0_10empty_typeEEEZNS1_10merge_implIS3_NS0_12zip_iteratorINS5_IJN6thrust23THRUST_200600_302600_NS6detail15normal_iteratorINSC_10device_ptrIKiEEEESI_EEEEESK_NSA_INS5_IJNSC_16discard_iteratorINSC_11use_defaultEEESN_EEEEEPS7_SQ_SQ_NSC_11hip_rocprim7__merge17predicate_wrapperIiiNSC_4lessIiEEEEEE10hipError_tPvRmT0_T1_T2_T3_T4_T5_mmT6_P12ihipStream_tbEUlT_E_NS1_11comp_targetILNS1_3genE8ELNS1_11target_archE1030ELNS1_3gpuE2ELNS1_3repE0EEENS1_30default_config_static_selectorELNS0_4arch9wavefront6targetE0EEEvS11_
    .private_segment_fixed_size: 0
    .sgpr_count:     0
    .sgpr_spill_count: 0
    .symbol:         _ZN7rocprim17ROCPRIM_400000_NS6detail17trampoline_kernelINS0_14default_configENS1_21merge_config_selectorINS0_5tupleIJiiEEENS0_10empty_typeEEEZNS1_10merge_implIS3_NS0_12zip_iteratorINS5_IJN6thrust23THRUST_200600_302600_NS6detail15normal_iteratorINSC_10device_ptrIKiEEEESI_EEEEESK_NSA_INS5_IJNSC_16discard_iteratorINSC_11use_defaultEEESN_EEEEEPS7_SQ_SQ_NSC_11hip_rocprim7__merge17predicate_wrapperIiiNSC_4lessIiEEEEEE10hipError_tPvRmT0_T1_T2_T3_T4_T5_mmT6_P12ihipStream_tbEUlT_E_NS1_11comp_targetILNS1_3genE8ELNS1_11target_archE1030ELNS1_3gpuE2ELNS1_3repE0EEENS1_30default_config_static_selectorELNS0_4arch9wavefront6targetE0EEEvS11_.kd
    .uniform_work_group_size: 1
    .uses_dynamic_stack: false
    .vgpr_count:     0
    .vgpr_spill_count: 0
    .wavefront_size: 32
  - .args:
      - .offset:         0
        .size:           128
        .value_kind:     by_value
    .group_segment_fixed_size: 14352
    .kernarg_segment_align: 8
    .kernarg_segment_size: 128
    .language:       OpenCL C
    .language_version:
      - 2
      - 0
    .max_flat_workgroup_size: 256
    .name:           _ZN7rocprim17ROCPRIM_400000_NS6detail17trampoline_kernelINS0_14default_configENS1_21merge_config_selectorINS0_5tupleIJiiEEENS0_10empty_typeEEEZNS1_10merge_implIS3_NS0_12zip_iteratorINS5_IJN6thrust23THRUST_200600_302600_NS6detail15normal_iteratorINSC_10device_ptrIKiEEEESI_EEEEESK_NSA_INS5_IJNSC_16discard_iteratorINSC_11use_defaultEEESN_EEEEEPS7_SQ_SQ_NSC_11hip_rocprim7__merge17predicate_wrapperIiiNSC_4lessIiEEEEEE10hipError_tPvRmT0_T1_T2_T3_T4_T5_mmT6_P12ihipStream_tbEUlT_E0_NS1_11comp_targetILNS1_3genE0ELNS1_11target_archE4294967295ELNS1_3gpuE0ELNS1_3repE0EEENS1_30default_config_static_selectorELNS0_4arch9wavefront6targetE0EEEvS11_
    .private_segment_fixed_size: 0
    .sgpr_count:     24
    .sgpr_spill_count: 0
    .symbol:         _ZN7rocprim17ROCPRIM_400000_NS6detail17trampoline_kernelINS0_14default_configENS1_21merge_config_selectorINS0_5tupleIJiiEEENS0_10empty_typeEEEZNS1_10merge_implIS3_NS0_12zip_iteratorINS5_IJN6thrust23THRUST_200600_302600_NS6detail15normal_iteratorINSC_10device_ptrIKiEEEESI_EEEEESK_NSA_INS5_IJNSC_16discard_iteratorINSC_11use_defaultEEESN_EEEEEPS7_SQ_SQ_NSC_11hip_rocprim7__merge17predicate_wrapperIiiNSC_4lessIiEEEEEE10hipError_tPvRmT0_T1_T2_T3_T4_T5_mmT6_P12ihipStream_tbEUlT_E0_NS1_11comp_targetILNS1_3genE0ELNS1_11target_archE4294967295ELNS1_3gpuE0ELNS1_3repE0EEENS1_30default_config_static_selectorELNS0_4arch9wavefront6targetE0EEEvS11_.kd
    .uniform_work_group_size: 1
    .uses_dynamic_stack: false
    .vgpr_count:     28
    .vgpr_spill_count: 0
    .wavefront_size: 32
  - .args:
      - .offset:         0
        .size:           128
        .value_kind:     by_value
    .group_segment_fixed_size: 0
    .kernarg_segment_align: 8
    .kernarg_segment_size: 128
    .language:       OpenCL C
    .language_version:
      - 2
      - 0
    .max_flat_workgroup_size: 256
    .name:           _ZN7rocprim17ROCPRIM_400000_NS6detail17trampoline_kernelINS0_14default_configENS1_21merge_config_selectorINS0_5tupleIJiiEEENS0_10empty_typeEEEZNS1_10merge_implIS3_NS0_12zip_iteratorINS5_IJN6thrust23THRUST_200600_302600_NS6detail15normal_iteratorINSC_10device_ptrIKiEEEESI_EEEEESK_NSA_INS5_IJNSC_16discard_iteratorINSC_11use_defaultEEESN_EEEEEPS7_SQ_SQ_NSC_11hip_rocprim7__merge17predicate_wrapperIiiNSC_4lessIiEEEEEE10hipError_tPvRmT0_T1_T2_T3_T4_T5_mmT6_P12ihipStream_tbEUlT_E0_NS1_11comp_targetILNS1_3genE5ELNS1_11target_archE942ELNS1_3gpuE9ELNS1_3repE0EEENS1_30default_config_static_selectorELNS0_4arch9wavefront6targetE0EEEvS11_
    .private_segment_fixed_size: 0
    .sgpr_count:     0
    .sgpr_spill_count: 0
    .symbol:         _ZN7rocprim17ROCPRIM_400000_NS6detail17trampoline_kernelINS0_14default_configENS1_21merge_config_selectorINS0_5tupleIJiiEEENS0_10empty_typeEEEZNS1_10merge_implIS3_NS0_12zip_iteratorINS5_IJN6thrust23THRUST_200600_302600_NS6detail15normal_iteratorINSC_10device_ptrIKiEEEESI_EEEEESK_NSA_INS5_IJNSC_16discard_iteratorINSC_11use_defaultEEESN_EEEEEPS7_SQ_SQ_NSC_11hip_rocprim7__merge17predicate_wrapperIiiNSC_4lessIiEEEEEE10hipError_tPvRmT0_T1_T2_T3_T4_T5_mmT6_P12ihipStream_tbEUlT_E0_NS1_11comp_targetILNS1_3genE5ELNS1_11target_archE942ELNS1_3gpuE9ELNS1_3repE0EEENS1_30default_config_static_selectorELNS0_4arch9wavefront6targetE0EEEvS11_.kd
    .uniform_work_group_size: 1
    .uses_dynamic_stack: false
    .vgpr_count:     0
    .vgpr_spill_count: 0
    .wavefront_size: 32
  - .args:
      - .offset:         0
        .size:           128
        .value_kind:     by_value
    .group_segment_fixed_size: 0
    .kernarg_segment_align: 8
    .kernarg_segment_size: 128
    .language:       OpenCL C
    .language_version:
      - 2
      - 0
    .max_flat_workgroup_size: 256
    .name:           _ZN7rocprim17ROCPRIM_400000_NS6detail17trampoline_kernelINS0_14default_configENS1_21merge_config_selectorINS0_5tupleIJiiEEENS0_10empty_typeEEEZNS1_10merge_implIS3_NS0_12zip_iteratorINS5_IJN6thrust23THRUST_200600_302600_NS6detail15normal_iteratorINSC_10device_ptrIKiEEEESI_EEEEESK_NSA_INS5_IJNSC_16discard_iteratorINSC_11use_defaultEEESN_EEEEEPS7_SQ_SQ_NSC_11hip_rocprim7__merge17predicate_wrapperIiiNSC_4lessIiEEEEEE10hipError_tPvRmT0_T1_T2_T3_T4_T5_mmT6_P12ihipStream_tbEUlT_E0_NS1_11comp_targetILNS1_3genE4ELNS1_11target_archE910ELNS1_3gpuE8ELNS1_3repE0EEENS1_30default_config_static_selectorELNS0_4arch9wavefront6targetE0EEEvS11_
    .private_segment_fixed_size: 0
    .sgpr_count:     0
    .sgpr_spill_count: 0
    .symbol:         _ZN7rocprim17ROCPRIM_400000_NS6detail17trampoline_kernelINS0_14default_configENS1_21merge_config_selectorINS0_5tupleIJiiEEENS0_10empty_typeEEEZNS1_10merge_implIS3_NS0_12zip_iteratorINS5_IJN6thrust23THRUST_200600_302600_NS6detail15normal_iteratorINSC_10device_ptrIKiEEEESI_EEEEESK_NSA_INS5_IJNSC_16discard_iteratorINSC_11use_defaultEEESN_EEEEEPS7_SQ_SQ_NSC_11hip_rocprim7__merge17predicate_wrapperIiiNSC_4lessIiEEEEEE10hipError_tPvRmT0_T1_T2_T3_T4_T5_mmT6_P12ihipStream_tbEUlT_E0_NS1_11comp_targetILNS1_3genE4ELNS1_11target_archE910ELNS1_3gpuE8ELNS1_3repE0EEENS1_30default_config_static_selectorELNS0_4arch9wavefront6targetE0EEEvS11_.kd
    .uniform_work_group_size: 1
    .uses_dynamic_stack: false
    .vgpr_count:     0
    .vgpr_spill_count: 0
    .wavefront_size: 32
  - .args:
      - .offset:         0
        .size:           128
        .value_kind:     by_value
    .group_segment_fixed_size: 0
    .kernarg_segment_align: 8
    .kernarg_segment_size: 128
    .language:       OpenCL C
    .language_version:
      - 2
      - 0
    .max_flat_workgroup_size: 256
    .name:           _ZN7rocprim17ROCPRIM_400000_NS6detail17trampoline_kernelINS0_14default_configENS1_21merge_config_selectorINS0_5tupleIJiiEEENS0_10empty_typeEEEZNS1_10merge_implIS3_NS0_12zip_iteratorINS5_IJN6thrust23THRUST_200600_302600_NS6detail15normal_iteratorINSC_10device_ptrIKiEEEESI_EEEEESK_NSA_INS5_IJNSC_16discard_iteratorINSC_11use_defaultEEESN_EEEEEPS7_SQ_SQ_NSC_11hip_rocprim7__merge17predicate_wrapperIiiNSC_4lessIiEEEEEE10hipError_tPvRmT0_T1_T2_T3_T4_T5_mmT6_P12ihipStream_tbEUlT_E0_NS1_11comp_targetILNS1_3genE3ELNS1_11target_archE908ELNS1_3gpuE7ELNS1_3repE0EEENS1_30default_config_static_selectorELNS0_4arch9wavefront6targetE0EEEvS11_
    .private_segment_fixed_size: 0
    .sgpr_count:     0
    .sgpr_spill_count: 0
    .symbol:         _ZN7rocprim17ROCPRIM_400000_NS6detail17trampoline_kernelINS0_14default_configENS1_21merge_config_selectorINS0_5tupleIJiiEEENS0_10empty_typeEEEZNS1_10merge_implIS3_NS0_12zip_iteratorINS5_IJN6thrust23THRUST_200600_302600_NS6detail15normal_iteratorINSC_10device_ptrIKiEEEESI_EEEEESK_NSA_INS5_IJNSC_16discard_iteratorINSC_11use_defaultEEESN_EEEEEPS7_SQ_SQ_NSC_11hip_rocprim7__merge17predicate_wrapperIiiNSC_4lessIiEEEEEE10hipError_tPvRmT0_T1_T2_T3_T4_T5_mmT6_P12ihipStream_tbEUlT_E0_NS1_11comp_targetILNS1_3genE3ELNS1_11target_archE908ELNS1_3gpuE7ELNS1_3repE0EEENS1_30default_config_static_selectorELNS0_4arch9wavefront6targetE0EEEvS11_.kd
    .uniform_work_group_size: 1
    .uses_dynamic_stack: false
    .vgpr_count:     0
    .vgpr_spill_count: 0
    .wavefront_size: 32
  - .args:
      - .offset:         0
        .size:           128
        .value_kind:     by_value
    .group_segment_fixed_size: 0
    .kernarg_segment_align: 8
    .kernarg_segment_size: 128
    .language:       OpenCL C
    .language_version:
      - 2
      - 0
    .max_flat_workgroup_size: 256
    .name:           _ZN7rocprim17ROCPRIM_400000_NS6detail17trampoline_kernelINS0_14default_configENS1_21merge_config_selectorINS0_5tupleIJiiEEENS0_10empty_typeEEEZNS1_10merge_implIS3_NS0_12zip_iteratorINS5_IJN6thrust23THRUST_200600_302600_NS6detail15normal_iteratorINSC_10device_ptrIKiEEEESI_EEEEESK_NSA_INS5_IJNSC_16discard_iteratorINSC_11use_defaultEEESN_EEEEEPS7_SQ_SQ_NSC_11hip_rocprim7__merge17predicate_wrapperIiiNSC_4lessIiEEEEEE10hipError_tPvRmT0_T1_T2_T3_T4_T5_mmT6_P12ihipStream_tbEUlT_E0_NS1_11comp_targetILNS1_3genE2ELNS1_11target_archE906ELNS1_3gpuE6ELNS1_3repE0EEENS1_30default_config_static_selectorELNS0_4arch9wavefront6targetE0EEEvS11_
    .private_segment_fixed_size: 0
    .sgpr_count:     0
    .sgpr_spill_count: 0
    .symbol:         _ZN7rocprim17ROCPRIM_400000_NS6detail17trampoline_kernelINS0_14default_configENS1_21merge_config_selectorINS0_5tupleIJiiEEENS0_10empty_typeEEEZNS1_10merge_implIS3_NS0_12zip_iteratorINS5_IJN6thrust23THRUST_200600_302600_NS6detail15normal_iteratorINSC_10device_ptrIKiEEEESI_EEEEESK_NSA_INS5_IJNSC_16discard_iteratorINSC_11use_defaultEEESN_EEEEEPS7_SQ_SQ_NSC_11hip_rocprim7__merge17predicate_wrapperIiiNSC_4lessIiEEEEEE10hipError_tPvRmT0_T1_T2_T3_T4_T5_mmT6_P12ihipStream_tbEUlT_E0_NS1_11comp_targetILNS1_3genE2ELNS1_11target_archE906ELNS1_3gpuE6ELNS1_3repE0EEENS1_30default_config_static_selectorELNS0_4arch9wavefront6targetE0EEEvS11_.kd
    .uniform_work_group_size: 1
    .uses_dynamic_stack: false
    .vgpr_count:     0
    .vgpr_spill_count: 0
    .wavefront_size: 32
  - .args:
      - .offset:         0
        .size:           128
        .value_kind:     by_value
    .group_segment_fixed_size: 0
    .kernarg_segment_align: 8
    .kernarg_segment_size: 128
    .language:       OpenCL C
    .language_version:
      - 2
      - 0
    .max_flat_workgroup_size: 512
    .name:           _ZN7rocprim17ROCPRIM_400000_NS6detail17trampoline_kernelINS0_14default_configENS1_21merge_config_selectorINS0_5tupleIJiiEEENS0_10empty_typeEEEZNS1_10merge_implIS3_NS0_12zip_iteratorINS5_IJN6thrust23THRUST_200600_302600_NS6detail15normal_iteratorINSC_10device_ptrIKiEEEESI_EEEEESK_NSA_INS5_IJNSC_16discard_iteratorINSC_11use_defaultEEESN_EEEEEPS7_SQ_SQ_NSC_11hip_rocprim7__merge17predicate_wrapperIiiNSC_4lessIiEEEEEE10hipError_tPvRmT0_T1_T2_T3_T4_T5_mmT6_P12ihipStream_tbEUlT_E0_NS1_11comp_targetILNS1_3genE10ELNS1_11target_archE1201ELNS1_3gpuE5ELNS1_3repE0EEENS1_30default_config_static_selectorELNS0_4arch9wavefront6targetE0EEEvS11_
    .private_segment_fixed_size: 0
    .sgpr_count:     0
    .sgpr_spill_count: 0
    .symbol:         _ZN7rocprim17ROCPRIM_400000_NS6detail17trampoline_kernelINS0_14default_configENS1_21merge_config_selectorINS0_5tupleIJiiEEENS0_10empty_typeEEEZNS1_10merge_implIS3_NS0_12zip_iteratorINS5_IJN6thrust23THRUST_200600_302600_NS6detail15normal_iteratorINSC_10device_ptrIKiEEEESI_EEEEESK_NSA_INS5_IJNSC_16discard_iteratorINSC_11use_defaultEEESN_EEEEEPS7_SQ_SQ_NSC_11hip_rocprim7__merge17predicate_wrapperIiiNSC_4lessIiEEEEEE10hipError_tPvRmT0_T1_T2_T3_T4_T5_mmT6_P12ihipStream_tbEUlT_E0_NS1_11comp_targetILNS1_3genE10ELNS1_11target_archE1201ELNS1_3gpuE5ELNS1_3repE0EEENS1_30default_config_static_selectorELNS0_4arch9wavefront6targetE0EEEvS11_.kd
    .uniform_work_group_size: 1
    .uses_dynamic_stack: false
    .vgpr_count:     0
    .vgpr_spill_count: 0
    .wavefront_size: 32
  - .args:
      - .offset:         0
        .size:           128
        .value_kind:     by_value
    .group_segment_fixed_size: 0
    .kernarg_segment_align: 8
    .kernarg_segment_size: 128
    .language:       OpenCL C
    .language_version:
      - 2
      - 0
    .max_flat_workgroup_size: 1024
    .name:           _ZN7rocprim17ROCPRIM_400000_NS6detail17trampoline_kernelINS0_14default_configENS1_21merge_config_selectorINS0_5tupleIJiiEEENS0_10empty_typeEEEZNS1_10merge_implIS3_NS0_12zip_iteratorINS5_IJN6thrust23THRUST_200600_302600_NS6detail15normal_iteratorINSC_10device_ptrIKiEEEESI_EEEEESK_NSA_INS5_IJNSC_16discard_iteratorINSC_11use_defaultEEESN_EEEEEPS7_SQ_SQ_NSC_11hip_rocprim7__merge17predicate_wrapperIiiNSC_4lessIiEEEEEE10hipError_tPvRmT0_T1_T2_T3_T4_T5_mmT6_P12ihipStream_tbEUlT_E0_NS1_11comp_targetILNS1_3genE10ELNS1_11target_archE1200ELNS1_3gpuE4ELNS1_3repE0EEENS1_30default_config_static_selectorELNS0_4arch9wavefront6targetE0EEEvS11_
    .private_segment_fixed_size: 0
    .sgpr_count:     0
    .sgpr_spill_count: 0
    .symbol:         _ZN7rocprim17ROCPRIM_400000_NS6detail17trampoline_kernelINS0_14default_configENS1_21merge_config_selectorINS0_5tupleIJiiEEENS0_10empty_typeEEEZNS1_10merge_implIS3_NS0_12zip_iteratorINS5_IJN6thrust23THRUST_200600_302600_NS6detail15normal_iteratorINSC_10device_ptrIKiEEEESI_EEEEESK_NSA_INS5_IJNSC_16discard_iteratorINSC_11use_defaultEEESN_EEEEEPS7_SQ_SQ_NSC_11hip_rocprim7__merge17predicate_wrapperIiiNSC_4lessIiEEEEEE10hipError_tPvRmT0_T1_T2_T3_T4_T5_mmT6_P12ihipStream_tbEUlT_E0_NS1_11comp_targetILNS1_3genE10ELNS1_11target_archE1200ELNS1_3gpuE4ELNS1_3repE0EEENS1_30default_config_static_selectorELNS0_4arch9wavefront6targetE0EEEvS11_.kd
    .uniform_work_group_size: 1
    .uses_dynamic_stack: false
    .vgpr_count:     0
    .vgpr_spill_count: 0
    .wavefront_size: 32
  - .args:
      - .offset:         0
        .size:           128
        .value_kind:     by_value
    .group_segment_fixed_size: 0
    .kernarg_segment_align: 8
    .kernarg_segment_size: 128
    .language:       OpenCL C
    .language_version:
      - 2
      - 0
    .max_flat_workgroup_size: 1024
    .name:           _ZN7rocprim17ROCPRIM_400000_NS6detail17trampoline_kernelINS0_14default_configENS1_21merge_config_selectorINS0_5tupleIJiiEEENS0_10empty_typeEEEZNS1_10merge_implIS3_NS0_12zip_iteratorINS5_IJN6thrust23THRUST_200600_302600_NS6detail15normal_iteratorINSC_10device_ptrIKiEEEESI_EEEEESK_NSA_INS5_IJNSC_16discard_iteratorINSC_11use_defaultEEESN_EEEEEPS7_SQ_SQ_NSC_11hip_rocprim7__merge17predicate_wrapperIiiNSC_4lessIiEEEEEE10hipError_tPvRmT0_T1_T2_T3_T4_T5_mmT6_P12ihipStream_tbEUlT_E0_NS1_11comp_targetILNS1_3genE9ELNS1_11target_archE1100ELNS1_3gpuE3ELNS1_3repE0EEENS1_30default_config_static_selectorELNS0_4arch9wavefront6targetE0EEEvS11_
    .private_segment_fixed_size: 0
    .sgpr_count:     0
    .sgpr_spill_count: 0
    .symbol:         _ZN7rocprim17ROCPRIM_400000_NS6detail17trampoline_kernelINS0_14default_configENS1_21merge_config_selectorINS0_5tupleIJiiEEENS0_10empty_typeEEEZNS1_10merge_implIS3_NS0_12zip_iteratorINS5_IJN6thrust23THRUST_200600_302600_NS6detail15normal_iteratorINSC_10device_ptrIKiEEEESI_EEEEESK_NSA_INS5_IJNSC_16discard_iteratorINSC_11use_defaultEEESN_EEEEEPS7_SQ_SQ_NSC_11hip_rocprim7__merge17predicate_wrapperIiiNSC_4lessIiEEEEEE10hipError_tPvRmT0_T1_T2_T3_T4_T5_mmT6_P12ihipStream_tbEUlT_E0_NS1_11comp_targetILNS1_3genE9ELNS1_11target_archE1100ELNS1_3gpuE3ELNS1_3repE0EEENS1_30default_config_static_selectorELNS0_4arch9wavefront6targetE0EEEvS11_.kd
    .uniform_work_group_size: 1
    .uses_dynamic_stack: false
    .vgpr_count:     0
    .vgpr_spill_count: 0
    .wavefront_size: 32
  - .args:
      - .offset:         0
        .size:           128
        .value_kind:     by_value
    .group_segment_fixed_size: 0
    .kernarg_segment_align: 8
    .kernarg_segment_size: 128
    .language:       OpenCL C
    .language_version:
      - 2
      - 0
    .max_flat_workgroup_size: 256
    .name:           _ZN7rocprim17ROCPRIM_400000_NS6detail17trampoline_kernelINS0_14default_configENS1_21merge_config_selectorINS0_5tupleIJiiEEENS0_10empty_typeEEEZNS1_10merge_implIS3_NS0_12zip_iteratorINS5_IJN6thrust23THRUST_200600_302600_NS6detail15normal_iteratorINSC_10device_ptrIKiEEEESI_EEEEESK_NSA_INS5_IJNSC_16discard_iteratorINSC_11use_defaultEEESN_EEEEEPS7_SQ_SQ_NSC_11hip_rocprim7__merge17predicate_wrapperIiiNSC_4lessIiEEEEEE10hipError_tPvRmT0_T1_T2_T3_T4_T5_mmT6_P12ihipStream_tbEUlT_E0_NS1_11comp_targetILNS1_3genE8ELNS1_11target_archE1030ELNS1_3gpuE2ELNS1_3repE0EEENS1_30default_config_static_selectorELNS0_4arch9wavefront6targetE0EEEvS11_
    .private_segment_fixed_size: 0
    .sgpr_count:     0
    .sgpr_spill_count: 0
    .symbol:         _ZN7rocprim17ROCPRIM_400000_NS6detail17trampoline_kernelINS0_14default_configENS1_21merge_config_selectorINS0_5tupleIJiiEEENS0_10empty_typeEEEZNS1_10merge_implIS3_NS0_12zip_iteratorINS5_IJN6thrust23THRUST_200600_302600_NS6detail15normal_iteratorINSC_10device_ptrIKiEEEESI_EEEEESK_NSA_INS5_IJNSC_16discard_iteratorINSC_11use_defaultEEESN_EEEEEPS7_SQ_SQ_NSC_11hip_rocprim7__merge17predicate_wrapperIiiNSC_4lessIiEEEEEE10hipError_tPvRmT0_T1_T2_T3_T4_T5_mmT6_P12ihipStream_tbEUlT_E0_NS1_11comp_targetILNS1_3genE8ELNS1_11target_archE1030ELNS1_3gpuE2ELNS1_3repE0EEENS1_30default_config_static_selectorELNS0_4arch9wavefront6targetE0EEEvS11_.kd
    .uniform_work_group_size: 1
    .uses_dynamic_stack: false
    .vgpr_count:     0
    .vgpr_spill_count: 0
    .wavefront_size: 32
  - .args:
      - .offset:         0
        .size:           64
        .value_kind:     by_value
      - .offset:         64
        .size:           4
        .value_kind:     hidden_block_count_x
      - .offset:         68
        .size:           4
        .value_kind:     hidden_block_count_y
      - .offset:         72
        .size:           4
        .value_kind:     hidden_block_count_z
      - .offset:         76
        .size:           2
        .value_kind:     hidden_group_size_x
      - .offset:         78
        .size:           2
        .value_kind:     hidden_group_size_y
      - .offset:         80
        .size:           2
        .value_kind:     hidden_group_size_z
      - .offset:         82
        .size:           2
        .value_kind:     hidden_remainder_x
      - .offset:         84
        .size:           2
        .value_kind:     hidden_remainder_y
      - .offset:         86
        .size:           2
        .value_kind:     hidden_remainder_z
      - .offset:         104
        .size:           8
        .value_kind:     hidden_global_offset_x
      - .offset:         112
        .size:           8
        .value_kind:     hidden_global_offset_y
      - .offset:         120
        .size:           8
        .value_kind:     hidden_global_offset_z
      - .offset:         128
        .size:           2
        .value_kind:     hidden_grid_dims
    .group_segment_fixed_size: 0
    .kernarg_segment_align: 8
    .kernarg_segment_size: 320
    .language:       OpenCL C
    .language_version:
      - 2
      - 0
    .max_flat_workgroup_size: 256
    .name:           _ZN7rocprim17ROCPRIM_400000_NS6detail17trampoline_kernelINS0_14default_configENS1_21merge_config_selectorINS0_5tupleIJssEEENS0_10empty_typeEEEZNS1_10merge_implIS3_NS0_12zip_iteratorINS5_IJN6thrust23THRUST_200600_302600_NS6detail15normal_iteratorINSC_10device_ptrIKsEEEESI_EEEEESK_NSA_INS5_IJNSC_16discard_iteratorINSC_11use_defaultEEESN_EEEEEPS7_SQ_SQ_NSC_11hip_rocprim7__merge17predicate_wrapperIssNSC_4lessIsEEEEEE10hipError_tPvRmT0_T1_T2_T3_T4_T5_mmT6_P12ihipStream_tbEUlT_E_NS1_11comp_targetILNS1_3genE0ELNS1_11target_archE4294967295ELNS1_3gpuE0ELNS1_3repE0EEENS1_30default_config_static_selectorELNS0_4arch9wavefront6targetE0EEEvS11_
    .private_segment_fixed_size: 0
    .sgpr_count:     16
    .sgpr_spill_count: 0
    .symbol:         _ZN7rocprim17ROCPRIM_400000_NS6detail17trampoline_kernelINS0_14default_configENS1_21merge_config_selectorINS0_5tupleIJssEEENS0_10empty_typeEEEZNS1_10merge_implIS3_NS0_12zip_iteratorINS5_IJN6thrust23THRUST_200600_302600_NS6detail15normal_iteratorINSC_10device_ptrIKsEEEESI_EEEEESK_NSA_INS5_IJNSC_16discard_iteratorINSC_11use_defaultEEESN_EEEEEPS7_SQ_SQ_NSC_11hip_rocprim7__merge17predicate_wrapperIssNSC_4lessIsEEEEEE10hipError_tPvRmT0_T1_T2_T3_T4_T5_mmT6_P12ihipStream_tbEUlT_E_NS1_11comp_targetILNS1_3genE0ELNS1_11target_archE4294967295ELNS1_3gpuE0ELNS1_3repE0EEENS1_30default_config_static_selectorELNS0_4arch9wavefront6targetE0EEEvS11_.kd
    .uniform_work_group_size: 1
    .uses_dynamic_stack: false
    .vgpr_count:     15
    .vgpr_spill_count: 0
    .wavefront_size: 32
  - .args:
      - .offset:         0
        .size:           64
        .value_kind:     by_value
    .group_segment_fixed_size: 0
    .kernarg_segment_align: 8
    .kernarg_segment_size: 64
    .language:       OpenCL C
    .language_version:
      - 2
      - 0
    .max_flat_workgroup_size: 256
    .name:           _ZN7rocprim17ROCPRIM_400000_NS6detail17trampoline_kernelINS0_14default_configENS1_21merge_config_selectorINS0_5tupleIJssEEENS0_10empty_typeEEEZNS1_10merge_implIS3_NS0_12zip_iteratorINS5_IJN6thrust23THRUST_200600_302600_NS6detail15normal_iteratorINSC_10device_ptrIKsEEEESI_EEEEESK_NSA_INS5_IJNSC_16discard_iteratorINSC_11use_defaultEEESN_EEEEEPS7_SQ_SQ_NSC_11hip_rocprim7__merge17predicate_wrapperIssNSC_4lessIsEEEEEE10hipError_tPvRmT0_T1_T2_T3_T4_T5_mmT6_P12ihipStream_tbEUlT_E_NS1_11comp_targetILNS1_3genE5ELNS1_11target_archE942ELNS1_3gpuE9ELNS1_3repE0EEENS1_30default_config_static_selectorELNS0_4arch9wavefront6targetE0EEEvS11_
    .private_segment_fixed_size: 0
    .sgpr_count:     0
    .sgpr_spill_count: 0
    .symbol:         _ZN7rocprim17ROCPRIM_400000_NS6detail17trampoline_kernelINS0_14default_configENS1_21merge_config_selectorINS0_5tupleIJssEEENS0_10empty_typeEEEZNS1_10merge_implIS3_NS0_12zip_iteratorINS5_IJN6thrust23THRUST_200600_302600_NS6detail15normal_iteratorINSC_10device_ptrIKsEEEESI_EEEEESK_NSA_INS5_IJNSC_16discard_iteratorINSC_11use_defaultEEESN_EEEEEPS7_SQ_SQ_NSC_11hip_rocprim7__merge17predicate_wrapperIssNSC_4lessIsEEEEEE10hipError_tPvRmT0_T1_T2_T3_T4_T5_mmT6_P12ihipStream_tbEUlT_E_NS1_11comp_targetILNS1_3genE5ELNS1_11target_archE942ELNS1_3gpuE9ELNS1_3repE0EEENS1_30default_config_static_selectorELNS0_4arch9wavefront6targetE0EEEvS11_.kd
    .uniform_work_group_size: 1
    .uses_dynamic_stack: false
    .vgpr_count:     0
    .vgpr_spill_count: 0
    .wavefront_size: 32
  - .args:
      - .offset:         0
        .size:           64
        .value_kind:     by_value
    .group_segment_fixed_size: 0
    .kernarg_segment_align: 8
    .kernarg_segment_size: 64
    .language:       OpenCL C
    .language_version:
      - 2
      - 0
    .max_flat_workgroup_size: 256
    .name:           _ZN7rocprim17ROCPRIM_400000_NS6detail17trampoline_kernelINS0_14default_configENS1_21merge_config_selectorINS0_5tupleIJssEEENS0_10empty_typeEEEZNS1_10merge_implIS3_NS0_12zip_iteratorINS5_IJN6thrust23THRUST_200600_302600_NS6detail15normal_iteratorINSC_10device_ptrIKsEEEESI_EEEEESK_NSA_INS5_IJNSC_16discard_iteratorINSC_11use_defaultEEESN_EEEEEPS7_SQ_SQ_NSC_11hip_rocprim7__merge17predicate_wrapperIssNSC_4lessIsEEEEEE10hipError_tPvRmT0_T1_T2_T3_T4_T5_mmT6_P12ihipStream_tbEUlT_E_NS1_11comp_targetILNS1_3genE4ELNS1_11target_archE910ELNS1_3gpuE8ELNS1_3repE0EEENS1_30default_config_static_selectorELNS0_4arch9wavefront6targetE0EEEvS11_
    .private_segment_fixed_size: 0
    .sgpr_count:     0
    .sgpr_spill_count: 0
    .symbol:         _ZN7rocprim17ROCPRIM_400000_NS6detail17trampoline_kernelINS0_14default_configENS1_21merge_config_selectorINS0_5tupleIJssEEENS0_10empty_typeEEEZNS1_10merge_implIS3_NS0_12zip_iteratorINS5_IJN6thrust23THRUST_200600_302600_NS6detail15normal_iteratorINSC_10device_ptrIKsEEEESI_EEEEESK_NSA_INS5_IJNSC_16discard_iteratorINSC_11use_defaultEEESN_EEEEEPS7_SQ_SQ_NSC_11hip_rocprim7__merge17predicate_wrapperIssNSC_4lessIsEEEEEE10hipError_tPvRmT0_T1_T2_T3_T4_T5_mmT6_P12ihipStream_tbEUlT_E_NS1_11comp_targetILNS1_3genE4ELNS1_11target_archE910ELNS1_3gpuE8ELNS1_3repE0EEENS1_30default_config_static_selectorELNS0_4arch9wavefront6targetE0EEEvS11_.kd
    .uniform_work_group_size: 1
    .uses_dynamic_stack: false
    .vgpr_count:     0
    .vgpr_spill_count: 0
    .wavefront_size: 32
  - .args:
      - .offset:         0
        .size:           64
        .value_kind:     by_value
    .group_segment_fixed_size: 0
    .kernarg_segment_align: 8
    .kernarg_segment_size: 64
    .language:       OpenCL C
    .language_version:
      - 2
      - 0
    .max_flat_workgroup_size: 256
    .name:           _ZN7rocprim17ROCPRIM_400000_NS6detail17trampoline_kernelINS0_14default_configENS1_21merge_config_selectorINS0_5tupleIJssEEENS0_10empty_typeEEEZNS1_10merge_implIS3_NS0_12zip_iteratorINS5_IJN6thrust23THRUST_200600_302600_NS6detail15normal_iteratorINSC_10device_ptrIKsEEEESI_EEEEESK_NSA_INS5_IJNSC_16discard_iteratorINSC_11use_defaultEEESN_EEEEEPS7_SQ_SQ_NSC_11hip_rocprim7__merge17predicate_wrapperIssNSC_4lessIsEEEEEE10hipError_tPvRmT0_T1_T2_T3_T4_T5_mmT6_P12ihipStream_tbEUlT_E_NS1_11comp_targetILNS1_3genE3ELNS1_11target_archE908ELNS1_3gpuE7ELNS1_3repE0EEENS1_30default_config_static_selectorELNS0_4arch9wavefront6targetE0EEEvS11_
    .private_segment_fixed_size: 0
    .sgpr_count:     0
    .sgpr_spill_count: 0
    .symbol:         _ZN7rocprim17ROCPRIM_400000_NS6detail17trampoline_kernelINS0_14default_configENS1_21merge_config_selectorINS0_5tupleIJssEEENS0_10empty_typeEEEZNS1_10merge_implIS3_NS0_12zip_iteratorINS5_IJN6thrust23THRUST_200600_302600_NS6detail15normal_iteratorINSC_10device_ptrIKsEEEESI_EEEEESK_NSA_INS5_IJNSC_16discard_iteratorINSC_11use_defaultEEESN_EEEEEPS7_SQ_SQ_NSC_11hip_rocprim7__merge17predicate_wrapperIssNSC_4lessIsEEEEEE10hipError_tPvRmT0_T1_T2_T3_T4_T5_mmT6_P12ihipStream_tbEUlT_E_NS1_11comp_targetILNS1_3genE3ELNS1_11target_archE908ELNS1_3gpuE7ELNS1_3repE0EEENS1_30default_config_static_selectorELNS0_4arch9wavefront6targetE0EEEvS11_.kd
    .uniform_work_group_size: 1
    .uses_dynamic_stack: false
    .vgpr_count:     0
    .vgpr_spill_count: 0
    .wavefront_size: 32
  - .args:
      - .offset:         0
        .size:           64
        .value_kind:     by_value
    .group_segment_fixed_size: 0
    .kernarg_segment_align: 8
    .kernarg_segment_size: 64
    .language:       OpenCL C
    .language_version:
      - 2
      - 0
    .max_flat_workgroup_size: 256
    .name:           _ZN7rocprim17ROCPRIM_400000_NS6detail17trampoline_kernelINS0_14default_configENS1_21merge_config_selectorINS0_5tupleIJssEEENS0_10empty_typeEEEZNS1_10merge_implIS3_NS0_12zip_iteratorINS5_IJN6thrust23THRUST_200600_302600_NS6detail15normal_iteratorINSC_10device_ptrIKsEEEESI_EEEEESK_NSA_INS5_IJNSC_16discard_iteratorINSC_11use_defaultEEESN_EEEEEPS7_SQ_SQ_NSC_11hip_rocprim7__merge17predicate_wrapperIssNSC_4lessIsEEEEEE10hipError_tPvRmT0_T1_T2_T3_T4_T5_mmT6_P12ihipStream_tbEUlT_E_NS1_11comp_targetILNS1_3genE2ELNS1_11target_archE906ELNS1_3gpuE6ELNS1_3repE0EEENS1_30default_config_static_selectorELNS0_4arch9wavefront6targetE0EEEvS11_
    .private_segment_fixed_size: 0
    .sgpr_count:     0
    .sgpr_spill_count: 0
    .symbol:         _ZN7rocprim17ROCPRIM_400000_NS6detail17trampoline_kernelINS0_14default_configENS1_21merge_config_selectorINS0_5tupleIJssEEENS0_10empty_typeEEEZNS1_10merge_implIS3_NS0_12zip_iteratorINS5_IJN6thrust23THRUST_200600_302600_NS6detail15normal_iteratorINSC_10device_ptrIKsEEEESI_EEEEESK_NSA_INS5_IJNSC_16discard_iteratorINSC_11use_defaultEEESN_EEEEEPS7_SQ_SQ_NSC_11hip_rocprim7__merge17predicate_wrapperIssNSC_4lessIsEEEEEE10hipError_tPvRmT0_T1_T2_T3_T4_T5_mmT6_P12ihipStream_tbEUlT_E_NS1_11comp_targetILNS1_3genE2ELNS1_11target_archE906ELNS1_3gpuE6ELNS1_3repE0EEENS1_30default_config_static_selectorELNS0_4arch9wavefront6targetE0EEEvS11_.kd
    .uniform_work_group_size: 1
    .uses_dynamic_stack: false
    .vgpr_count:     0
    .vgpr_spill_count: 0
    .wavefront_size: 32
  - .args:
      - .offset:         0
        .size:           64
        .value_kind:     by_value
    .group_segment_fixed_size: 0
    .kernarg_segment_align: 8
    .kernarg_segment_size: 64
    .language:       OpenCL C
    .language_version:
      - 2
      - 0
    .max_flat_workgroup_size: 1024
    .name:           _ZN7rocprim17ROCPRIM_400000_NS6detail17trampoline_kernelINS0_14default_configENS1_21merge_config_selectorINS0_5tupleIJssEEENS0_10empty_typeEEEZNS1_10merge_implIS3_NS0_12zip_iteratorINS5_IJN6thrust23THRUST_200600_302600_NS6detail15normal_iteratorINSC_10device_ptrIKsEEEESI_EEEEESK_NSA_INS5_IJNSC_16discard_iteratorINSC_11use_defaultEEESN_EEEEEPS7_SQ_SQ_NSC_11hip_rocprim7__merge17predicate_wrapperIssNSC_4lessIsEEEEEE10hipError_tPvRmT0_T1_T2_T3_T4_T5_mmT6_P12ihipStream_tbEUlT_E_NS1_11comp_targetILNS1_3genE10ELNS1_11target_archE1201ELNS1_3gpuE5ELNS1_3repE0EEENS1_30default_config_static_selectorELNS0_4arch9wavefront6targetE0EEEvS11_
    .private_segment_fixed_size: 0
    .sgpr_count:     0
    .sgpr_spill_count: 0
    .symbol:         _ZN7rocprim17ROCPRIM_400000_NS6detail17trampoline_kernelINS0_14default_configENS1_21merge_config_selectorINS0_5tupleIJssEEENS0_10empty_typeEEEZNS1_10merge_implIS3_NS0_12zip_iteratorINS5_IJN6thrust23THRUST_200600_302600_NS6detail15normal_iteratorINSC_10device_ptrIKsEEEESI_EEEEESK_NSA_INS5_IJNSC_16discard_iteratorINSC_11use_defaultEEESN_EEEEEPS7_SQ_SQ_NSC_11hip_rocprim7__merge17predicate_wrapperIssNSC_4lessIsEEEEEE10hipError_tPvRmT0_T1_T2_T3_T4_T5_mmT6_P12ihipStream_tbEUlT_E_NS1_11comp_targetILNS1_3genE10ELNS1_11target_archE1201ELNS1_3gpuE5ELNS1_3repE0EEENS1_30default_config_static_selectorELNS0_4arch9wavefront6targetE0EEEvS11_.kd
    .uniform_work_group_size: 1
    .uses_dynamic_stack: false
    .vgpr_count:     0
    .vgpr_spill_count: 0
    .wavefront_size: 32
  - .args:
      - .offset:         0
        .size:           64
        .value_kind:     by_value
    .group_segment_fixed_size: 0
    .kernarg_segment_align: 8
    .kernarg_segment_size: 64
    .language:       OpenCL C
    .language_version:
      - 2
      - 0
    .max_flat_workgroup_size: 1024
    .name:           _ZN7rocprim17ROCPRIM_400000_NS6detail17trampoline_kernelINS0_14default_configENS1_21merge_config_selectorINS0_5tupleIJssEEENS0_10empty_typeEEEZNS1_10merge_implIS3_NS0_12zip_iteratorINS5_IJN6thrust23THRUST_200600_302600_NS6detail15normal_iteratorINSC_10device_ptrIKsEEEESI_EEEEESK_NSA_INS5_IJNSC_16discard_iteratorINSC_11use_defaultEEESN_EEEEEPS7_SQ_SQ_NSC_11hip_rocprim7__merge17predicate_wrapperIssNSC_4lessIsEEEEEE10hipError_tPvRmT0_T1_T2_T3_T4_T5_mmT6_P12ihipStream_tbEUlT_E_NS1_11comp_targetILNS1_3genE10ELNS1_11target_archE1200ELNS1_3gpuE4ELNS1_3repE0EEENS1_30default_config_static_selectorELNS0_4arch9wavefront6targetE0EEEvS11_
    .private_segment_fixed_size: 0
    .sgpr_count:     0
    .sgpr_spill_count: 0
    .symbol:         _ZN7rocprim17ROCPRIM_400000_NS6detail17trampoline_kernelINS0_14default_configENS1_21merge_config_selectorINS0_5tupleIJssEEENS0_10empty_typeEEEZNS1_10merge_implIS3_NS0_12zip_iteratorINS5_IJN6thrust23THRUST_200600_302600_NS6detail15normal_iteratorINSC_10device_ptrIKsEEEESI_EEEEESK_NSA_INS5_IJNSC_16discard_iteratorINSC_11use_defaultEEESN_EEEEEPS7_SQ_SQ_NSC_11hip_rocprim7__merge17predicate_wrapperIssNSC_4lessIsEEEEEE10hipError_tPvRmT0_T1_T2_T3_T4_T5_mmT6_P12ihipStream_tbEUlT_E_NS1_11comp_targetILNS1_3genE10ELNS1_11target_archE1200ELNS1_3gpuE4ELNS1_3repE0EEENS1_30default_config_static_selectorELNS0_4arch9wavefront6targetE0EEEvS11_.kd
    .uniform_work_group_size: 1
    .uses_dynamic_stack: false
    .vgpr_count:     0
    .vgpr_spill_count: 0
    .wavefront_size: 32
  - .args:
      - .offset:         0
        .size:           64
        .value_kind:     by_value
    .group_segment_fixed_size: 0
    .kernarg_segment_align: 8
    .kernarg_segment_size: 64
    .language:       OpenCL C
    .language_version:
      - 2
      - 0
    .max_flat_workgroup_size: 1024
    .name:           _ZN7rocprim17ROCPRIM_400000_NS6detail17trampoline_kernelINS0_14default_configENS1_21merge_config_selectorINS0_5tupleIJssEEENS0_10empty_typeEEEZNS1_10merge_implIS3_NS0_12zip_iteratorINS5_IJN6thrust23THRUST_200600_302600_NS6detail15normal_iteratorINSC_10device_ptrIKsEEEESI_EEEEESK_NSA_INS5_IJNSC_16discard_iteratorINSC_11use_defaultEEESN_EEEEEPS7_SQ_SQ_NSC_11hip_rocprim7__merge17predicate_wrapperIssNSC_4lessIsEEEEEE10hipError_tPvRmT0_T1_T2_T3_T4_T5_mmT6_P12ihipStream_tbEUlT_E_NS1_11comp_targetILNS1_3genE9ELNS1_11target_archE1100ELNS1_3gpuE3ELNS1_3repE0EEENS1_30default_config_static_selectorELNS0_4arch9wavefront6targetE0EEEvS11_
    .private_segment_fixed_size: 0
    .sgpr_count:     0
    .sgpr_spill_count: 0
    .symbol:         _ZN7rocprim17ROCPRIM_400000_NS6detail17trampoline_kernelINS0_14default_configENS1_21merge_config_selectorINS0_5tupleIJssEEENS0_10empty_typeEEEZNS1_10merge_implIS3_NS0_12zip_iteratorINS5_IJN6thrust23THRUST_200600_302600_NS6detail15normal_iteratorINSC_10device_ptrIKsEEEESI_EEEEESK_NSA_INS5_IJNSC_16discard_iteratorINSC_11use_defaultEEESN_EEEEEPS7_SQ_SQ_NSC_11hip_rocprim7__merge17predicate_wrapperIssNSC_4lessIsEEEEEE10hipError_tPvRmT0_T1_T2_T3_T4_T5_mmT6_P12ihipStream_tbEUlT_E_NS1_11comp_targetILNS1_3genE9ELNS1_11target_archE1100ELNS1_3gpuE3ELNS1_3repE0EEENS1_30default_config_static_selectorELNS0_4arch9wavefront6targetE0EEEvS11_.kd
    .uniform_work_group_size: 1
    .uses_dynamic_stack: false
    .vgpr_count:     0
    .vgpr_spill_count: 0
    .wavefront_size: 32
  - .args:
      - .offset:         0
        .size:           64
        .value_kind:     by_value
    .group_segment_fixed_size: 0
    .kernarg_segment_align: 8
    .kernarg_segment_size: 64
    .language:       OpenCL C
    .language_version:
      - 2
      - 0
    .max_flat_workgroup_size: 1024
    .name:           _ZN7rocprim17ROCPRIM_400000_NS6detail17trampoline_kernelINS0_14default_configENS1_21merge_config_selectorINS0_5tupleIJssEEENS0_10empty_typeEEEZNS1_10merge_implIS3_NS0_12zip_iteratorINS5_IJN6thrust23THRUST_200600_302600_NS6detail15normal_iteratorINSC_10device_ptrIKsEEEESI_EEEEESK_NSA_INS5_IJNSC_16discard_iteratorINSC_11use_defaultEEESN_EEEEEPS7_SQ_SQ_NSC_11hip_rocprim7__merge17predicate_wrapperIssNSC_4lessIsEEEEEE10hipError_tPvRmT0_T1_T2_T3_T4_T5_mmT6_P12ihipStream_tbEUlT_E_NS1_11comp_targetILNS1_3genE8ELNS1_11target_archE1030ELNS1_3gpuE2ELNS1_3repE0EEENS1_30default_config_static_selectorELNS0_4arch9wavefront6targetE0EEEvS11_
    .private_segment_fixed_size: 0
    .sgpr_count:     0
    .sgpr_spill_count: 0
    .symbol:         _ZN7rocprim17ROCPRIM_400000_NS6detail17trampoline_kernelINS0_14default_configENS1_21merge_config_selectorINS0_5tupleIJssEEENS0_10empty_typeEEEZNS1_10merge_implIS3_NS0_12zip_iteratorINS5_IJN6thrust23THRUST_200600_302600_NS6detail15normal_iteratorINSC_10device_ptrIKsEEEESI_EEEEESK_NSA_INS5_IJNSC_16discard_iteratorINSC_11use_defaultEEESN_EEEEEPS7_SQ_SQ_NSC_11hip_rocprim7__merge17predicate_wrapperIssNSC_4lessIsEEEEEE10hipError_tPvRmT0_T1_T2_T3_T4_T5_mmT6_P12ihipStream_tbEUlT_E_NS1_11comp_targetILNS1_3genE8ELNS1_11target_archE1030ELNS1_3gpuE2ELNS1_3repE0EEENS1_30default_config_static_selectorELNS0_4arch9wavefront6targetE0EEEvS11_.kd
    .uniform_work_group_size: 1
    .uses_dynamic_stack: false
    .vgpr_count:     0
    .vgpr_spill_count: 0
    .wavefront_size: 32
  - .args:
      - .offset:         0
        .size:           128
        .value_kind:     by_value
    .group_segment_fixed_size: 10256
    .kernarg_segment_align: 8
    .kernarg_segment_size: 128
    .language:       OpenCL C
    .language_version:
      - 2
      - 0
    .max_flat_workgroup_size: 256
    .name:           _ZN7rocprim17ROCPRIM_400000_NS6detail17trampoline_kernelINS0_14default_configENS1_21merge_config_selectorINS0_5tupleIJssEEENS0_10empty_typeEEEZNS1_10merge_implIS3_NS0_12zip_iteratorINS5_IJN6thrust23THRUST_200600_302600_NS6detail15normal_iteratorINSC_10device_ptrIKsEEEESI_EEEEESK_NSA_INS5_IJNSC_16discard_iteratorINSC_11use_defaultEEESN_EEEEEPS7_SQ_SQ_NSC_11hip_rocprim7__merge17predicate_wrapperIssNSC_4lessIsEEEEEE10hipError_tPvRmT0_T1_T2_T3_T4_T5_mmT6_P12ihipStream_tbEUlT_E0_NS1_11comp_targetILNS1_3genE0ELNS1_11target_archE4294967295ELNS1_3gpuE0ELNS1_3repE0EEENS1_30default_config_static_selectorELNS0_4arch9wavefront6targetE0EEEvS11_
    .private_segment_fixed_size: 0
    .sgpr_count:     24
    .sgpr_spill_count: 0
    .symbol:         _ZN7rocprim17ROCPRIM_400000_NS6detail17trampoline_kernelINS0_14default_configENS1_21merge_config_selectorINS0_5tupleIJssEEENS0_10empty_typeEEEZNS1_10merge_implIS3_NS0_12zip_iteratorINS5_IJN6thrust23THRUST_200600_302600_NS6detail15normal_iteratorINSC_10device_ptrIKsEEEESI_EEEEESK_NSA_INS5_IJNSC_16discard_iteratorINSC_11use_defaultEEESN_EEEEEPS7_SQ_SQ_NSC_11hip_rocprim7__merge17predicate_wrapperIssNSC_4lessIsEEEEEE10hipError_tPvRmT0_T1_T2_T3_T4_T5_mmT6_P12ihipStream_tbEUlT_E0_NS1_11comp_targetILNS1_3genE0ELNS1_11target_archE4294967295ELNS1_3gpuE0ELNS1_3repE0EEENS1_30default_config_static_selectorELNS0_4arch9wavefront6targetE0EEEvS11_.kd
    .uniform_work_group_size: 1
    .uses_dynamic_stack: false
    .vgpr_count:     33
    .vgpr_spill_count: 0
    .wavefront_size: 32
  - .args:
      - .offset:         0
        .size:           128
        .value_kind:     by_value
    .group_segment_fixed_size: 0
    .kernarg_segment_align: 8
    .kernarg_segment_size: 128
    .language:       OpenCL C
    .language_version:
      - 2
      - 0
    .max_flat_workgroup_size: 256
    .name:           _ZN7rocprim17ROCPRIM_400000_NS6detail17trampoline_kernelINS0_14default_configENS1_21merge_config_selectorINS0_5tupleIJssEEENS0_10empty_typeEEEZNS1_10merge_implIS3_NS0_12zip_iteratorINS5_IJN6thrust23THRUST_200600_302600_NS6detail15normal_iteratorINSC_10device_ptrIKsEEEESI_EEEEESK_NSA_INS5_IJNSC_16discard_iteratorINSC_11use_defaultEEESN_EEEEEPS7_SQ_SQ_NSC_11hip_rocprim7__merge17predicate_wrapperIssNSC_4lessIsEEEEEE10hipError_tPvRmT0_T1_T2_T3_T4_T5_mmT6_P12ihipStream_tbEUlT_E0_NS1_11comp_targetILNS1_3genE5ELNS1_11target_archE942ELNS1_3gpuE9ELNS1_3repE0EEENS1_30default_config_static_selectorELNS0_4arch9wavefront6targetE0EEEvS11_
    .private_segment_fixed_size: 0
    .sgpr_count:     0
    .sgpr_spill_count: 0
    .symbol:         _ZN7rocprim17ROCPRIM_400000_NS6detail17trampoline_kernelINS0_14default_configENS1_21merge_config_selectorINS0_5tupleIJssEEENS0_10empty_typeEEEZNS1_10merge_implIS3_NS0_12zip_iteratorINS5_IJN6thrust23THRUST_200600_302600_NS6detail15normal_iteratorINSC_10device_ptrIKsEEEESI_EEEEESK_NSA_INS5_IJNSC_16discard_iteratorINSC_11use_defaultEEESN_EEEEEPS7_SQ_SQ_NSC_11hip_rocprim7__merge17predicate_wrapperIssNSC_4lessIsEEEEEE10hipError_tPvRmT0_T1_T2_T3_T4_T5_mmT6_P12ihipStream_tbEUlT_E0_NS1_11comp_targetILNS1_3genE5ELNS1_11target_archE942ELNS1_3gpuE9ELNS1_3repE0EEENS1_30default_config_static_selectorELNS0_4arch9wavefront6targetE0EEEvS11_.kd
    .uniform_work_group_size: 1
    .uses_dynamic_stack: false
    .vgpr_count:     0
    .vgpr_spill_count: 0
    .wavefront_size: 32
  - .args:
      - .offset:         0
        .size:           128
        .value_kind:     by_value
    .group_segment_fixed_size: 0
    .kernarg_segment_align: 8
    .kernarg_segment_size: 128
    .language:       OpenCL C
    .language_version:
      - 2
      - 0
    .max_flat_workgroup_size: 256
    .name:           _ZN7rocprim17ROCPRIM_400000_NS6detail17trampoline_kernelINS0_14default_configENS1_21merge_config_selectorINS0_5tupleIJssEEENS0_10empty_typeEEEZNS1_10merge_implIS3_NS0_12zip_iteratorINS5_IJN6thrust23THRUST_200600_302600_NS6detail15normal_iteratorINSC_10device_ptrIKsEEEESI_EEEEESK_NSA_INS5_IJNSC_16discard_iteratorINSC_11use_defaultEEESN_EEEEEPS7_SQ_SQ_NSC_11hip_rocprim7__merge17predicate_wrapperIssNSC_4lessIsEEEEEE10hipError_tPvRmT0_T1_T2_T3_T4_T5_mmT6_P12ihipStream_tbEUlT_E0_NS1_11comp_targetILNS1_3genE4ELNS1_11target_archE910ELNS1_3gpuE8ELNS1_3repE0EEENS1_30default_config_static_selectorELNS0_4arch9wavefront6targetE0EEEvS11_
    .private_segment_fixed_size: 0
    .sgpr_count:     0
    .sgpr_spill_count: 0
    .symbol:         _ZN7rocprim17ROCPRIM_400000_NS6detail17trampoline_kernelINS0_14default_configENS1_21merge_config_selectorINS0_5tupleIJssEEENS0_10empty_typeEEEZNS1_10merge_implIS3_NS0_12zip_iteratorINS5_IJN6thrust23THRUST_200600_302600_NS6detail15normal_iteratorINSC_10device_ptrIKsEEEESI_EEEEESK_NSA_INS5_IJNSC_16discard_iteratorINSC_11use_defaultEEESN_EEEEEPS7_SQ_SQ_NSC_11hip_rocprim7__merge17predicate_wrapperIssNSC_4lessIsEEEEEE10hipError_tPvRmT0_T1_T2_T3_T4_T5_mmT6_P12ihipStream_tbEUlT_E0_NS1_11comp_targetILNS1_3genE4ELNS1_11target_archE910ELNS1_3gpuE8ELNS1_3repE0EEENS1_30default_config_static_selectorELNS0_4arch9wavefront6targetE0EEEvS11_.kd
    .uniform_work_group_size: 1
    .uses_dynamic_stack: false
    .vgpr_count:     0
    .vgpr_spill_count: 0
    .wavefront_size: 32
  - .args:
      - .offset:         0
        .size:           128
        .value_kind:     by_value
    .group_segment_fixed_size: 0
    .kernarg_segment_align: 8
    .kernarg_segment_size: 128
    .language:       OpenCL C
    .language_version:
      - 2
      - 0
    .max_flat_workgroup_size: 256
    .name:           _ZN7rocprim17ROCPRIM_400000_NS6detail17trampoline_kernelINS0_14default_configENS1_21merge_config_selectorINS0_5tupleIJssEEENS0_10empty_typeEEEZNS1_10merge_implIS3_NS0_12zip_iteratorINS5_IJN6thrust23THRUST_200600_302600_NS6detail15normal_iteratorINSC_10device_ptrIKsEEEESI_EEEEESK_NSA_INS5_IJNSC_16discard_iteratorINSC_11use_defaultEEESN_EEEEEPS7_SQ_SQ_NSC_11hip_rocprim7__merge17predicate_wrapperIssNSC_4lessIsEEEEEE10hipError_tPvRmT0_T1_T2_T3_T4_T5_mmT6_P12ihipStream_tbEUlT_E0_NS1_11comp_targetILNS1_3genE3ELNS1_11target_archE908ELNS1_3gpuE7ELNS1_3repE0EEENS1_30default_config_static_selectorELNS0_4arch9wavefront6targetE0EEEvS11_
    .private_segment_fixed_size: 0
    .sgpr_count:     0
    .sgpr_spill_count: 0
    .symbol:         _ZN7rocprim17ROCPRIM_400000_NS6detail17trampoline_kernelINS0_14default_configENS1_21merge_config_selectorINS0_5tupleIJssEEENS0_10empty_typeEEEZNS1_10merge_implIS3_NS0_12zip_iteratorINS5_IJN6thrust23THRUST_200600_302600_NS6detail15normal_iteratorINSC_10device_ptrIKsEEEESI_EEEEESK_NSA_INS5_IJNSC_16discard_iteratorINSC_11use_defaultEEESN_EEEEEPS7_SQ_SQ_NSC_11hip_rocprim7__merge17predicate_wrapperIssNSC_4lessIsEEEEEE10hipError_tPvRmT0_T1_T2_T3_T4_T5_mmT6_P12ihipStream_tbEUlT_E0_NS1_11comp_targetILNS1_3genE3ELNS1_11target_archE908ELNS1_3gpuE7ELNS1_3repE0EEENS1_30default_config_static_selectorELNS0_4arch9wavefront6targetE0EEEvS11_.kd
    .uniform_work_group_size: 1
    .uses_dynamic_stack: false
    .vgpr_count:     0
    .vgpr_spill_count: 0
    .wavefront_size: 32
  - .args:
      - .offset:         0
        .size:           128
        .value_kind:     by_value
    .group_segment_fixed_size: 0
    .kernarg_segment_align: 8
    .kernarg_segment_size: 128
    .language:       OpenCL C
    .language_version:
      - 2
      - 0
    .max_flat_workgroup_size: 256
    .name:           _ZN7rocprim17ROCPRIM_400000_NS6detail17trampoline_kernelINS0_14default_configENS1_21merge_config_selectorINS0_5tupleIJssEEENS0_10empty_typeEEEZNS1_10merge_implIS3_NS0_12zip_iteratorINS5_IJN6thrust23THRUST_200600_302600_NS6detail15normal_iteratorINSC_10device_ptrIKsEEEESI_EEEEESK_NSA_INS5_IJNSC_16discard_iteratorINSC_11use_defaultEEESN_EEEEEPS7_SQ_SQ_NSC_11hip_rocprim7__merge17predicate_wrapperIssNSC_4lessIsEEEEEE10hipError_tPvRmT0_T1_T2_T3_T4_T5_mmT6_P12ihipStream_tbEUlT_E0_NS1_11comp_targetILNS1_3genE2ELNS1_11target_archE906ELNS1_3gpuE6ELNS1_3repE0EEENS1_30default_config_static_selectorELNS0_4arch9wavefront6targetE0EEEvS11_
    .private_segment_fixed_size: 0
    .sgpr_count:     0
    .sgpr_spill_count: 0
    .symbol:         _ZN7rocprim17ROCPRIM_400000_NS6detail17trampoline_kernelINS0_14default_configENS1_21merge_config_selectorINS0_5tupleIJssEEENS0_10empty_typeEEEZNS1_10merge_implIS3_NS0_12zip_iteratorINS5_IJN6thrust23THRUST_200600_302600_NS6detail15normal_iteratorINSC_10device_ptrIKsEEEESI_EEEEESK_NSA_INS5_IJNSC_16discard_iteratorINSC_11use_defaultEEESN_EEEEEPS7_SQ_SQ_NSC_11hip_rocprim7__merge17predicate_wrapperIssNSC_4lessIsEEEEEE10hipError_tPvRmT0_T1_T2_T3_T4_T5_mmT6_P12ihipStream_tbEUlT_E0_NS1_11comp_targetILNS1_3genE2ELNS1_11target_archE906ELNS1_3gpuE6ELNS1_3repE0EEENS1_30default_config_static_selectorELNS0_4arch9wavefront6targetE0EEEvS11_.kd
    .uniform_work_group_size: 1
    .uses_dynamic_stack: false
    .vgpr_count:     0
    .vgpr_spill_count: 0
    .wavefront_size: 32
  - .args:
      - .offset:         0
        .size:           128
        .value_kind:     by_value
    .group_segment_fixed_size: 0
    .kernarg_segment_align: 8
    .kernarg_segment_size: 128
    .language:       OpenCL C
    .language_version:
      - 2
      - 0
    .max_flat_workgroup_size: 1024
    .name:           _ZN7rocprim17ROCPRIM_400000_NS6detail17trampoline_kernelINS0_14default_configENS1_21merge_config_selectorINS0_5tupleIJssEEENS0_10empty_typeEEEZNS1_10merge_implIS3_NS0_12zip_iteratorINS5_IJN6thrust23THRUST_200600_302600_NS6detail15normal_iteratorINSC_10device_ptrIKsEEEESI_EEEEESK_NSA_INS5_IJNSC_16discard_iteratorINSC_11use_defaultEEESN_EEEEEPS7_SQ_SQ_NSC_11hip_rocprim7__merge17predicate_wrapperIssNSC_4lessIsEEEEEE10hipError_tPvRmT0_T1_T2_T3_T4_T5_mmT6_P12ihipStream_tbEUlT_E0_NS1_11comp_targetILNS1_3genE10ELNS1_11target_archE1201ELNS1_3gpuE5ELNS1_3repE0EEENS1_30default_config_static_selectorELNS0_4arch9wavefront6targetE0EEEvS11_
    .private_segment_fixed_size: 0
    .sgpr_count:     0
    .sgpr_spill_count: 0
    .symbol:         _ZN7rocprim17ROCPRIM_400000_NS6detail17trampoline_kernelINS0_14default_configENS1_21merge_config_selectorINS0_5tupleIJssEEENS0_10empty_typeEEEZNS1_10merge_implIS3_NS0_12zip_iteratorINS5_IJN6thrust23THRUST_200600_302600_NS6detail15normal_iteratorINSC_10device_ptrIKsEEEESI_EEEEESK_NSA_INS5_IJNSC_16discard_iteratorINSC_11use_defaultEEESN_EEEEEPS7_SQ_SQ_NSC_11hip_rocprim7__merge17predicate_wrapperIssNSC_4lessIsEEEEEE10hipError_tPvRmT0_T1_T2_T3_T4_T5_mmT6_P12ihipStream_tbEUlT_E0_NS1_11comp_targetILNS1_3genE10ELNS1_11target_archE1201ELNS1_3gpuE5ELNS1_3repE0EEENS1_30default_config_static_selectorELNS0_4arch9wavefront6targetE0EEEvS11_.kd
    .uniform_work_group_size: 1
    .uses_dynamic_stack: false
    .vgpr_count:     0
    .vgpr_spill_count: 0
    .wavefront_size: 32
  - .args:
      - .offset:         0
        .size:           128
        .value_kind:     by_value
    .group_segment_fixed_size: 0
    .kernarg_segment_align: 8
    .kernarg_segment_size: 128
    .language:       OpenCL C
    .language_version:
      - 2
      - 0
    .max_flat_workgroup_size: 1024
    .name:           _ZN7rocprim17ROCPRIM_400000_NS6detail17trampoline_kernelINS0_14default_configENS1_21merge_config_selectorINS0_5tupleIJssEEENS0_10empty_typeEEEZNS1_10merge_implIS3_NS0_12zip_iteratorINS5_IJN6thrust23THRUST_200600_302600_NS6detail15normal_iteratorINSC_10device_ptrIKsEEEESI_EEEEESK_NSA_INS5_IJNSC_16discard_iteratorINSC_11use_defaultEEESN_EEEEEPS7_SQ_SQ_NSC_11hip_rocprim7__merge17predicate_wrapperIssNSC_4lessIsEEEEEE10hipError_tPvRmT0_T1_T2_T3_T4_T5_mmT6_P12ihipStream_tbEUlT_E0_NS1_11comp_targetILNS1_3genE10ELNS1_11target_archE1200ELNS1_3gpuE4ELNS1_3repE0EEENS1_30default_config_static_selectorELNS0_4arch9wavefront6targetE0EEEvS11_
    .private_segment_fixed_size: 0
    .sgpr_count:     0
    .sgpr_spill_count: 0
    .symbol:         _ZN7rocprim17ROCPRIM_400000_NS6detail17trampoline_kernelINS0_14default_configENS1_21merge_config_selectorINS0_5tupleIJssEEENS0_10empty_typeEEEZNS1_10merge_implIS3_NS0_12zip_iteratorINS5_IJN6thrust23THRUST_200600_302600_NS6detail15normal_iteratorINSC_10device_ptrIKsEEEESI_EEEEESK_NSA_INS5_IJNSC_16discard_iteratorINSC_11use_defaultEEESN_EEEEEPS7_SQ_SQ_NSC_11hip_rocprim7__merge17predicate_wrapperIssNSC_4lessIsEEEEEE10hipError_tPvRmT0_T1_T2_T3_T4_T5_mmT6_P12ihipStream_tbEUlT_E0_NS1_11comp_targetILNS1_3genE10ELNS1_11target_archE1200ELNS1_3gpuE4ELNS1_3repE0EEENS1_30default_config_static_selectorELNS0_4arch9wavefront6targetE0EEEvS11_.kd
    .uniform_work_group_size: 1
    .uses_dynamic_stack: false
    .vgpr_count:     0
    .vgpr_spill_count: 0
    .wavefront_size: 32
  - .args:
      - .offset:         0
        .size:           128
        .value_kind:     by_value
    .group_segment_fixed_size: 0
    .kernarg_segment_align: 8
    .kernarg_segment_size: 128
    .language:       OpenCL C
    .language_version:
      - 2
      - 0
    .max_flat_workgroup_size: 1024
    .name:           _ZN7rocprim17ROCPRIM_400000_NS6detail17trampoline_kernelINS0_14default_configENS1_21merge_config_selectorINS0_5tupleIJssEEENS0_10empty_typeEEEZNS1_10merge_implIS3_NS0_12zip_iteratorINS5_IJN6thrust23THRUST_200600_302600_NS6detail15normal_iteratorINSC_10device_ptrIKsEEEESI_EEEEESK_NSA_INS5_IJNSC_16discard_iteratorINSC_11use_defaultEEESN_EEEEEPS7_SQ_SQ_NSC_11hip_rocprim7__merge17predicate_wrapperIssNSC_4lessIsEEEEEE10hipError_tPvRmT0_T1_T2_T3_T4_T5_mmT6_P12ihipStream_tbEUlT_E0_NS1_11comp_targetILNS1_3genE9ELNS1_11target_archE1100ELNS1_3gpuE3ELNS1_3repE0EEENS1_30default_config_static_selectorELNS0_4arch9wavefront6targetE0EEEvS11_
    .private_segment_fixed_size: 0
    .sgpr_count:     0
    .sgpr_spill_count: 0
    .symbol:         _ZN7rocprim17ROCPRIM_400000_NS6detail17trampoline_kernelINS0_14default_configENS1_21merge_config_selectorINS0_5tupleIJssEEENS0_10empty_typeEEEZNS1_10merge_implIS3_NS0_12zip_iteratorINS5_IJN6thrust23THRUST_200600_302600_NS6detail15normal_iteratorINSC_10device_ptrIKsEEEESI_EEEEESK_NSA_INS5_IJNSC_16discard_iteratorINSC_11use_defaultEEESN_EEEEEPS7_SQ_SQ_NSC_11hip_rocprim7__merge17predicate_wrapperIssNSC_4lessIsEEEEEE10hipError_tPvRmT0_T1_T2_T3_T4_T5_mmT6_P12ihipStream_tbEUlT_E0_NS1_11comp_targetILNS1_3genE9ELNS1_11target_archE1100ELNS1_3gpuE3ELNS1_3repE0EEENS1_30default_config_static_selectorELNS0_4arch9wavefront6targetE0EEEvS11_.kd
    .uniform_work_group_size: 1
    .uses_dynamic_stack: false
    .vgpr_count:     0
    .vgpr_spill_count: 0
    .wavefront_size: 32
  - .args:
      - .offset:         0
        .size:           128
        .value_kind:     by_value
    .group_segment_fixed_size: 0
    .kernarg_segment_align: 8
    .kernarg_segment_size: 128
    .language:       OpenCL C
    .language_version:
      - 2
      - 0
    .max_flat_workgroup_size: 1024
    .name:           _ZN7rocprim17ROCPRIM_400000_NS6detail17trampoline_kernelINS0_14default_configENS1_21merge_config_selectorINS0_5tupleIJssEEENS0_10empty_typeEEEZNS1_10merge_implIS3_NS0_12zip_iteratorINS5_IJN6thrust23THRUST_200600_302600_NS6detail15normal_iteratorINSC_10device_ptrIKsEEEESI_EEEEESK_NSA_INS5_IJNSC_16discard_iteratorINSC_11use_defaultEEESN_EEEEEPS7_SQ_SQ_NSC_11hip_rocprim7__merge17predicate_wrapperIssNSC_4lessIsEEEEEE10hipError_tPvRmT0_T1_T2_T3_T4_T5_mmT6_P12ihipStream_tbEUlT_E0_NS1_11comp_targetILNS1_3genE8ELNS1_11target_archE1030ELNS1_3gpuE2ELNS1_3repE0EEENS1_30default_config_static_selectorELNS0_4arch9wavefront6targetE0EEEvS11_
    .private_segment_fixed_size: 0
    .sgpr_count:     0
    .sgpr_spill_count: 0
    .symbol:         _ZN7rocprim17ROCPRIM_400000_NS6detail17trampoline_kernelINS0_14default_configENS1_21merge_config_selectorINS0_5tupleIJssEEENS0_10empty_typeEEEZNS1_10merge_implIS3_NS0_12zip_iteratorINS5_IJN6thrust23THRUST_200600_302600_NS6detail15normal_iteratorINSC_10device_ptrIKsEEEESI_EEEEESK_NSA_INS5_IJNSC_16discard_iteratorINSC_11use_defaultEEESN_EEEEEPS7_SQ_SQ_NSC_11hip_rocprim7__merge17predicate_wrapperIssNSC_4lessIsEEEEEE10hipError_tPvRmT0_T1_T2_T3_T4_T5_mmT6_P12ihipStream_tbEUlT_E0_NS1_11comp_targetILNS1_3genE8ELNS1_11target_archE1030ELNS1_3gpuE2ELNS1_3repE0EEENS1_30default_config_static_selectorELNS0_4arch9wavefront6targetE0EEEvS11_.kd
    .uniform_work_group_size: 1
    .uses_dynamic_stack: false
    .vgpr_count:     0
    .vgpr_spill_count: 0
    .wavefront_size: 32
  - .args:
      - .offset:         0
        .size:           4
        .value_kind:     by_value
      - .address_space:  global
        .offset:         8
        .size:           8
        .value_kind:     global_buffer
      - .address_space:  global
        .offset:         16
        .size:           8
        .value_kind:     global_buffer
      - .address_space:  global
        .offset:         24
        .size:           8
        .value_kind:     global_buffer
      - .address_space:  global
        .offset:         32
        .size:           8
        .value_kind:     global_buffer
      - .address_space:  global
        .offset:         40
        .size:           8
        .value_kind:     global_buffer
      - .address_space:  global
        .offset:         48
        .size:           8
        .value_kind:     global_buffer
    .group_segment_fixed_size: 0
    .kernarg_segment_align: 8
    .kernarg_segment_size: 56
    .language:       OpenCL C
    .language_version:
      - 2
      - 0
    .max_flat_workgroup_size: 256
    .name:           _Z16MergeByKeyKernelIiEviPT_S1_S1_S1_S1_S1_
    .private_segment_fixed_size: 0
    .sgpr_count:     24
    .sgpr_spill_count: 0
    .symbol:         _Z16MergeByKeyKernelIiEviPT_S1_S1_S1_S1_S1_.kd
    .uniform_work_group_size: 1
    .uses_dynamic_stack: false
    .vgpr_count:     3
    .vgpr_spill_count: 0
    .wavefront_size: 32
  - .args:
      - .offset:         0
        .size:           64
        .value_kind:     by_value
      - .offset:         64
        .size:           4
        .value_kind:     hidden_block_count_x
      - .offset:         68
        .size:           4
        .value_kind:     hidden_block_count_y
      - .offset:         72
        .size:           4
        .value_kind:     hidden_block_count_z
      - .offset:         76
        .size:           2
        .value_kind:     hidden_group_size_x
      - .offset:         78
        .size:           2
        .value_kind:     hidden_group_size_y
      - .offset:         80
        .size:           2
        .value_kind:     hidden_group_size_z
      - .offset:         82
        .size:           2
        .value_kind:     hidden_remainder_x
      - .offset:         84
        .size:           2
        .value_kind:     hidden_remainder_y
      - .offset:         86
        .size:           2
        .value_kind:     hidden_remainder_z
      - .offset:         104
        .size:           8
        .value_kind:     hidden_global_offset_x
      - .offset:         112
        .size:           8
        .value_kind:     hidden_global_offset_y
      - .offset:         120
        .size:           8
        .value_kind:     hidden_global_offset_z
      - .offset:         128
        .size:           2
        .value_kind:     hidden_grid_dims
    .group_segment_fixed_size: 0
    .kernarg_segment_align: 8
    .kernarg_segment_size: 320
    .language:       OpenCL C
    .language_version:
      - 2
      - 0
    .max_flat_workgroup_size: 256
    .name:           _ZN7rocprim17ROCPRIM_400000_NS6detail17trampoline_kernelINS0_14default_configENS1_21merge_config_selectorINS0_5tupleIJiiEEENS0_10empty_typeEEEZNS1_10merge_implIS3_NS0_12zip_iteratorINS5_IJN6thrust23THRUST_200600_302600_NS10device_ptrIiEESE_EEEEESG_SG_PS7_SH_SH_NSC_11hip_rocprim7__merge17predicate_wrapperIiiNSC_4lessIiEEEEEE10hipError_tPvRmT0_T1_T2_T3_T4_T5_mmT6_P12ihipStream_tbEUlT_E_NS1_11comp_targetILNS1_3genE0ELNS1_11target_archE4294967295ELNS1_3gpuE0ELNS1_3repE0EEENS1_30default_config_static_selectorELNS0_4arch9wavefront6targetE0EEEvSS_
    .private_segment_fixed_size: 0
    .sgpr_count:     16
    .sgpr_spill_count: 0
    .symbol:         _ZN7rocprim17ROCPRIM_400000_NS6detail17trampoline_kernelINS0_14default_configENS1_21merge_config_selectorINS0_5tupleIJiiEEENS0_10empty_typeEEEZNS1_10merge_implIS3_NS0_12zip_iteratorINS5_IJN6thrust23THRUST_200600_302600_NS10device_ptrIiEESE_EEEEESG_SG_PS7_SH_SH_NSC_11hip_rocprim7__merge17predicate_wrapperIiiNSC_4lessIiEEEEEE10hipError_tPvRmT0_T1_T2_T3_T4_T5_mmT6_P12ihipStream_tbEUlT_E_NS1_11comp_targetILNS1_3genE0ELNS1_11target_archE4294967295ELNS1_3gpuE0ELNS1_3repE0EEENS1_30default_config_static_selectorELNS0_4arch9wavefront6targetE0EEEvSS_.kd
    .uniform_work_group_size: 1
    .uses_dynamic_stack: false
    .vgpr_count:     15
    .vgpr_spill_count: 0
    .wavefront_size: 32
  - .args:
      - .offset:         0
        .size:           64
        .value_kind:     by_value
    .group_segment_fixed_size: 0
    .kernarg_segment_align: 8
    .kernarg_segment_size: 64
    .language:       OpenCL C
    .language_version:
      - 2
      - 0
    .max_flat_workgroup_size: 256
    .name:           _ZN7rocprim17ROCPRIM_400000_NS6detail17trampoline_kernelINS0_14default_configENS1_21merge_config_selectorINS0_5tupleIJiiEEENS0_10empty_typeEEEZNS1_10merge_implIS3_NS0_12zip_iteratorINS5_IJN6thrust23THRUST_200600_302600_NS10device_ptrIiEESE_EEEEESG_SG_PS7_SH_SH_NSC_11hip_rocprim7__merge17predicate_wrapperIiiNSC_4lessIiEEEEEE10hipError_tPvRmT0_T1_T2_T3_T4_T5_mmT6_P12ihipStream_tbEUlT_E_NS1_11comp_targetILNS1_3genE5ELNS1_11target_archE942ELNS1_3gpuE9ELNS1_3repE0EEENS1_30default_config_static_selectorELNS0_4arch9wavefront6targetE0EEEvSS_
    .private_segment_fixed_size: 0
    .sgpr_count:     0
    .sgpr_spill_count: 0
    .symbol:         _ZN7rocprim17ROCPRIM_400000_NS6detail17trampoline_kernelINS0_14default_configENS1_21merge_config_selectorINS0_5tupleIJiiEEENS0_10empty_typeEEEZNS1_10merge_implIS3_NS0_12zip_iteratorINS5_IJN6thrust23THRUST_200600_302600_NS10device_ptrIiEESE_EEEEESG_SG_PS7_SH_SH_NSC_11hip_rocprim7__merge17predicate_wrapperIiiNSC_4lessIiEEEEEE10hipError_tPvRmT0_T1_T2_T3_T4_T5_mmT6_P12ihipStream_tbEUlT_E_NS1_11comp_targetILNS1_3genE5ELNS1_11target_archE942ELNS1_3gpuE9ELNS1_3repE0EEENS1_30default_config_static_selectorELNS0_4arch9wavefront6targetE0EEEvSS_.kd
    .uniform_work_group_size: 1
    .uses_dynamic_stack: false
    .vgpr_count:     0
    .vgpr_spill_count: 0
    .wavefront_size: 32
  - .args:
      - .offset:         0
        .size:           64
        .value_kind:     by_value
    .group_segment_fixed_size: 0
    .kernarg_segment_align: 8
    .kernarg_segment_size: 64
    .language:       OpenCL C
    .language_version:
      - 2
      - 0
    .max_flat_workgroup_size: 256
    .name:           _ZN7rocprim17ROCPRIM_400000_NS6detail17trampoline_kernelINS0_14default_configENS1_21merge_config_selectorINS0_5tupleIJiiEEENS0_10empty_typeEEEZNS1_10merge_implIS3_NS0_12zip_iteratorINS5_IJN6thrust23THRUST_200600_302600_NS10device_ptrIiEESE_EEEEESG_SG_PS7_SH_SH_NSC_11hip_rocprim7__merge17predicate_wrapperIiiNSC_4lessIiEEEEEE10hipError_tPvRmT0_T1_T2_T3_T4_T5_mmT6_P12ihipStream_tbEUlT_E_NS1_11comp_targetILNS1_3genE4ELNS1_11target_archE910ELNS1_3gpuE8ELNS1_3repE0EEENS1_30default_config_static_selectorELNS0_4arch9wavefront6targetE0EEEvSS_
    .private_segment_fixed_size: 0
    .sgpr_count:     0
    .sgpr_spill_count: 0
    .symbol:         _ZN7rocprim17ROCPRIM_400000_NS6detail17trampoline_kernelINS0_14default_configENS1_21merge_config_selectorINS0_5tupleIJiiEEENS0_10empty_typeEEEZNS1_10merge_implIS3_NS0_12zip_iteratorINS5_IJN6thrust23THRUST_200600_302600_NS10device_ptrIiEESE_EEEEESG_SG_PS7_SH_SH_NSC_11hip_rocprim7__merge17predicate_wrapperIiiNSC_4lessIiEEEEEE10hipError_tPvRmT0_T1_T2_T3_T4_T5_mmT6_P12ihipStream_tbEUlT_E_NS1_11comp_targetILNS1_3genE4ELNS1_11target_archE910ELNS1_3gpuE8ELNS1_3repE0EEENS1_30default_config_static_selectorELNS0_4arch9wavefront6targetE0EEEvSS_.kd
    .uniform_work_group_size: 1
    .uses_dynamic_stack: false
    .vgpr_count:     0
    .vgpr_spill_count: 0
    .wavefront_size: 32
  - .args:
      - .offset:         0
        .size:           64
        .value_kind:     by_value
    .group_segment_fixed_size: 0
    .kernarg_segment_align: 8
    .kernarg_segment_size: 64
    .language:       OpenCL C
    .language_version:
      - 2
      - 0
    .max_flat_workgroup_size: 256
    .name:           _ZN7rocprim17ROCPRIM_400000_NS6detail17trampoline_kernelINS0_14default_configENS1_21merge_config_selectorINS0_5tupleIJiiEEENS0_10empty_typeEEEZNS1_10merge_implIS3_NS0_12zip_iteratorINS5_IJN6thrust23THRUST_200600_302600_NS10device_ptrIiEESE_EEEEESG_SG_PS7_SH_SH_NSC_11hip_rocprim7__merge17predicate_wrapperIiiNSC_4lessIiEEEEEE10hipError_tPvRmT0_T1_T2_T3_T4_T5_mmT6_P12ihipStream_tbEUlT_E_NS1_11comp_targetILNS1_3genE3ELNS1_11target_archE908ELNS1_3gpuE7ELNS1_3repE0EEENS1_30default_config_static_selectorELNS0_4arch9wavefront6targetE0EEEvSS_
    .private_segment_fixed_size: 0
    .sgpr_count:     0
    .sgpr_spill_count: 0
    .symbol:         _ZN7rocprim17ROCPRIM_400000_NS6detail17trampoline_kernelINS0_14default_configENS1_21merge_config_selectorINS0_5tupleIJiiEEENS0_10empty_typeEEEZNS1_10merge_implIS3_NS0_12zip_iteratorINS5_IJN6thrust23THRUST_200600_302600_NS10device_ptrIiEESE_EEEEESG_SG_PS7_SH_SH_NSC_11hip_rocprim7__merge17predicate_wrapperIiiNSC_4lessIiEEEEEE10hipError_tPvRmT0_T1_T2_T3_T4_T5_mmT6_P12ihipStream_tbEUlT_E_NS1_11comp_targetILNS1_3genE3ELNS1_11target_archE908ELNS1_3gpuE7ELNS1_3repE0EEENS1_30default_config_static_selectorELNS0_4arch9wavefront6targetE0EEEvSS_.kd
    .uniform_work_group_size: 1
    .uses_dynamic_stack: false
    .vgpr_count:     0
    .vgpr_spill_count: 0
    .wavefront_size: 32
  - .args:
      - .offset:         0
        .size:           64
        .value_kind:     by_value
    .group_segment_fixed_size: 0
    .kernarg_segment_align: 8
    .kernarg_segment_size: 64
    .language:       OpenCL C
    .language_version:
      - 2
      - 0
    .max_flat_workgroup_size: 256
    .name:           _ZN7rocprim17ROCPRIM_400000_NS6detail17trampoline_kernelINS0_14default_configENS1_21merge_config_selectorINS0_5tupleIJiiEEENS0_10empty_typeEEEZNS1_10merge_implIS3_NS0_12zip_iteratorINS5_IJN6thrust23THRUST_200600_302600_NS10device_ptrIiEESE_EEEEESG_SG_PS7_SH_SH_NSC_11hip_rocprim7__merge17predicate_wrapperIiiNSC_4lessIiEEEEEE10hipError_tPvRmT0_T1_T2_T3_T4_T5_mmT6_P12ihipStream_tbEUlT_E_NS1_11comp_targetILNS1_3genE2ELNS1_11target_archE906ELNS1_3gpuE6ELNS1_3repE0EEENS1_30default_config_static_selectorELNS0_4arch9wavefront6targetE0EEEvSS_
    .private_segment_fixed_size: 0
    .sgpr_count:     0
    .sgpr_spill_count: 0
    .symbol:         _ZN7rocprim17ROCPRIM_400000_NS6detail17trampoline_kernelINS0_14default_configENS1_21merge_config_selectorINS0_5tupleIJiiEEENS0_10empty_typeEEEZNS1_10merge_implIS3_NS0_12zip_iteratorINS5_IJN6thrust23THRUST_200600_302600_NS10device_ptrIiEESE_EEEEESG_SG_PS7_SH_SH_NSC_11hip_rocprim7__merge17predicate_wrapperIiiNSC_4lessIiEEEEEE10hipError_tPvRmT0_T1_T2_T3_T4_T5_mmT6_P12ihipStream_tbEUlT_E_NS1_11comp_targetILNS1_3genE2ELNS1_11target_archE906ELNS1_3gpuE6ELNS1_3repE0EEENS1_30default_config_static_selectorELNS0_4arch9wavefront6targetE0EEEvSS_.kd
    .uniform_work_group_size: 1
    .uses_dynamic_stack: false
    .vgpr_count:     0
    .vgpr_spill_count: 0
    .wavefront_size: 32
  - .args:
      - .offset:         0
        .size:           64
        .value_kind:     by_value
    .group_segment_fixed_size: 0
    .kernarg_segment_align: 8
    .kernarg_segment_size: 64
    .language:       OpenCL C
    .language_version:
      - 2
      - 0
    .max_flat_workgroup_size: 512
    .name:           _ZN7rocprim17ROCPRIM_400000_NS6detail17trampoline_kernelINS0_14default_configENS1_21merge_config_selectorINS0_5tupleIJiiEEENS0_10empty_typeEEEZNS1_10merge_implIS3_NS0_12zip_iteratorINS5_IJN6thrust23THRUST_200600_302600_NS10device_ptrIiEESE_EEEEESG_SG_PS7_SH_SH_NSC_11hip_rocprim7__merge17predicate_wrapperIiiNSC_4lessIiEEEEEE10hipError_tPvRmT0_T1_T2_T3_T4_T5_mmT6_P12ihipStream_tbEUlT_E_NS1_11comp_targetILNS1_3genE10ELNS1_11target_archE1201ELNS1_3gpuE5ELNS1_3repE0EEENS1_30default_config_static_selectorELNS0_4arch9wavefront6targetE0EEEvSS_
    .private_segment_fixed_size: 0
    .sgpr_count:     0
    .sgpr_spill_count: 0
    .symbol:         _ZN7rocprim17ROCPRIM_400000_NS6detail17trampoline_kernelINS0_14default_configENS1_21merge_config_selectorINS0_5tupleIJiiEEENS0_10empty_typeEEEZNS1_10merge_implIS3_NS0_12zip_iteratorINS5_IJN6thrust23THRUST_200600_302600_NS10device_ptrIiEESE_EEEEESG_SG_PS7_SH_SH_NSC_11hip_rocprim7__merge17predicate_wrapperIiiNSC_4lessIiEEEEEE10hipError_tPvRmT0_T1_T2_T3_T4_T5_mmT6_P12ihipStream_tbEUlT_E_NS1_11comp_targetILNS1_3genE10ELNS1_11target_archE1201ELNS1_3gpuE5ELNS1_3repE0EEENS1_30default_config_static_selectorELNS0_4arch9wavefront6targetE0EEEvSS_.kd
    .uniform_work_group_size: 1
    .uses_dynamic_stack: false
    .vgpr_count:     0
    .vgpr_spill_count: 0
    .wavefront_size: 32
  - .args:
      - .offset:         0
        .size:           64
        .value_kind:     by_value
    .group_segment_fixed_size: 0
    .kernarg_segment_align: 8
    .kernarg_segment_size: 64
    .language:       OpenCL C
    .language_version:
      - 2
      - 0
    .max_flat_workgroup_size: 1024
    .name:           _ZN7rocprim17ROCPRIM_400000_NS6detail17trampoline_kernelINS0_14default_configENS1_21merge_config_selectorINS0_5tupleIJiiEEENS0_10empty_typeEEEZNS1_10merge_implIS3_NS0_12zip_iteratorINS5_IJN6thrust23THRUST_200600_302600_NS10device_ptrIiEESE_EEEEESG_SG_PS7_SH_SH_NSC_11hip_rocprim7__merge17predicate_wrapperIiiNSC_4lessIiEEEEEE10hipError_tPvRmT0_T1_T2_T3_T4_T5_mmT6_P12ihipStream_tbEUlT_E_NS1_11comp_targetILNS1_3genE10ELNS1_11target_archE1200ELNS1_3gpuE4ELNS1_3repE0EEENS1_30default_config_static_selectorELNS0_4arch9wavefront6targetE0EEEvSS_
    .private_segment_fixed_size: 0
    .sgpr_count:     0
    .sgpr_spill_count: 0
    .symbol:         _ZN7rocprim17ROCPRIM_400000_NS6detail17trampoline_kernelINS0_14default_configENS1_21merge_config_selectorINS0_5tupleIJiiEEENS0_10empty_typeEEEZNS1_10merge_implIS3_NS0_12zip_iteratorINS5_IJN6thrust23THRUST_200600_302600_NS10device_ptrIiEESE_EEEEESG_SG_PS7_SH_SH_NSC_11hip_rocprim7__merge17predicate_wrapperIiiNSC_4lessIiEEEEEE10hipError_tPvRmT0_T1_T2_T3_T4_T5_mmT6_P12ihipStream_tbEUlT_E_NS1_11comp_targetILNS1_3genE10ELNS1_11target_archE1200ELNS1_3gpuE4ELNS1_3repE0EEENS1_30default_config_static_selectorELNS0_4arch9wavefront6targetE0EEEvSS_.kd
    .uniform_work_group_size: 1
    .uses_dynamic_stack: false
    .vgpr_count:     0
    .vgpr_spill_count: 0
    .wavefront_size: 32
  - .args:
      - .offset:         0
        .size:           64
        .value_kind:     by_value
    .group_segment_fixed_size: 0
    .kernarg_segment_align: 8
    .kernarg_segment_size: 64
    .language:       OpenCL C
    .language_version:
      - 2
      - 0
    .max_flat_workgroup_size: 1024
    .name:           _ZN7rocprim17ROCPRIM_400000_NS6detail17trampoline_kernelINS0_14default_configENS1_21merge_config_selectorINS0_5tupleIJiiEEENS0_10empty_typeEEEZNS1_10merge_implIS3_NS0_12zip_iteratorINS5_IJN6thrust23THRUST_200600_302600_NS10device_ptrIiEESE_EEEEESG_SG_PS7_SH_SH_NSC_11hip_rocprim7__merge17predicate_wrapperIiiNSC_4lessIiEEEEEE10hipError_tPvRmT0_T1_T2_T3_T4_T5_mmT6_P12ihipStream_tbEUlT_E_NS1_11comp_targetILNS1_3genE9ELNS1_11target_archE1100ELNS1_3gpuE3ELNS1_3repE0EEENS1_30default_config_static_selectorELNS0_4arch9wavefront6targetE0EEEvSS_
    .private_segment_fixed_size: 0
    .sgpr_count:     0
    .sgpr_spill_count: 0
    .symbol:         _ZN7rocprim17ROCPRIM_400000_NS6detail17trampoline_kernelINS0_14default_configENS1_21merge_config_selectorINS0_5tupleIJiiEEENS0_10empty_typeEEEZNS1_10merge_implIS3_NS0_12zip_iteratorINS5_IJN6thrust23THRUST_200600_302600_NS10device_ptrIiEESE_EEEEESG_SG_PS7_SH_SH_NSC_11hip_rocprim7__merge17predicate_wrapperIiiNSC_4lessIiEEEEEE10hipError_tPvRmT0_T1_T2_T3_T4_T5_mmT6_P12ihipStream_tbEUlT_E_NS1_11comp_targetILNS1_3genE9ELNS1_11target_archE1100ELNS1_3gpuE3ELNS1_3repE0EEENS1_30default_config_static_selectorELNS0_4arch9wavefront6targetE0EEEvSS_.kd
    .uniform_work_group_size: 1
    .uses_dynamic_stack: false
    .vgpr_count:     0
    .vgpr_spill_count: 0
    .wavefront_size: 32
  - .args:
      - .offset:         0
        .size:           64
        .value_kind:     by_value
    .group_segment_fixed_size: 0
    .kernarg_segment_align: 8
    .kernarg_segment_size: 64
    .language:       OpenCL C
    .language_version:
      - 2
      - 0
    .max_flat_workgroup_size: 256
    .name:           _ZN7rocprim17ROCPRIM_400000_NS6detail17trampoline_kernelINS0_14default_configENS1_21merge_config_selectorINS0_5tupleIJiiEEENS0_10empty_typeEEEZNS1_10merge_implIS3_NS0_12zip_iteratorINS5_IJN6thrust23THRUST_200600_302600_NS10device_ptrIiEESE_EEEEESG_SG_PS7_SH_SH_NSC_11hip_rocprim7__merge17predicate_wrapperIiiNSC_4lessIiEEEEEE10hipError_tPvRmT0_T1_T2_T3_T4_T5_mmT6_P12ihipStream_tbEUlT_E_NS1_11comp_targetILNS1_3genE8ELNS1_11target_archE1030ELNS1_3gpuE2ELNS1_3repE0EEENS1_30default_config_static_selectorELNS0_4arch9wavefront6targetE0EEEvSS_
    .private_segment_fixed_size: 0
    .sgpr_count:     0
    .sgpr_spill_count: 0
    .symbol:         _ZN7rocprim17ROCPRIM_400000_NS6detail17trampoline_kernelINS0_14default_configENS1_21merge_config_selectorINS0_5tupleIJiiEEENS0_10empty_typeEEEZNS1_10merge_implIS3_NS0_12zip_iteratorINS5_IJN6thrust23THRUST_200600_302600_NS10device_ptrIiEESE_EEEEESG_SG_PS7_SH_SH_NSC_11hip_rocprim7__merge17predicate_wrapperIiiNSC_4lessIiEEEEEE10hipError_tPvRmT0_T1_T2_T3_T4_T5_mmT6_P12ihipStream_tbEUlT_E_NS1_11comp_targetILNS1_3genE8ELNS1_11target_archE1030ELNS1_3gpuE2ELNS1_3repE0EEENS1_30default_config_static_selectorELNS0_4arch9wavefront6targetE0EEEvSS_.kd
    .uniform_work_group_size: 1
    .uses_dynamic_stack: false
    .vgpr_count:     0
    .vgpr_spill_count: 0
    .wavefront_size: 32
  - .args:
      - .offset:         0
        .size:           112
        .value_kind:     by_value
    .group_segment_fixed_size: 14352
    .kernarg_segment_align: 8
    .kernarg_segment_size: 112
    .language:       OpenCL C
    .language_version:
      - 2
      - 0
    .max_flat_workgroup_size: 256
    .name:           _ZN7rocprim17ROCPRIM_400000_NS6detail17trampoline_kernelINS0_14default_configENS1_21merge_config_selectorINS0_5tupleIJiiEEENS0_10empty_typeEEEZNS1_10merge_implIS3_NS0_12zip_iteratorINS5_IJN6thrust23THRUST_200600_302600_NS10device_ptrIiEESE_EEEEESG_SG_PS7_SH_SH_NSC_11hip_rocprim7__merge17predicate_wrapperIiiNSC_4lessIiEEEEEE10hipError_tPvRmT0_T1_T2_T3_T4_T5_mmT6_P12ihipStream_tbEUlT_E0_NS1_11comp_targetILNS1_3genE0ELNS1_11target_archE4294967295ELNS1_3gpuE0ELNS1_3repE0EEENS1_30default_config_static_selectorELNS0_4arch9wavefront6targetE0EEEvSS_
    .private_segment_fixed_size: 0
    .sgpr_count:     28
    .sgpr_spill_count: 0
    .symbol:         _ZN7rocprim17ROCPRIM_400000_NS6detail17trampoline_kernelINS0_14default_configENS1_21merge_config_selectorINS0_5tupleIJiiEEENS0_10empty_typeEEEZNS1_10merge_implIS3_NS0_12zip_iteratorINS5_IJN6thrust23THRUST_200600_302600_NS10device_ptrIiEESE_EEEEESG_SG_PS7_SH_SH_NSC_11hip_rocprim7__merge17predicate_wrapperIiiNSC_4lessIiEEEEEE10hipError_tPvRmT0_T1_T2_T3_T4_T5_mmT6_P12ihipStream_tbEUlT_E0_NS1_11comp_targetILNS1_3genE0ELNS1_11target_archE4294967295ELNS1_3gpuE0ELNS1_3repE0EEENS1_30default_config_static_selectorELNS0_4arch9wavefront6targetE0EEEvSS_.kd
    .uniform_work_group_size: 1
    .uses_dynamic_stack: false
    .vgpr_count:     35
    .vgpr_spill_count: 0
    .wavefront_size: 32
  - .args:
      - .offset:         0
        .size:           112
        .value_kind:     by_value
    .group_segment_fixed_size: 0
    .kernarg_segment_align: 8
    .kernarg_segment_size: 112
    .language:       OpenCL C
    .language_version:
      - 2
      - 0
    .max_flat_workgroup_size: 256
    .name:           _ZN7rocprim17ROCPRIM_400000_NS6detail17trampoline_kernelINS0_14default_configENS1_21merge_config_selectorINS0_5tupleIJiiEEENS0_10empty_typeEEEZNS1_10merge_implIS3_NS0_12zip_iteratorINS5_IJN6thrust23THRUST_200600_302600_NS10device_ptrIiEESE_EEEEESG_SG_PS7_SH_SH_NSC_11hip_rocprim7__merge17predicate_wrapperIiiNSC_4lessIiEEEEEE10hipError_tPvRmT0_T1_T2_T3_T4_T5_mmT6_P12ihipStream_tbEUlT_E0_NS1_11comp_targetILNS1_3genE5ELNS1_11target_archE942ELNS1_3gpuE9ELNS1_3repE0EEENS1_30default_config_static_selectorELNS0_4arch9wavefront6targetE0EEEvSS_
    .private_segment_fixed_size: 0
    .sgpr_count:     0
    .sgpr_spill_count: 0
    .symbol:         _ZN7rocprim17ROCPRIM_400000_NS6detail17trampoline_kernelINS0_14default_configENS1_21merge_config_selectorINS0_5tupleIJiiEEENS0_10empty_typeEEEZNS1_10merge_implIS3_NS0_12zip_iteratorINS5_IJN6thrust23THRUST_200600_302600_NS10device_ptrIiEESE_EEEEESG_SG_PS7_SH_SH_NSC_11hip_rocprim7__merge17predicate_wrapperIiiNSC_4lessIiEEEEEE10hipError_tPvRmT0_T1_T2_T3_T4_T5_mmT6_P12ihipStream_tbEUlT_E0_NS1_11comp_targetILNS1_3genE5ELNS1_11target_archE942ELNS1_3gpuE9ELNS1_3repE0EEENS1_30default_config_static_selectorELNS0_4arch9wavefront6targetE0EEEvSS_.kd
    .uniform_work_group_size: 1
    .uses_dynamic_stack: false
    .vgpr_count:     0
    .vgpr_spill_count: 0
    .wavefront_size: 32
  - .args:
      - .offset:         0
        .size:           112
        .value_kind:     by_value
    .group_segment_fixed_size: 0
    .kernarg_segment_align: 8
    .kernarg_segment_size: 112
    .language:       OpenCL C
    .language_version:
      - 2
      - 0
    .max_flat_workgroup_size: 256
    .name:           _ZN7rocprim17ROCPRIM_400000_NS6detail17trampoline_kernelINS0_14default_configENS1_21merge_config_selectorINS0_5tupleIJiiEEENS0_10empty_typeEEEZNS1_10merge_implIS3_NS0_12zip_iteratorINS5_IJN6thrust23THRUST_200600_302600_NS10device_ptrIiEESE_EEEEESG_SG_PS7_SH_SH_NSC_11hip_rocprim7__merge17predicate_wrapperIiiNSC_4lessIiEEEEEE10hipError_tPvRmT0_T1_T2_T3_T4_T5_mmT6_P12ihipStream_tbEUlT_E0_NS1_11comp_targetILNS1_3genE4ELNS1_11target_archE910ELNS1_3gpuE8ELNS1_3repE0EEENS1_30default_config_static_selectorELNS0_4arch9wavefront6targetE0EEEvSS_
    .private_segment_fixed_size: 0
    .sgpr_count:     0
    .sgpr_spill_count: 0
    .symbol:         _ZN7rocprim17ROCPRIM_400000_NS6detail17trampoline_kernelINS0_14default_configENS1_21merge_config_selectorINS0_5tupleIJiiEEENS0_10empty_typeEEEZNS1_10merge_implIS3_NS0_12zip_iteratorINS5_IJN6thrust23THRUST_200600_302600_NS10device_ptrIiEESE_EEEEESG_SG_PS7_SH_SH_NSC_11hip_rocprim7__merge17predicate_wrapperIiiNSC_4lessIiEEEEEE10hipError_tPvRmT0_T1_T2_T3_T4_T5_mmT6_P12ihipStream_tbEUlT_E0_NS1_11comp_targetILNS1_3genE4ELNS1_11target_archE910ELNS1_3gpuE8ELNS1_3repE0EEENS1_30default_config_static_selectorELNS0_4arch9wavefront6targetE0EEEvSS_.kd
    .uniform_work_group_size: 1
    .uses_dynamic_stack: false
    .vgpr_count:     0
    .vgpr_spill_count: 0
    .wavefront_size: 32
  - .args:
      - .offset:         0
        .size:           112
        .value_kind:     by_value
    .group_segment_fixed_size: 0
    .kernarg_segment_align: 8
    .kernarg_segment_size: 112
    .language:       OpenCL C
    .language_version:
      - 2
      - 0
    .max_flat_workgroup_size: 256
    .name:           _ZN7rocprim17ROCPRIM_400000_NS6detail17trampoline_kernelINS0_14default_configENS1_21merge_config_selectorINS0_5tupleIJiiEEENS0_10empty_typeEEEZNS1_10merge_implIS3_NS0_12zip_iteratorINS5_IJN6thrust23THRUST_200600_302600_NS10device_ptrIiEESE_EEEEESG_SG_PS7_SH_SH_NSC_11hip_rocprim7__merge17predicate_wrapperIiiNSC_4lessIiEEEEEE10hipError_tPvRmT0_T1_T2_T3_T4_T5_mmT6_P12ihipStream_tbEUlT_E0_NS1_11comp_targetILNS1_3genE3ELNS1_11target_archE908ELNS1_3gpuE7ELNS1_3repE0EEENS1_30default_config_static_selectorELNS0_4arch9wavefront6targetE0EEEvSS_
    .private_segment_fixed_size: 0
    .sgpr_count:     0
    .sgpr_spill_count: 0
    .symbol:         _ZN7rocprim17ROCPRIM_400000_NS6detail17trampoline_kernelINS0_14default_configENS1_21merge_config_selectorINS0_5tupleIJiiEEENS0_10empty_typeEEEZNS1_10merge_implIS3_NS0_12zip_iteratorINS5_IJN6thrust23THRUST_200600_302600_NS10device_ptrIiEESE_EEEEESG_SG_PS7_SH_SH_NSC_11hip_rocprim7__merge17predicate_wrapperIiiNSC_4lessIiEEEEEE10hipError_tPvRmT0_T1_T2_T3_T4_T5_mmT6_P12ihipStream_tbEUlT_E0_NS1_11comp_targetILNS1_3genE3ELNS1_11target_archE908ELNS1_3gpuE7ELNS1_3repE0EEENS1_30default_config_static_selectorELNS0_4arch9wavefront6targetE0EEEvSS_.kd
    .uniform_work_group_size: 1
    .uses_dynamic_stack: false
    .vgpr_count:     0
    .vgpr_spill_count: 0
    .wavefront_size: 32
  - .args:
      - .offset:         0
        .size:           112
        .value_kind:     by_value
    .group_segment_fixed_size: 0
    .kernarg_segment_align: 8
    .kernarg_segment_size: 112
    .language:       OpenCL C
    .language_version:
      - 2
      - 0
    .max_flat_workgroup_size: 256
    .name:           _ZN7rocprim17ROCPRIM_400000_NS6detail17trampoline_kernelINS0_14default_configENS1_21merge_config_selectorINS0_5tupleIJiiEEENS0_10empty_typeEEEZNS1_10merge_implIS3_NS0_12zip_iteratorINS5_IJN6thrust23THRUST_200600_302600_NS10device_ptrIiEESE_EEEEESG_SG_PS7_SH_SH_NSC_11hip_rocprim7__merge17predicate_wrapperIiiNSC_4lessIiEEEEEE10hipError_tPvRmT0_T1_T2_T3_T4_T5_mmT6_P12ihipStream_tbEUlT_E0_NS1_11comp_targetILNS1_3genE2ELNS1_11target_archE906ELNS1_3gpuE6ELNS1_3repE0EEENS1_30default_config_static_selectorELNS0_4arch9wavefront6targetE0EEEvSS_
    .private_segment_fixed_size: 0
    .sgpr_count:     0
    .sgpr_spill_count: 0
    .symbol:         _ZN7rocprim17ROCPRIM_400000_NS6detail17trampoline_kernelINS0_14default_configENS1_21merge_config_selectorINS0_5tupleIJiiEEENS0_10empty_typeEEEZNS1_10merge_implIS3_NS0_12zip_iteratorINS5_IJN6thrust23THRUST_200600_302600_NS10device_ptrIiEESE_EEEEESG_SG_PS7_SH_SH_NSC_11hip_rocprim7__merge17predicate_wrapperIiiNSC_4lessIiEEEEEE10hipError_tPvRmT0_T1_T2_T3_T4_T5_mmT6_P12ihipStream_tbEUlT_E0_NS1_11comp_targetILNS1_3genE2ELNS1_11target_archE906ELNS1_3gpuE6ELNS1_3repE0EEENS1_30default_config_static_selectorELNS0_4arch9wavefront6targetE0EEEvSS_.kd
    .uniform_work_group_size: 1
    .uses_dynamic_stack: false
    .vgpr_count:     0
    .vgpr_spill_count: 0
    .wavefront_size: 32
  - .args:
      - .offset:         0
        .size:           112
        .value_kind:     by_value
    .group_segment_fixed_size: 0
    .kernarg_segment_align: 8
    .kernarg_segment_size: 112
    .language:       OpenCL C
    .language_version:
      - 2
      - 0
    .max_flat_workgroup_size: 512
    .name:           _ZN7rocprim17ROCPRIM_400000_NS6detail17trampoline_kernelINS0_14default_configENS1_21merge_config_selectorINS0_5tupleIJiiEEENS0_10empty_typeEEEZNS1_10merge_implIS3_NS0_12zip_iteratorINS5_IJN6thrust23THRUST_200600_302600_NS10device_ptrIiEESE_EEEEESG_SG_PS7_SH_SH_NSC_11hip_rocprim7__merge17predicate_wrapperIiiNSC_4lessIiEEEEEE10hipError_tPvRmT0_T1_T2_T3_T4_T5_mmT6_P12ihipStream_tbEUlT_E0_NS1_11comp_targetILNS1_3genE10ELNS1_11target_archE1201ELNS1_3gpuE5ELNS1_3repE0EEENS1_30default_config_static_selectorELNS0_4arch9wavefront6targetE0EEEvSS_
    .private_segment_fixed_size: 0
    .sgpr_count:     0
    .sgpr_spill_count: 0
    .symbol:         _ZN7rocprim17ROCPRIM_400000_NS6detail17trampoline_kernelINS0_14default_configENS1_21merge_config_selectorINS0_5tupleIJiiEEENS0_10empty_typeEEEZNS1_10merge_implIS3_NS0_12zip_iteratorINS5_IJN6thrust23THRUST_200600_302600_NS10device_ptrIiEESE_EEEEESG_SG_PS7_SH_SH_NSC_11hip_rocprim7__merge17predicate_wrapperIiiNSC_4lessIiEEEEEE10hipError_tPvRmT0_T1_T2_T3_T4_T5_mmT6_P12ihipStream_tbEUlT_E0_NS1_11comp_targetILNS1_3genE10ELNS1_11target_archE1201ELNS1_3gpuE5ELNS1_3repE0EEENS1_30default_config_static_selectorELNS0_4arch9wavefront6targetE0EEEvSS_.kd
    .uniform_work_group_size: 1
    .uses_dynamic_stack: false
    .vgpr_count:     0
    .vgpr_spill_count: 0
    .wavefront_size: 32
  - .args:
      - .offset:         0
        .size:           112
        .value_kind:     by_value
    .group_segment_fixed_size: 0
    .kernarg_segment_align: 8
    .kernarg_segment_size: 112
    .language:       OpenCL C
    .language_version:
      - 2
      - 0
    .max_flat_workgroup_size: 1024
    .name:           _ZN7rocprim17ROCPRIM_400000_NS6detail17trampoline_kernelINS0_14default_configENS1_21merge_config_selectorINS0_5tupleIJiiEEENS0_10empty_typeEEEZNS1_10merge_implIS3_NS0_12zip_iteratorINS5_IJN6thrust23THRUST_200600_302600_NS10device_ptrIiEESE_EEEEESG_SG_PS7_SH_SH_NSC_11hip_rocprim7__merge17predicate_wrapperIiiNSC_4lessIiEEEEEE10hipError_tPvRmT0_T1_T2_T3_T4_T5_mmT6_P12ihipStream_tbEUlT_E0_NS1_11comp_targetILNS1_3genE10ELNS1_11target_archE1200ELNS1_3gpuE4ELNS1_3repE0EEENS1_30default_config_static_selectorELNS0_4arch9wavefront6targetE0EEEvSS_
    .private_segment_fixed_size: 0
    .sgpr_count:     0
    .sgpr_spill_count: 0
    .symbol:         _ZN7rocprim17ROCPRIM_400000_NS6detail17trampoline_kernelINS0_14default_configENS1_21merge_config_selectorINS0_5tupleIJiiEEENS0_10empty_typeEEEZNS1_10merge_implIS3_NS0_12zip_iteratorINS5_IJN6thrust23THRUST_200600_302600_NS10device_ptrIiEESE_EEEEESG_SG_PS7_SH_SH_NSC_11hip_rocprim7__merge17predicate_wrapperIiiNSC_4lessIiEEEEEE10hipError_tPvRmT0_T1_T2_T3_T4_T5_mmT6_P12ihipStream_tbEUlT_E0_NS1_11comp_targetILNS1_3genE10ELNS1_11target_archE1200ELNS1_3gpuE4ELNS1_3repE0EEENS1_30default_config_static_selectorELNS0_4arch9wavefront6targetE0EEEvSS_.kd
    .uniform_work_group_size: 1
    .uses_dynamic_stack: false
    .vgpr_count:     0
    .vgpr_spill_count: 0
    .wavefront_size: 32
  - .args:
      - .offset:         0
        .size:           112
        .value_kind:     by_value
    .group_segment_fixed_size: 0
    .kernarg_segment_align: 8
    .kernarg_segment_size: 112
    .language:       OpenCL C
    .language_version:
      - 2
      - 0
    .max_flat_workgroup_size: 1024
    .name:           _ZN7rocprim17ROCPRIM_400000_NS6detail17trampoline_kernelINS0_14default_configENS1_21merge_config_selectorINS0_5tupleIJiiEEENS0_10empty_typeEEEZNS1_10merge_implIS3_NS0_12zip_iteratorINS5_IJN6thrust23THRUST_200600_302600_NS10device_ptrIiEESE_EEEEESG_SG_PS7_SH_SH_NSC_11hip_rocprim7__merge17predicate_wrapperIiiNSC_4lessIiEEEEEE10hipError_tPvRmT0_T1_T2_T3_T4_T5_mmT6_P12ihipStream_tbEUlT_E0_NS1_11comp_targetILNS1_3genE9ELNS1_11target_archE1100ELNS1_3gpuE3ELNS1_3repE0EEENS1_30default_config_static_selectorELNS0_4arch9wavefront6targetE0EEEvSS_
    .private_segment_fixed_size: 0
    .sgpr_count:     0
    .sgpr_spill_count: 0
    .symbol:         _ZN7rocprim17ROCPRIM_400000_NS6detail17trampoline_kernelINS0_14default_configENS1_21merge_config_selectorINS0_5tupleIJiiEEENS0_10empty_typeEEEZNS1_10merge_implIS3_NS0_12zip_iteratorINS5_IJN6thrust23THRUST_200600_302600_NS10device_ptrIiEESE_EEEEESG_SG_PS7_SH_SH_NSC_11hip_rocprim7__merge17predicate_wrapperIiiNSC_4lessIiEEEEEE10hipError_tPvRmT0_T1_T2_T3_T4_T5_mmT6_P12ihipStream_tbEUlT_E0_NS1_11comp_targetILNS1_3genE9ELNS1_11target_archE1100ELNS1_3gpuE3ELNS1_3repE0EEENS1_30default_config_static_selectorELNS0_4arch9wavefront6targetE0EEEvSS_.kd
    .uniform_work_group_size: 1
    .uses_dynamic_stack: false
    .vgpr_count:     0
    .vgpr_spill_count: 0
    .wavefront_size: 32
  - .args:
      - .offset:         0
        .size:           112
        .value_kind:     by_value
    .group_segment_fixed_size: 0
    .kernarg_segment_align: 8
    .kernarg_segment_size: 112
    .language:       OpenCL C
    .language_version:
      - 2
      - 0
    .max_flat_workgroup_size: 256
    .name:           _ZN7rocprim17ROCPRIM_400000_NS6detail17trampoline_kernelINS0_14default_configENS1_21merge_config_selectorINS0_5tupleIJiiEEENS0_10empty_typeEEEZNS1_10merge_implIS3_NS0_12zip_iteratorINS5_IJN6thrust23THRUST_200600_302600_NS10device_ptrIiEESE_EEEEESG_SG_PS7_SH_SH_NSC_11hip_rocprim7__merge17predicate_wrapperIiiNSC_4lessIiEEEEEE10hipError_tPvRmT0_T1_T2_T3_T4_T5_mmT6_P12ihipStream_tbEUlT_E0_NS1_11comp_targetILNS1_3genE8ELNS1_11target_archE1030ELNS1_3gpuE2ELNS1_3repE0EEENS1_30default_config_static_selectorELNS0_4arch9wavefront6targetE0EEEvSS_
    .private_segment_fixed_size: 0
    .sgpr_count:     0
    .sgpr_spill_count: 0
    .symbol:         _ZN7rocprim17ROCPRIM_400000_NS6detail17trampoline_kernelINS0_14default_configENS1_21merge_config_selectorINS0_5tupleIJiiEEENS0_10empty_typeEEEZNS1_10merge_implIS3_NS0_12zip_iteratorINS5_IJN6thrust23THRUST_200600_302600_NS10device_ptrIiEESE_EEEEESG_SG_PS7_SH_SH_NSC_11hip_rocprim7__merge17predicate_wrapperIiiNSC_4lessIiEEEEEE10hipError_tPvRmT0_T1_T2_T3_T4_T5_mmT6_P12ihipStream_tbEUlT_E0_NS1_11comp_targetILNS1_3genE8ELNS1_11target_archE1030ELNS1_3gpuE2ELNS1_3repE0EEENS1_30default_config_static_selectorELNS0_4arch9wavefront6targetE0EEEvSS_.kd
    .uniform_work_group_size: 1
    .uses_dynamic_stack: false
    .vgpr_count:     0
    .vgpr_spill_count: 0
    .wavefront_size: 32
amdhsa.target:   amdgcn-amd-amdhsa--gfx1250
amdhsa.version:
  - 1
  - 2
...

	.end_amdgpu_metadata
